;; amdgpu-corpus repo=ROCm/hipCUB kind=compiled arch=gfx906 opt=O3
	.amdgcn_target "amdgcn-amd-amdhsa--gfx906"
	.amdhsa_code_object_version 6
	.section	.text._Z16sort_keys_kernelIiLj64ELj1EN10test_utils4lessELj10EEvPKT_PS2_T2_,"axG",@progbits,_Z16sort_keys_kernelIiLj64ELj1EN10test_utils4lessELj10EEvPKT_PS2_T2_,comdat
	.protected	_Z16sort_keys_kernelIiLj64ELj1EN10test_utils4lessELj10EEvPKT_PS2_T2_ ; -- Begin function _Z16sort_keys_kernelIiLj64ELj1EN10test_utils4lessELj10EEvPKT_PS2_T2_
	.globl	_Z16sort_keys_kernelIiLj64ELj1EN10test_utils4lessELj10EEvPKT_PS2_T2_
	.p2align	8
	.type	_Z16sort_keys_kernelIiLj64ELj1EN10test_utils4lessELj10EEvPKT_PS2_T2_,@function
_Z16sort_keys_kernelIiLj64ELj1EN10test_utils4lessELj10EEvPKT_PS2_T2_: ; @_Z16sort_keys_kernelIiLj64ELj1EN10test_utils4lessELj10EEvPKT_PS2_T2_
; %bb.0:
	s_load_dwordx4 s[16:19], s[4:5], 0x0
	s_lshl_b32 s22, s6, 6
	s_mov_b32 s23, 0
	s_lshl_b64 s[20:21], s[22:23], 2
	v_lshlrev_b32_e32 v1, 2, v0
	s_waitcnt lgkmcnt(0)
	s_add_u32 s0, s16, s20
	s_addc_u32 s1, s17, s21
	global_load_dword v41, v1, s[0:1]
	v_and_b32_e32 v12, 60, v0
	v_and_b32_e32 v18, 56, v0
	;; [unrolled: 1-line block ×4, first 2 shown]
	v_or_b32_e32 v15, 2, v12
	v_add_u32_e32 v2, 4, v12
	v_or_b32_e32 v21, 4, v18
	v_add_u32_e32 v3, 8, v18
	;; [unrolled: 2-line block ×4, first 2 shown]
	v_and_b32_e32 v16, 3, v0
	v_sub_u32_e32 v13, v2, v15
	v_and_b32_e32 v22, 7, v0
	v_sub_u32_e32 v19, v3, v21
	;; [unrolled: 2-line block ×5, first 2 shown]
	v_sub_u32_e32 v20, v22, v19
	v_sub_u32_e32 v26, v28, v25
	;; [unrolled: 1-line block ×3, first 2 shown]
	v_or_b32_e32 v6, 1, v8
	v_and_b32_e32 v38, 1, v0
	v_cmp_ge_i32_e64 s[0:1], v16, v13
	v_cmp_ge_i32_e64 s[2:3], v22, v19
	;; [unrolled: 1-line block ×4, first 2 shown]
	v_sub_u32_e32 v7, v6, v8
	v_add_u32_e32 v9, -1, v38
	v_cmp_lt_i32_e32 vcc, 0, v38
	v_sub_u32_e32 v11, v15, v12
	v_cndmask_b32_e64 v13, 0, v14, s[0:1]
	v_lshlrev_b32_e32 v14, 2, v16
	v_sub_u32_e32 v17, v21, v18
	v_cndmask_b32_e64 v19, 0, v20, s[2:3]
	v_lshlrev_b32_e32 v20, 2, v22
	;; [unrolled: 3-line block ×4, first 2 shown]
	v_cndmask_b32_e32 v9, 0, v9, vcc
	v_min_i32_e32 v10, v38, v7
	v_lshl_add_u32 v14, v15, 2, v14
	v_add_u32_e32 v15, v15, v16
	v_min_i32_e32 v16, v16, v11
	v_lshl_add_u32 v20, v21, 2, v20
	v_add_u32_e32 v21, v21, v22
	v_min_i32_e32 v22, v22, v17
	v_lshl_add_u32 v26, v27, 2, v26
	v_add_u32_e32 v27, v27, v28
	v_min_i32_e32 v28, v28, v23
	v_lshl_add_u32 v32, v33, 2, v32
	v_add_u32_e32 v33, v33, v34
	v_min_i32_e32 v34, v34, v29
	v_sub_u32_e64 v35, v0, 32 clamp
	v_min_i32_e32 v36, 32, v0
	v_add_u32_e32 v37, v6, v38
	v_lshlrev_b32_e32 v38, 2, v38
	v_lshlrev_b32_e32 v8, 2, v8
	v_cmp_lt_i32_e32 vcc, v9, v10
	v_lshlrev_b32_e32 v12, 2, v12
	v_cmp_lt_i32_e64 s[0:1], v13, v16
	v_lshlrev_b32_e32 v18, 2, v18
	v_cmp_lt_i32_e64 s[2:3], v19, v22
	;; [unrolled: 2-line block ×4, first 2 shown]
	v_cmp_lt_i32_e64 s[8:9], v35, v36
	v_lshl_add_u32 v38, v6, 2, v38
	v_add_u32_e32 v39, 32, v0
	v_add_u32_e32 v40, 0x80, v1
	s_branch .LBB0_2
.LBB0_1:                                ;   in Loop: Header=BB0_2 Depth=1
	s_or_b64 exec, exec, s[12:13]
	v_sub_u32_e32 v42, v39, v41
	v_lshlrev_b32_e32 v43, 2, v41
	v_lshlrev_b32_e32 v44, 2, v42
	ds_read_b32 v43, v43
	ds_read_b32 v44, v44
	v_cmp_le_i32_e64 s[10:11], 32, v41
	v_cmp_gt_i32_e64 s[12:13], 64, v42
	s_add_i32 s23, s23, 1
	s_waitcnt lgkmcnt(0)
	v_cmp_lt_i32_e64 s[14:15], v44, v43
	s_or_b64 s[10:11], s[10:11], s[14:15]
	s_and_b64 s[10:11], s[12:13], s[10:11]
	s_cmp_eq_u32 s23, 10
	v_cndmask_b32_e64 v41, v43, v44, s[10:11]
	s_cbranch_scc1 .LBB0_26
.LBB0_2:                                ; =>This Loop Header: Depth=1
                                        ;     Child Loop BB0_4 Depth 2
                                        ;     Child Loop BB0_8 Depth 2
	;; [unrolled: 1-line block ×6, first 2 shown]
	s_waitcnt vmcnt(0)
	; wave barrier
	ds_write_b32 v1, v41
	v_mov_b32_e32 v41, v9
	s_waitcnt lgkmcnt(0)
	; wave barrier
	s_and_saveexec_b64 s[12:13], vcc
	s_cbranch_execz .LBB0_6
; %bb.3:                                ;   in Loop: Header=BB0_2 Depth=1
	s_mov_b64 s[14:15], 0
	v_mov_b32_e32 v41, v9
	v_mov_b32_e32 v42, v10
.LBB0_4:                                ;   Parent Loop BB0_2 Depth=1
                                        ; =>  This Inner Loop Header: Depth=2
	v_sub_u32_e32 v43, v42, v41
	v_lshrrev_b32_e32 v43, 1, v43
	v_add_u32_e32 v43, v43, v41
	v_not_b32_e32 v45, v43
	v_lshl_add_u32 v44, v43, 2, v8
	v_lshl_add_u32 v45, v45, 2, v38
	ds_read_b32 v44, v44
	ds_read_b32 v45, v45
	v_add_u32_e32 v46, 1, v43
	s_waitcnt lgkmcnt(0)
	v_cmp_lt_i32_e64 s[10:11], v45, v44
	v_cndmask_b32_e64 v42, v42, v43, s[10:11]
	v_cndmask_b32_e64 v41, v46, v41, s[10:11]
	v_cmp_ge_i32_e64 s[10:11], v41, v42
	s_or_b64 s[14:15], s[10:11], s[14:15]
	s_andn2_b64 exec, exec, s[14:15]
	s_cbranch_execnz .LBB0_4
; %bb.5:                                ;   in Loop: Header=BB0_2 Depth=1
	s_or_b64 exec, exec, s[14:15]
.LBB0_6:                                ;   in Loop: Header=BB0_2 Depth=1
	s_or_b64 exec, exec, s[12:13]
	v_sub_u32_e32 v42, v37, v41
	v_lshl_add_u32 v43, v41, 2, v8
	v_lshlrev_b32_e32 v44, 2, v42
	ds_read_b32 v43, v43
	ds_read_b32 v44, v44
	v_cmp_ge_i32_e64 s[10:11], v41, v7
	v_cmp_ge_i32_e64 s[12:13], v6, v42
	s_waitcnt lgkmcnt(0)
	; wave barrier
	v_cmp_lt_i32_e64 s[14:15], v44, v43
	s_or_b64 s[10:11], s[10:11], s[14:15]
	s_and_b64 s[10:11], s[12:13], s[10:11]
	v_cndmask_b32_e64 v41, v43, v44, s[10:11]
	ds_write_b32 v1, v41
	v_mov_b32_e32 v41, v13
	s_waitcnt lgkmcnt(0)
	; wave barrier
	s_and_saveexec_b64 s[12:13], s[0:1]
	s_cbranch_execz .LBB0_10
; %bb.7:                                ;   in Loop: Header=BB0_2 Depth=1
	s_mov_b64 s[14:15], 0
	v_mov_b32_e32 v41, v13
	v_mov_b32_e32 v42, v16
.LBB0_8:                                ;   Parent Loop BB0_2 Depth=1
                                        ; =>  This Inner Loop Header: Depth=2
	v_sub_u32_e32 v43, v42, v41
	v_lshrrev_b32_e32 v43, 1, v43
	v_add_u32_e32 v43, v43, v41
	v_not_b32_e32 v45, v43
	v_lshl_add_u32 v44, v43, 2, v12
	v_lshl_add_u32 v45, v45, 2, v14
	ds_read_b32 v44, v44
	ds_read_b32 v45, v45
	v_add_u32_e32 v46, 1, v43
	s_waitcnt lgkmcnt(0)
	v_cmp_lt_i32_e64 s[10:11], v45, v44
	v_cndmask_b32_e64 v42, v42, v43, s[10:11]
	v_cndmask_b32_e64 v41, v46, v41, s[10:11]
	v_cmp_ge_i32_e64 s[10:11], v41, v42
	s_or_b64 s[14:15], s[10:11], s[14:15]
	s_andn2_b64 exec, exec, s[14:15]
	s_cbranch_execnz .LBB0_8
; %bb.9:                                ;   in Loop: Header=BB0_2 Depth=1
	s_or_b64 exec, exec, s[14:15]
.LBB0_10:                               ;   in Loop: Header=BB0_2 Depth=1
	s_or_b64 exec, exec, s[12:13]
	v_sub_u32_e32 v42, v15, v41
	v_lshl_add_u32 v43, v41, 2, v12
	v_lshlrev_b32_e32 v44, 2, v42
	ds_read_b32 v43, v43
	ds_read_b32 v44, v44
	v_cmp_ge_i32_e64 s[10:11], v41, v11
	v_cmp_gt_i32_e64 s[12:13], v2, v42
	s_waitcnt lgkmcnt(0)
	; wave barrier
	v_cmp_lt_i32_e64 s[14:15], v44, v43
	s_or_b64 s[10:11], s[10:11], s[14:15]
	s_and_b64 s[10:11], s[12:13], s[10:11]
	v_cndmask_b32_e64 v41, v43, v44, s[10:11]
	ds_write_b32 v1, v41
	v_mov_b32_e32 v41, v19
	s_waitcnt lgkmcnt(0)
	; wave barrier
	s_and_saveexec_b64 s[12:13], s[2:3]
	s_cbranch_execz .LBB0_14
; %bb.11:                               ;   in Loop: Header=BB0_2 Depth=1
	s_mov_b64 s[14:15], 0
	v_mov_b32_e32 v41, v19
	v_mov_b32_e32 v42, v22
.LBB0_12:                               ;   Parent Loop BB0_2 Depth=1
                                        ; =>  This Inner Loop Header: Depth=2
	v_sub_u32_e32 v43, v42, v41
	v_lshrrev_b32_e32 v43, 1, v43
	v_add_u32_e32 v43, v43, v41
	v_not_b32_e32 v45, v43
	v_lshl_add_u32 v44, v43, 2, v18
	v_lshl_add_u32 v45, v45, 2, v20
	ds_read_b32 v44, v44
	ds_read_b32 v45, v45
	v_add_u32_e32 v46, 1, v43
	s_waitcnt lgkmcnt(0)
	v_cmp_lt_i32_e64 s[10:11], v45, v44
	v_cndmask_b32_e64 v42, v42, v43, s[10:11]
	v_cndmask_b32_e64 v41, v46, v41, s[10:11]
	v_cmp_ge_i32_e64 s[10:11], v41, v42
	s_or_b64 s[14:15], s[10:11], s[14:15]
	s_andn2_b64 exec, exec, s[14:15]
	s_cbranch_execnz .LBB0_12
; %bb.13:                               ;   in Loop: Header=BB0_2 Depth=1
	s_or_b64 exec, exec, s[14:15]
.LBB0_14:                               ;   in Loop: Header=BB0_2 Depth=1
	s_or_b64 exec, exec, s[12:13]
	v_sub_u32_e32 v42, v21, v41
	v_lshl_add_u32 v43, v41, 2, v18
	v_lshlrev_b32_e32 v44, 2, v42
	ds_read_b32 v43, v43
	ds_read_b32 v44, v44
	v_cmp_ge_i32_e64 s[10:11], v41, v17
	v_cmp_gt_i32_e64 s[12:13], v3, v42
	s_waitcnt lgkmcnt(0)
	; wave barrier
	v_cmp_lt_i32_e64 s[14:15], v44, v43
	s_or_b64 s[10:11], s[10:11], s[14:15]
	s_and_b64 s[10:11], s[12:13], s[10:11]
	v_cndmask_b32_e64 v41, v43, v44, s[10:11]
	ds_write_b32 v1, v41
	v_mov_b32_e32 v41, v25
	s_waitcnt lgkmcnt(0)
	; wave barrier
	s_and_saveexec_b64 s[12:13], s[4:5]
	s_cbranch_execz .LBB0_18
; %bb.15:                               ;   in Loop: Header=BB0_2 Depth=1
	s_mov_b64 s[14:15], 0
	v_mov_b32_e32 v41, v25
	v_mov_b32_e32 v42, v28
.LBB0_16:                               ;   Parent Loop BB0_2 Depth=1
                                        ; =>  This Inner Loop Header: Depth=2
	v_sub_u32_e32 v43, v42, v41
	v_lshrrev_b32_e32 v43, 1, v43
	v_add_u32_e32 v43, v43, v41
	v_not_b32_e32 v45, v43
	v_lshl_add_u32 v44, v43, 2, v24
	v_lshl_add_u32 v45, v45, 2, v26
	ds_read_b32 v44, v44
	ds_read_b32 v45, v45
	v_add_u32_e32 v46, 1, v43
	s_waitcnt lgkmcnt(0)
	v_cmp_lt_i32_e64 s[10:11], v45, v44
	v_cndmask_b32_e64 v42, v42, v43, s[10:11]
	v_cndmask_b32_e64 v41, v46, v41, s[10:11]
	v_cmp_ge_i32_e64 s[10:11], v41, v42
	s_or_b64 s[14:15], s[10:11], s[14:15]
	s_andn2_b64 exec, exec, s[14:15]
	s_cbranch_execnz .LBB0_16
; %bb.17:                               ;   in Loop: Header=BB0_2 Depth=1
	s_or_b64 exec, exec, s[14:15]
.LBB0_18:                               ;   in Loop: Header=BB0_2 Depth=1
	;; [unrolled: 46-line block ×3, first 2 shown]
	s_or_b64 exec, exec, s[12:13]
	v_sub_u32_e32 v42, v33, v41
	v_lshl_add_u32 v43, v41, 2, v30
	v_lshlrev_b32_e32 v44, 2, v42
	ds_read_b32 v43, v43
	ds_read_b32 v44, v44
	v_cmp_ge_i32_e64 s[10:11], v41, v29
	v_cmp_gt_i32_e64 s[12:13], v5, v42
	s_waitcnt lgkmcnt(0)
	; wave barrier
	v_cmp_lt_i32_e64 s[14:15], v44, v43
	s_or_b64 s[10:11], s[10:11], s[14:15]
	s_and_b64 s[10:11], s[12:13], s[10:11]
	v_cndmask_b32_e64 v41, v43, v44, s[10:11]
	ds_write_b32 v1, v41
	v_mov_b32_e32 v41, v35
	s_waitcnt lgkmcnt(0)
	; wave barrier
	s_and_saveexec_b64 s[12:13], s[8:9]
	s_cbranch_execz .LBB0_1
; %bb.23:                               ;   in Loop: Header=BB0_2 Depth=1
	s_mov_b64 s[14:15], 0
	v_mov_b32_e32 v41, v35
	v_mov_b32_e32 v42, v36
.LBB0_24:                               ;   Parent Loop BB0_2 Depth=1
                                        ; =>  This Inner Loop Header: Depth=2
	v_sub_u32_e32 v43, v42, v41
	v_lshrrev_b32_e32 v43, 1, v43
	v_add_u32_e32 v43, v43, v41
	v_not_b32_e32 v45, v43
	v_lshlrev_b32_e32 v44, 2, v43
	v_lshl_add_u32 v45, v45, 2, v40
	ds_read_b32 v44, v44
	ds_read_b32 v45, v45
	v_add_u32_e32 v46, 1, v43
	s_waitcnt lgkmcnt(0)
	v_cmp_lt_i32_e64 s[10:11], v45, v44
	v_cndmask_b32_e64 v42, v42, v43, s[10:11]
	v_cndmask_b32_e64 v41, v46, v41, s[10:11]
	v_cmp_ge_i32_e64 s[10:11], v41, v42
	s_or_b64 s[14:15], s[10:11], s[14:15]
	s_andn2_b64 exec, exec, s[14:15]
	s_cbranch_execnz .LBB0_24
; %bb.25:                               ;   in Loop: Header=BB0_2 Depth=1
	s_or_b64 exec, exec, s[14:15]
	s_branch .LBB0_1
.LBB0_26:
	s_add_u32 s0, s18, s20
	s_addc_u32 s1, s19, s21
	v_lshlrev_b32_e32 v0, 2, v0
	global_store_dword v0, v41, s[0:1]
	s_endpgm
	.section	.rodata,"a",@progbits
	.p2align	6, 0x0
	.amdhsa_kernel _Z16sort_keys_kernelIiLj64ELj1EN10test_utils4lessELj10EEvPKT_PS2_T2_
		.amdhsa_group_segment_fixed_size 260
		.amdhsa_private_segment_fixed_size 0
		.amdhsa_kernarg_size 20
		.amdhsa_user_sgpr_count 6
		.amdhsa_user_sgpr_private_segment_buffer 1
		.amdhsa_user_sgpr_dispatch_ptr 0
		.amdhsa_user_sgpr_queue_ptr 0
		.amdhsa_user_sgpr_kernarg_segment_ptr 1
		.amdhsa_user_sgpr_dispatch_id 0
		.amdhsa_user_sgpr_flat_scratch_init 0
		.amdhsa_user_sgpr_private_segment_size 0
		.amdhsa_uses_dynamic_stack 0
		.amdhsa_system_sgpr_private_segment_wavefront_offset 0
		.amdhsa_system_sgpr_workgroup_id_x 1
		.amdhsa_system_sgpr_workgroup_id_y 0
		.amdhsa_system_sgpr_workgroup_id_z 0
		.amdhsa_system_sgpr_workgroup_info 0
		.amdhsa_system_vgpr_workitem_id 0
		.amdhsa_next_free_vgpr 47
		.amdhsa_next_free_sgpr 24
		.amdhsa_reserve_vcc 1
		.amdhsa_reserve_flat_scratch 0
		.amdhsa_float_round_mode_32 0
		.amdhsa_float_round_mode_16_64 0
		.amdhsa_float_denorm_mode_32 3
		.amdhsa_float_denorm_mode_16_64 3
		.amdhsa_dx10_clamp 1
		.amdhsa_ieee_mode 1
		.amdhsa_fp16_overflow 0
		.amdhsa_exception_fp_ieee_invalid_op 0
		.amdhsa_exception_fp_denorm_src 0
		.amdhsa_exception_fp_ieee_div_zero 0
		.amdhsa_exception_fp_ieee_overflow 0
		.amdhsa_exception_fp_ieee_underflow 0
		.amdhsa_exception_fp_ieee_inexact 0
		.amdhsa_exception_int_div_zero 0
	.end_amdhsa_kernel
	.section	.text._Z16sort_keys_kernelIiLj64ELj1EN10test_utils4lessELj10EEvPKT_PS2_T2_,"axG",@progbits,_Z16sort_keys_kernelIiLj64ELj1EN10test_utils4lessELj10EEvPKT_PS2_T2_,comdat
.Lfunc_end0:
	.size	_Z16sort_keys_kernelIiLj64ELj1EN10test_utils4lessELj10EEvPKT_PS2_T2_, .Lfunc_end0-_Z16sort_keys_kernelIiLj64ELj1EN10test_utils4lessELj10EEvPKT_PS2_T2_
                                        ; -- End function
	.set _Z16sort_keys_kernelIiLj64ELj1EN10test_utils4lessELj10EEvPKT_PS2_T2_.num_vgpr, 47
	.set _Z16sort_keys_kernelIiLj64ELj1EN10test_utils4lessELj10EEvPKT_PS2_T2_.num_agpr, 0
	.set _Z16sort_keys_kernelIiLj64ELj1EN10test_utils4lessELj10EEvPKT_PS2_T2_.numbered_sgpr, 24
	.set _Z16sort_keys_kernelIiLj64ELj1EN10test_utils4lessELj10EEvPKT_PS2_T2_.num_named_barrier, 0
	.set _Z16sort_keys_kernelIiLj64ELj1EN10test_utils4lessELj10EEvPKT_PS2_T2_.private_seg_size, 0
	.set _Z16sort_keys_kernelIiLj64ELj1EN10test_utils4lessELj10EEvPKT_PS2_T2_.uses_vcc, 1
	.set _Z16sort_keys_kernelIiLj64ELj1EN10test_utils4lessELj10EEvPKT_PS2_T2_.uses_flat_scratch, 0
	.set _Z16sort_keys_kernelIiLj64ELj1EN10test_utils4lessELj10EEvPKT_PS2_T2_.has_dyn_sized_stack, 0
	.set _Z16sort_keys_kernelIiLj64ELj1EN10test_utils4lessELj10EEvPKT_PS2_T2_.has_recursion, 0
	.set _Z16sort_keys_kernelIiLj64ELj1EN10test_utils4lessELj10EEvPKT_PS2_T2_.has_indirect_call, 0
	.section	.AMDGPU.csdata,"",@progbits
; Kernel info:
; codeLenInByte = 1796
; TotalNumSgprs: 28
; NumVgprs: 47
; ScratchSize: 0
; MemoryBound: 0
; FloatMode: 240
; IeeeMode: 1
; LDSByteSize: 260 bytes/workgroup (compile time only)
; SGPRBlocks: 3
; VGPRBlocks: 11
; NumSGPRsForWavesPerEU: 28
; NumVGPRsForWavesPerEU: 47
; Occupancy: 5
; WaveLimiterHint : 0
; COMPUTE_PGM_RSRC2:SCRATCH_EN: 0
; COMPUTE_PGM_RSRC2:USER_SGPR: 6
; COMPUTE_PGM_RSRC2:TRAP_HANDLER: 0
; COMPUTE_PGM_RSRC2:TGID_X_EN: 1
; COMPUTE_PGM_RSRC2:TGID_Y_EN: 0
; COMPUTE_PGM_RSRC2:TGID_Z_EN: 0
; COMPUTE_PGM_RSRC2:TIDIG_COMP_CNT: 0
	.section	.text._Z17sort_pairs_kernelIiLj64ELj1EN10test_utils4lessELj10EEvPKT_PS2_T2_,"axG",@progbits,_Z17sort_pairs_kernelIiLj64ELj1EN10test_utils4lessELj10EEvPKT_PS2_T2_,comdat
	.protected	_Z17sort_pairs_kernelIiLj64ELj1EN10test_utils4lessELj10EEvPKT_PS2_T2_ ; -- Begin function _Z17sort_pairs_kernelIiLj64ELj1EN10test_utils4lessELj10EEvPKT_PS2_T2_
	.globl	_Z17sort_pairs_kernelIiLj64ELj1EN10test_utils4lessELj10EEvPKT_PS2_T2_
	.p2align	8
	.type	_Z17sort_pairs_kernelIiLj64ELj1EN10test_utils4lessELj10EEvPKT_PS2_T2_,@function
_Z17sort_pairs_kernelIiLj64ELj1EN10test_utils4lessELj10EEvPKT_PS2_T2_: ; @_Z17sort_pairs_kernelIiLj64ELj1EN10test_utils4lessELj10EEvPKT_PS2_T2_
; %bb.0:
	s_load_dwordx4 s[16:19], s[4:5], 0x0
	s_lshl_b32 s22, s6, 6
	s_mov_b32 s23, 0
	s_lshl_b64 s[20:21], s[22:23], 2
	v_lshlrev_b32_e32 v1, 2, v0
	s_waitcnt lgkmcnt(0)
	s_add_u32 s0, s16, s20
	s_addc_u32 s1, s17, s21
	global_load_dword v45, v1, s[0:1]
	v_and_b32_e32 v2, 60, v0
	v_and_b32_e32 v3, 56, v0
	;; [unrolled: 1-line block ×3, first 2 shown]
	v_or_b32_e32 v10, 2, v2
	v_add_u32_e32 v11, 4, v2
	v_and_b32_e32 v40, 3, v0
	v_and_b32_e32 v4, 48, v0
	v_or_b32_e32 v12, 4, v3
	v_add_u32_e32 v13, 8, v3
	v_or_b32_e32 v18, 1, v6
	v_sub_u32_e32 v44, v11, v10
	v_and_b32_e32 v41, 7, v0
	v_and_b32_e32 v5, 32, v0
	;; [unrolled: 1-line block ×3, first 2 shown]
	v_or_b32_e32 v14, 8, v4
	v_add_u32_e32 v15, 16, v4
	v_sub_u32_e32 v46, v13, v12
	v_sub_u32_e32 v36, v18, v6
	;; [unrolled: 1-line block ×4, first 2 shown]
	v_cmp_ge_i32_e64 s[2:3], v40, v44
	v_and_b32_e32 v42, 15, v0
	v_or_b32_e32 v16, 16, v5
	v_add_u32_e32 v17, 32, v5
	v_add_u32_e32 v24, -1, v35
	v_lshlrev_b32_e32 v26, 2, v35
	v_lshlrev_b32_e32 v28, 2, v40
	v_sub_u32_e32 v47, v15, v14
	v_cmp_lt_i32_e64 s[0:1], 0, v35
	v_sub_u32_e32 v38, v12, v3
	v_add_u32_e32 v25, v18, v35
	v_add_u32_e32 v27, v10, v40
	v_sub_u32_e32 v51, v41, v46
	v_min_i32_e32 v35, v35, v36
	v_min_i32_e32 v36, v40, v37
	v_cndmask_b32_e64 v40, 0, v50, s[2:3]
	v_cmp_ge_i32_e64 s[2:3], v41, v46
	v_and_b32_e32 v43, 31, v0
	v_lshlrev_b32_e32 v30, 2, v41
	v_sub_u32_e32 v48, v17, v16
	v_sub_u32_e32 v39, v14, v4
	v_add_u32_e32 v29, v12, v41
	v_sub_u32_e32 v52, v42, v47
	v_min_i32_e32 v37, v41, v38
	v_cndmask_b32_e64 v41, 0, v51, s[2:3]
	v_cmp_ge_i32_e64 s[2:3], v42, v47
	v_lshlrev_b32_e32 v32, 2, v42
	v_sub_u32_e32 v49, v16, v5
	v_add_u32_e32 v31, v14, v42
	v_sub_u32_e32 v53, v43, v48
	v_min_i32_e32 v38, v42, v39
	v_cndmask_b32_e64 v42, 0, v52, s[2:3]
	v_cmp_ge_i32_e64 s[2:3], v43, v48
	v_sub_u32_e64 v7, v0, 32 clamp
	v_min_i32_e32 v8, 32, v0
	v_lshlrev_b32_e32 v34, 2, v43
	v_cndmask_b32_e64 v24, 0, v24, s[0:1]
	v_add_u32_e32 v33, v16, v43
	v_min_i32_e32 v39, v43, v49
	v_cndmask_b32_e64 v43, 0, v53, s[2:3]
	v_add_u32_e32 v9, 32, v0
	v_cmp_lt_i32_e32 vcc, v7, v8
	v_lshlrev_b32_e32 v19, 2, v6
	v_lshlrev_b32_e32 v20, 2, v2
	;; [unrolled: 1-line block ×5, first 2 shown]
	v_lshl_add_u32 v26, v18, 2, v26
	v_lshl_add_u32 v28, v10, 2, v28
	v_lshl_add_u32 v30, v12, 2, v30
	v_lshl_add_u32 v32, v14, 2, v32
	v_lshl_add_u32 v34, v16, 2, v34
	v_cmp_lt_i32_e64 s[0:1], v24, v35
	v_cmp_lt_i32_e64 s[2:3], v40, v36
	;; [unrolled: 1-line block ×5, first 2 shown]
	v_add_u32_e32 v44, 0x80, v1
	s_waitcnt vmcnt(0)
	v_add_u32_e32 v46, 1, v45
	s_branch .LBB1_2
.LBB1_1:                                ;   in Loop: Header=BB1_2 Depth=1
	s_or_b64 exec, exec, s[12:13]
	v_sub_u32_e32 v48, v9, v47
	v_lshlrev_b32_e32 v45, 2, v47
	v_lshlrev_b32_e32 v49, 2, v48
	ds_read_b32 v45, v45
	ds_read_b32 v49, v49
	v_cmp_le_i32_e64 s[10:11], 32, v47
	v_cmp_gt_i32_e64 s[12:13], 64, v48
	s_waitcnt lgkmcnt(0)
	; wave barrier
	v_cmp_lt_i32_e64 s[14:15], v49, v45
	s_or_b64 s[10:11], s[10:11], s[14:15]
	s_and_b64 s[10:11], s[12:13], s[10:11]
	v_cndmask_b32_e64 v47, v47, v48, s[10:11]
	ds_write_b32 v1, v46
	v_lshlrev_b32_e32 v46, 2, v47
	s_waitcnt lgkmcnt(0)
	; wave barrier
	ds_read_b32 v46, v46
	s_add_i32 s23, s23, 1
	v_cndmask_b32_e64 v45, v45, v49, s[10:11]
	s_cmp_eq_u32 s23, 10
	s_cbranch_scc1 .LBB1_26
.LBB1_2:                                ; =>This Loop Header: Depth=1
                                        ;     Child Loop BB1_4 Depth 2
                                        ;     Child Loop BB1_8 Depth 2
	;; [unrolled: 1-line block ×6, first 2 shown]
	; wave barrier
	ds_write_b32 v1, v45
	v_mov_b32_e32 v45, v24
	s_waitcnt lgkmcnt(0)
	; wave barrier
	s_and_saveexec_b64 s[12:13], s[0:1]
	s_cbranch_execz .LBB1_6
; %bb.3:                                ;   in Loop: Header=BB1_2 Depth=1
	s_mov_b64 s[14:15], 0
	v_mov_b32_e32 v45, v24
	v_mov_b32_e32 v47, v35
.LBB1_4:                                ;   Parent Loop BB1_2 Depth=1
                                        ; =>  This Inner Loop Header: Depth=2
	v_sub_u32_e32 v48, v47, v45
	v_lshrrev_b32_e32 v48, 1, v48
	v_add_u32_e32 v48, v48, v45
	v_not_b32_e32 v50, v48
	v_lshl_add_u32 v49, v48, 2, v19
	v_lshl_add_u32 v50, v50, 2, v26
	ds_read_b32 v49, v49
	ds_read_b32 v50, v50
	v_add_u32_e32 v51, 1, v48
	s_waitcnt lgkmcnt(0)
	v_cmp_lt_i32_e64 s[10:11], v50, v49
	v_cndmask_b32_e64 v47, v47, v48, s[10:11]
	v_cndmask_b32_e64 v45, v51, v45, s[10:11]
	v_cmp_ge_i32_e64 s[10:11], v45, v47
	s_or_b64 s[14:15], s[10:11], s[14:15]
	s_andn2_b64 exec, exec, s[14:15]
	s_cbranch_execnz .LBB1_4
; %bb.5:                                ;   in Loop: Header=BB1_2 Depth=1
	s_or_b64 exec, exec, s[14:15]
.LBB1_6:                                ;   in Loop: Header=BB1_2 Depth=1
	s_or_b64 exec, exec, s[12:13]
	v_sub_u32_e32 v47, v25, v45
	v_lshl_add_u32 v48, v45, 2, v19
	v_lshlrev_b32_e32 v49, 2, v47
	ds_read_b32 v48, v48
	ds_read_b32 v49, v49
	v_add_u32_e32 v45, v45, v6
	v_cmp_le_i32_e64 s[12:13], v18, v45
	v_cmp_ge_i32_e64 s[10:11], v18, v47
	s_waitcnt lgkmcnt(0)
	v_cmp_lt_i32_e64 s[14:15], v49, v48
	s_or_b64 s[12:13], s[12:13], s[14:15]
	s_and_b64 s[10:11], s[10:11], s[12:13]
	v_cndmask_b32_e64 v45, v45, v47, s[10:11]
	v_lshlrev_b32_e32 v45, 2, v45
	; wave barrier
	ds_write_b32 v1, v46
	s_waitcnt lgkmcnt(0)
	; wave barrier
	ds_read_b32 v45, v45
	v_cndmask_b32_e64 v48, v48, v49, s[10:11]
	v_mov_b32_e32 v46, v40
	s_waitcnt lgkmcnt(0)
	; wave barrier
	ds_write_b32 v1, v48
	s_waitcnt lgkmcnt(0)
	; wave barrier
	s_and_saveexec_b64 s[12:13], s[2:3]
	s_cbranch_execz .LBB1_10
; %bb.7:                                ;   in Loop: Header=BB1_2 Depth=1
	s_mov_b64 s[14:15], 0
	v_mov_b32_e32 v46, v40
	v_mov_b32_e32 v47, v36
.LBB1_8:                                ;   Parent Loop BB1_2 Depth=1
                                        ; =>  This Inner Loop Header: Depth=2
	v_sub_u32_e32 v48, v47, v46
	v_lshrrev_b32_e32 v48, 1, v48
	v_add_u32_e32 v48, v48, v46
	v_not_b32_e32 v50, v48
	v_lshl_add_u32 v49, v48, 2, v20
	v_lshl_add_u32 v50, v50, 2, v28
	ds_read_b32 v49, v49
	ds_read_b32 v50, v50
	v_add_u32_e32 v51, 1, v48
	s_waitcnt lgkmcnt(0)
	v_cmp_lt_i32_e64 s[10:11], v50, v49
	v_cndmask_b32_e64 v47, v47, v48, s[10:11]
	v_cndmask_b32_e64 v46, v51, v46, s[10:11]
	v_cmp_ge_i32_e64 s[10:11], v46, v47
	s_or_b64 s[14:15], s[10:11], s[14:15]
	s_andn2_b64 exec, exec, s[14:15]
	s_cbranch_execnz .LBB1_8
; %bb.9:                                ;   in Loop: Header=BB1_2 Depth=1
	s_or_b64 exec, exec, s[14:15]
.LBB1_10:                               ;   in Loop: Header=BB1_2 Depth=1
	s_or_b64 exec, exec, s[12:13]
	v_sub_u32_e32 v47, v27, v46
	v_lshl_add_u32 v48, v46, 2, v20
	v_lshlrev_b32_e32 v49, 2, v47
	ds_read_b32 v48, v48
	ds_read_b32 v49, v49
	v_add_u32_e32 v46, v46, v2
	v_cmp_le_i32_e64 s[12:13], v10, v46
	v_cmp_gt_i32_e64 s[10:11], v11, v47
	s_waitcnt lgkmcnt(0)
	v_cmp_lt_i32_e64 s[14:15], v49, v48
	s_or_b64 s[12:13], s[12:13], s[14:15]
	s_and_b64 s[10:11], s[10:11], s[12:13]
	v_cndmask_b32_e64 v46, v46, v47, s[10:11]
	; wave barrier
	ds_write_b32 v1, v45
	v_lshlrev_b32_e32 v45, 2, v46
	s_waitcnt lgkmcnt(0)
	; wave barrier
	ds_read_b32 v45, v45
	v_cndmask_b32_e64 v48, v48, v49, s[10:11]
	v_mov_b32_e32 v46, v41
	s_waitcnt lgkmcnt(0)
	; wave barrier
	ds_write_b32 v1, v48
	s_waitcnt lgkmcnt(0)
	; wave barrier
	s_and_saveexec_b64 s[12:13], s[4:5]
	s_cbranch_execz .LBB1_14
; %bb.11:                               ;   in Loop: Header=BB1_2 Depth=1
	s_mov_b64 s[14:15], 0
	v_mov_b32_e32 v46, v41
	v_mov_b32_e32 v47, v37
.LBB1_12:                               ;   Parent Loop BB1_2 Depth=1
                                        ; =>  This Inner Loop Header: Depth=2
	v_sub_u32_e32 v48, v47, v46
	v_lshrrev_b32_e32 v48, 1, v48
	v_add_u32_e32 v48, v48, v46
	v_not_b32_e32 v50, v48
	v_lshl_add_u32 v49, v48, 2, v21
	v_lshl_add_u32 v50, v50, 2, v30
	ds_read_b32 v49, v49
	ds_read_b32 v50, v50
	v_add_u32_e32 v51, 1, v48
	s_waitcnt lgkmcnt(0)
	v_cmp_lt_i32_e64 s[10:11], v50, v49
	v_cndmask_b32_e64 v47, v47, v48, s[10:11]
	v_cndmask_b32_e64 v46, v51, v46, s[10:11]
	v_cmp_ge_i32_e64 s[10:11], v46, v47
	s_or_b64 s[14:15], s[10:11], s[14:15]
	s_andn2_b64 exec, exec, s[14:15]
	s_cbranch_execnz .LBB1_12
; %bb.13:                               ;   in Loop: Header=BB1_2 Depth=1
	s_or_b64 exec, exec, s[14:15]
.LBB1_14:                               ;   in Loop: Header=BB1_2 Depth=1
	s_or_b64 exec, exec, s[12:13]
	v_sub_u32_e32 v47, v29, v46
	v_lshl_add_u32 v48, v46, 2, v21
	v_lshlrev_b32_e32 v49, 2, v47
	ds_read_b32 v48, v48
	ds_read_b32 v49, v49
	v_add_u32_e32 v46, v46, v3
	v_cmp_le_i32_e64 s[12:13], v12, v46
	v_cmp_gt_i32_e64 s[10:11], v13, v47
	s_waitcnt lgkmcnt(0)
	v_cmp_lt_i32_e64 s[14:15], v49, v48
	s_or_b64 s[12:13], s[12:13], s[14:15]
	s_and_b64 s[10:11], s[10:11], s[12:13]
	v_cndmask_b32_e64 v46, v46, v47, s[10:11]
	; wave barrier
	ds_write_b32 v1, v45
	v_lshlrev_b32_e32 v45, 2, v46
	s_waitcnt lgkmcnt(0)
	; wave barrier
	ds_read_b32 v45, v45
	v_cndmask_b32_e64 v48, v48, v49, s[10:11]
	v_mov_b32_e32 v46, v42
	s_waitcnt lgkmcnt(0)
	; wave barrier
	ds_write_b32 v1, v48
	s_waitcnt lgkmcnt(0)
	; wave barrier
	s_and_saveexec_b64 s[12:13], s[6:7]
	s_cbranch_execz .LBB1_18
; %bb.15:                               ;   in Loop: Header=BB1_2 Depth=1
	s_mov_b64 s[14:15], 0
	v_mov_b32_e32 v46, v42
	v_mov_b32_e32 v47, v38
.LBB1_16:                               ;   Parent Loop BB1_2 Depth=1
                                        ; =>  This Inner Loop Header: Depth=2
	v_sub_u32_e32 v48, v47, v46
	v_lshrrev_b32_e32 v48, 1, v48
	v_add_u32_e32 v48, v48, v46
	v_not_b32_e32 v50, v48
	v_lshl_add_u32 v49, v48, 2, v22
	v_lshl_add_u32 v50, v50, 2, v32
	ds_read_b32 v49, v49
	ds_read_b32 v50, v50
	v_add_u32_e32 v51, 1, v48
	s_waitcnt lgkmcnt(0)
	v_cmp_lt_i32_e64 s[10:11], v50, v49
	v_cndmask_b32_e64 v47, v47, v48, s[10:11]
	v_cndmask_b32_e64 v46, v51, v46, s[10:11]
	v_cmp_ge_i32_e64 s[10:11], v46, v47
	s_or_b64 s[14:15], s[10:11], s[14:15]
	s_andn2_b64 exec, exec, s[14:15]
	s_cbranch_execnz .LBB1_16
; %bb.17:                               ;   in Loop: Header=BB1_2 Depth=1
	s_or_b64 exec, exec, s[14:15]
.LBB1_18:                               ;   in Loop: Header=BB1_2 Depth=1
	s_or_b64 exec, exec, s[12:13]
	v_sub_u32_e32 v47, v31, v46
	v_lshl_add_u32 v48, v46, 2, v22
	v_lshlrev_b32_e32 v49, 2, v47
	ds_read_b32 v48, v48
	ds_read_b32 v49, v49
	v_add_u32_e32 v46, v46, v4
	v_cmp_le_i32_e64 s[12:13], v14, v46
	v_cmp_gt_i32_e64 s[10:11], v15, v47
	s_waitcnt lgkmcnt(0)
	v_cmp_lt_i32_e64 s[14:15], v49, v48
	s_or_b64 s[12:13], s[12:13], s[14:15]
	s_and_b64 s[10:11], s[10:11], s[12:13]
	v_cndmask_b32_e64 v46, v46, v47, s[10:11]
	; wave barrier
	ds_write_b32 v1, v45
	v_lshlrev_b32_e32 v45, 2, v46
	s_waitcnt lgkmcnt(0)
	; wave barrier
	ds_read_b32 v45, v45
	v_cndmask_b32_e64 v48, v48, v49, s[10:11]
	v_mov_b32_e32 v46, v43
	s_waitcnt lgkmcnt(0)
	; wave barrier
	ds_write_b32 v1, v48
	s_waitcnt lgkmcnt(0)
	; wave barrier
	s_and_saveexec_b64 s[12:13], s[8:9]
	s_cbranch_execz .LBB1_22
; %bb.19:                               ;   in Loop: Header=BB1_2 Depth=1
	s_mov_b64 s[14:15], 0
	v_mov_b32_e32 v46, v43
	v_mov_b32_e32 v47, v39
.LBB1_20:                               ;   Parent Loop BB1_2 Depth=1
                                        ; =>  This Inner Loop Header: Depth=2
	v_sub_u32_e32 v48, v47, v46
	v_lshrrev_b32_e32 v48, 1, v48
	v_add_u32_e32 v48, v48, v46
	v_not_b32_e32 v50, v48
	v_lshl_add_u32 v49, v48, 2, v23
	v_lshl_add_u32 v50, v50, 2, v34
	ds_read_b32 v49, v49
	ds_read_b32 v50, v50
	v_add_u32_e32 v51, 1, v48
	s_waitcnt lgkmcnt(0)
	v_cmp_lt_i32_e64 s[10:11], v50, v49
	v_cndmask_b32_e64 v47, v47, v48, s[10:11]
	v_cndmask_b32_e64 v46, v51, v46, s[10:11]
	v_cmp_ge_i32_e64 s[10:11], v46, v47
	s_or_b64 s[14:15], s[10:11], s[14:15]
	s_andn2_b64 exec, exec, s[14:15]
	s_cbranch_execnz .LBB1_20
; %bb.21:                               ;   in Loop: Header=BB1_2 Depth=1
	s_or_b64 exec, exec, s[14:15]
.LBB1_22:                               ;   in Loop: Header=BB1_2 Depth=1
	s_or_b64 exec, exec, s[12:13]
	v_sub_u32_e32 v47, v33, v46
	v_lshl_add_u32 v48, v46, 2, v23
	v_lshlrev_b32_e32 v49, 2, v47
	ds_read_b32 v48, v48
	ds_read_b32 v49, v49
	v_add_u32_e32 v46, v46, v5
	v_cmp_le_i32_e64 s[12:13], v16, v46
	v_cmp_gt_i32_e64 s[10:11], v17, v47
	s_waitcnt lgkmcnt(0)
	v_cmp_lt_i32_e64 s[14:15], v49, v48
	s_or_b64 s[12:13], s[12:13], s[14:15]
	s_and_b64 s[10:11], s[10:11], s[12:13]
	v_cndmask_b32_e64 v46, v46, v47, s[10:11]
	; wave barrier
	ds_write_b32 v1, v45
	v_lshlrev_b32_e32 v45, 2, v46
	s_waitcnt lgkmcnt(0)
	; wave barrier
	ds_read_b32 v46, v45
	v_cndmask_b32_e64 v48, v48, v49, s[10:11]
	v_mov_b32_e32 v47, v7
	s_waitcnt lgkmcnt(0)
	; wave barrier
	ds_write_b32 v1, v48
	s_waitcnt lgkmcnt(0)
	; wave barrier
	s_and_saveexec_b64 s[12:13], vcc
	s_cbranch_execz .LBB1_1
; %bb.23:                               ;   in Loop: Header=BB1_2 Depth=1
	s_mov_b64 s[14:15], 0
	v_mov_b32_e32 v47, v7
	v_mov_b32_e32 v45, v8
.LBB1_24:                               ;   Parent Loop BB1_2 Depth=1
                                        ; =>  This Inner Loop Header: Depth=2
	v_sub_u32_e32 v48, v45, v47
	v_lshrrev_b32_e32 v48, 1, v48
	v_add_u32_e32 v48, v48, v47
	v_not_b32_e32 v50, v48
	v_lshlrev_b32_e32 v49, 2, v48
	v_lshl_add_u32 v50, v50, 2, v44
	ds_read_b32 v49, v49
	ds_read_b32 v50, v50
	v_add_u32_e32 v51, 1, v48
	s_waitcnt lgkmcnt(0)
	v_cmp_lt_i32_e64 s[10:11], v50, v49
	v_cndmask_b32_e64 v45, v45, v48, s[10:11]
	v_cndmask_b32_e64 v47, v51, v47, s[10:11]
	v_cmp_ge_i32_e64 s[10:11], v47, v45
	s_or_b64 s[14:15], s[10:11], s[14:15]
	s_andn2_b64 exec, exec, s[14:15]
	s_cbranch_execnz .LBB1_24
; %bb.25:                               ;   in Loop: Header=BB1_2 Depth=1
	s_or_b64 exec, exec, s[14:15]
	s_branch .LBB1_1
.LBB1_26:
	s_add_u32 s0, s18, s20
	s_waitcnt lgkmcnt(0)
	v_add_u32_e32 v1, v45, v46
	s_addc_u32 s1, s19, s21
	v_lshlrev_b32_e32 v0, 2, v0
	global_store_dword v0, v1, s[0:1]
	s_endpgm
	.section	.rodata,"a",@progbits
	.p2align	6, 0x0
	.amdhsa_kernel _Z17sort_pairs_kernelIiLj64ELj1EN10test_utils4lessELj10EEvPKT_PS2_T2_
		.amdhsa_group_segment_fixed_size 260
		.amdhsa_private_segment_fixed_size 0
		.amdhsa_kernarg_size 20
		.amdhsa_user_sgpr_count 6
		.amdhsa_user_sgpr_private_segment_buffer 1
		.amdhsa_user_sgpr_dispatch_ptr 0
		.amdhsa_user_sgpr_queue_ptr 0
		.amdhsa_user_sgpr_kernarg_segment_ptr 1
		.amdhsa_user_sgpr_dispatch_id 0
		.amdhsa_user_sgpr_flat_scratch_init 0
		.amdhsa_user_sgpr_private_segment_size 0
		.amdhsa_uses_dynamic_stack 0
		.amdhsa_system_sgpr_private_segment_wavefront_offset 0
		.amdhsa_system_sgpr_workgroup_id_x 1
		.amdhsa_system_sgpr_workgroup_id_y 0
		.amdhsa_system_sgpr_workgroup_id_z 0
		.amdhsa_system_sgpr_workgroup_info 0
		.amdhsa_system_vgpr_workitem_id 0
		.amdhsa_next_free_vgpr 54
		.amdhsa_next_free_sgpr 24
		.amdhsa_reserve_vcc 1
		.amdhsa_reserve_flat_scratch 0
		.amdhsa_float_round_mode_32 0
		.amdhsa_float_round_mode_16_64 0
		.amdhsa_float_denorm_mode_32 3
		.amdhsa_float_denorm_mode_16_64 3
		.amdhsa_dx10_clamp 1
		.amdhsa_ieee_mode 1
		.amdhsa_fp16_overflow 0
		.amdhsa_exception_fp_ieee_invalid_op 0
		.amdhsa_exception_fp_denorm_src 0
		.amdhsa_exception_fp_ieee_div_zero 0
		.amdhsa_exception_fp_ieee_overflow 0
		.amdhsa_exception_fp_ieee_underflow 0
		.amdhsa_exception_fp_ieee_inexact 0
		.amdhsa_exception_int_div_zero 0
	.end_amdhsa_kernel
	.section	.text._Z17sort_pairs_kernelIiLj64ELj1EN10test_utils4lessELj10EEvPKT_PS2_T2_,"axG",@progbits,_Z17sort_pairs_kernelIiLj64ELj1EN10test_utils4lessELj10EEvPKT_PS2_T2_,comdat
.Lfunc_end1:
	.size	_Z17sort_pairs_kernelIiLj64ELj1EN10test_utils4lessELj10EEvPKT_PS2_T2_, .Lfunc_end1-_Z17sort_pairs_kernelIiLj64ELj1EN10test_utils4lessELj10EEvPKT_PS2_T2_
                                        ; -- End function
	.set _Z17sort_pairs_kernelIiLj64ELj1EN10test_utils4lessELj10EEvPKT_PS2_T2_.num_vgpr, 54
	.set _Z17sort_pairs_kernelIiLj64ELj1EN10test_utils4lessELj10EEvPKT_PS2_T2_.num_agpr, 0
	.set _Z17sort_pairs_kernelIiLj64ELj1EN10test_utils4lessELj10EEvPKT_PS2_T2_.numbered_sgpr, 24
	.set _Z17sort_pairs_kernelIiLj64ELj1EN10test_utils4lessELj10EEvPKT_PS2_T2_.num_named_barrier, 0
	.set _Z17sort_pairs_kernelIiLj64ELj1EN10test_utils4lessELj10EEvPKT_PS2_T2_.private_seg_size, 0
	.set _Z17sort_pairs_kernelIiLj64ELj1EN10test_utils4lessELj10EEvPKT_PS2_T2_.uses_vcc, 1
	.set _Z17sort_pairs_kernelIiLj64ELj1EN10test_utils4lessELj10EEvPKT_PS2_T2_.uses_flat_scratch, 0
	.set _Z17sort_pairs_kernelIiLj64ELj1EN10test_utils4lessELj10EEvPKT_PS2_T2_.has_dyn_sized_stack, 0
	.set _Z17sort_pairs_kernelIiLj64ELj1EN10test_utils4lessELj10EEvPKT_PS2_T2_.has_recursion, 0
	.set _Z17sort_pairs_kernelIiLj64ELj1EN10test_utils4lessELj10EEvPKT_PS2_T2_.has_indirect_call, 0
	.section	.AMDGPU.csdata,"",@progbits
; Kernel info:
; codeLenInByte = 2048
; TotalNumSgprs: 28
; NumVgprs: 54
; ScratchSize: 0
; MemoryBound: 0
; FloatMode: 240
; IeeeMode: 1
; LDSByteSize: 260 bytes/workgroup (compile time only)
; SGPRBlocks: 3
; VGPRBlocks: 13
; NumSGPRsForWavesPerEU: 28
; NumVGPRsForWavesPerEU: 54
; Occupancy: 4
; WaveLimiterHint : 0
; COMPUTE_PGM_RSRC2:SCRATCH_EN: 0
; COMPUTE_PGM_RSRC2:USER_SGPR: 6
; COMPUTE_PGM_RSRC2:TRAP_HANDLER: 0
; COMPUTE_PGM_RSRC2:TGID_X_EN: 1
; COMPUTE_PGM_RSRC2:TGID_Y_EN: 0
; COMPUTE_PGM_RSRC2:TGID_Z_EN: 0
; COMPUTE_PGM_RSRC2:TIDIG_COMP_CNT: 0
	.section	.text._Z16sort_keys_kernelIiLj64ELj2EN10test_utils4lessELj10EEvPKT_PS2_T2_,"axG",@progbits,_Z16sort_keys_kernelIiLj64ELj2EN10test_utils4lessELj10EEvPKT_PS2_T2_,comdat
	.protected	_Z16sort_keys_kernelIiLj64ELj2EN10test_utils4lessELj10EEvPKT_PS2_T2_ ; -- Begin function _Z16sort_keys_kernelIiLj64ELj2EN10test_utils4lessELj10EEvPKT_PS2_T2_
	.globl	_Z16sort_keys_kernelIiLj64ELj2EN10test_utils4lessELj10EEvPKT_PS2_T2_
	.p2align	8
	.type	_Z16sort_keys_kernelIiLj64ELj2EN10test_utils4lessELj10EEvPKT_PS2_T2_,@function
_Z16sort_keys_kernelIiLj64ELj2EN10test_utils4lessELj10EEvPKT_PS2_T2_: ; @_Z16sort_keys_kernelIiLj64ELj2EN10test_utils4lessELj10EEvPKT_PS2_T2_
; %bb.0:
	s_load_dwordx4 s[16:19], s[4:5], 0x0
	s_lshl_b32 s22, s6, 7
	s_mov_b32 s23, 0
	s_lshl_b64 s[20:21], s[22:23], 2
	v_lshlrev_b32_e32 v3, 2, v0
	s_waitcnt lgkmcnt(0)
	s_add_u32 s0, s16, s20
	s_addc_u32 s1, s17, s21
	global_load_dword v46, v3, s[0:1]
	global_load_dword v47, v3, s[0:1] offset:256
	v_lshlrev_b32_e32 v28, 1, v0
	v_and_b32_e32 v1, 0x7c, v28
	v_and_b32_e32 v4, 0x78, v28
	;; [unrolled: 1-line block ×5, first 2 shown]
	v_or_b32_e32 v2, 2, v1
	v_add_u32_e32 v3, 4, v1
	v_or_b32_e32 v5, 4, v4
	v_add_u32_e32 v6, 8, v4
	;; [unrolled: 2-line block ×5, first 2 shown]
	v_and_b32_e32 v30, 2, v28
	v_sub_u32_e32 v16, v3, v2
	v_and_b32_e32 v32, 6, v28
	v_sub_u32_e32 v18, v6, v5
	;; [unrolled: 2-line block ×5, first 2 shown]
	v_sub_u32_e32 v17, v30, v16
	v_sub_u32_e32 v19, v32, v18
	;; [unrolled: 1-line block ×5, first 2 shown]
	v_cmp_ge_i32_e32 vcc, v30, v16
	v_cmp_ge_i32_e64 s[0:1], v32, v18
	v_cmp_ge_i32_e64 s[2:3], v34, v20
	;; [unrolled: 1-line block ×4, first 2 shown]
	v_cndmask_b32_e32 v16, 0, v17, vcc
	v_sub_u32_e32 v17, v2, v1
	v_cndmask_b32_e64 v18, 0, v19, s[0:1]
	v_sub_u32_e32 v19, v5, v4
	v_cndmask_b32_e64 v20, 0, v21, s[2:3]
	v_sub_u32_e32 v21, v8, v7
	v_cndmask_b32_e64 v22, 0, v23, s[4:5]
	v_sub_u32_e32 v23, v11, v10
	v_cndmask_b32_e64 v24, 0, v25, s[6:7]
	v_sub_u32_e32 v25, v14, v13
	v_min_i32_e32 v17, v30, v17
	v_min_i32_e32 v19, v32, v19
	;; [unrolled: 1-line block ×5, first 2 shown]
	v_sub_u32_e64 v26, v28, 64 clamp
	v_min_i32_e32 v27, 64, v28
	v_add_u32_e32 v29, v2, v30
	v_lshlrev_b32_e32 v30, 2, v30
	v_add_u32_e32 v31, v5, v32
	v_lshlrev_b32_e32 v32, 2, v32
	;; [unrolled: 2-line block ×5, first 2 shown]
	v_lshlrev_b32_e32 v39, 3, v0
	v_cmp_lt_i32_e32 vcc, v16, v17
	v_cmp_lt_i32_e64 s[0:1], v18, v19
	v_cmp_lt_i32_e64 s[2:3], v20, v21
	;; [unrolled: 1-line block ×5, first 2 shown]
	v_add_u32_e32 v28, 64, v28
	v_lshl_add_u32 v30, v2, 2, v30
	v_lshl_add_u32 v32, v5, 2, v32
	;; [unrolled: 1-line block ×5, first 2 shown]
	s_movk_i32 s16, 0x80
	v_lshlrev_b32_e32 v40, 2, v1
	v_lshlrev_b32_e32 v41, 2, v4
	;; [unrolled: 1-line block ×5, first 2 shown]
	v_add_u32_e32 v45, 0x100, v39
	s_branch .LBB2_2
.LBB2_1:                                ;   in Loop: Header=BB2_2 Depth=1
	s_or_b64 exec, exec, s[12:13]
	v_cmp_le_i32_e64 s[12:13], 64, v47
	s_waitcnt lgkmcnt(0)
	v_cmp_lt_i32_e64 s[14:15], v52, v50
	v_cndmask_b32_e64 v46, v46, v49, s[10:11]
	v_cmp_gt_i32_e64 s[10:11], s16, v48
	s_or_b64 s[12:13], s[12:13], s[14:15]
	s_and_b64 s[10:11], s[10:11], s[12:13]
	s_add_i32 s23, s23, 1
	s_cmp_eq_u32 s23, 10
	v_cndmask_b32_e64 v47, v50, v52, s[10:11]
	s_cbranch_scc1 .LBB2_50
.LBB2_2:                                ; =>This Loop Header: Depth=1
                                        ;     Child Loop BB2_4 Depth 2
                                        ;     Child Loop BB2_12 Depth 2
	;; [unrolled: 1-line block ×6, first 2 shown]
	s_waitcnt vmcnt(0)
	v_cmp_lt_i32_e64 s[10:11], v47, v46
	v_cndmask_b32_e64 v48, v47, v46, s[10:11]
	v_cndmask_b32_e64 v46, v46, v47, s[10:11]
	v_mov_b32_e32 v47, v16
	; wave barrier
	ds_write2_b32 v39, v46, v48 offset1:1
	s_waitcnt lgkmcnt(0)
	; wave barrier
	s_and_saveexec_b64 s[12:13], vcc
	s_cbranch_execz .LBB2_6
; %bb.3:                                ;   in Loop: Header=BB2_2 Depth=1
	s_mov_b64 s[14:15], 0
	v_mov_b32_e32 v47, v16
	v_mov_b32_e32 v46, v17
.LBB2_4:                                ;   Parent Loop BB2_2 Depth=1
                                        ; =>  This Inner Loop Header: Depth=2
	v_sub_u32_e32 v48, v46, v47
	v_lshrrev_b32_e32 v48, 1, v48
	v_add_u32_e32 v48, v48, v47
	v_not_b32_e32 v50, v48
	v_lshl_add_u32 v49, v48, 2, v40
	v_lshl_add_u32 v50, v50, 2, v30
	ds_read_b32 v49, v49
	ds_read_b32 v50, v50
	v_add_u32_e32 v51, 1, v48
	s_waitcnt lgkmcnt(0)
	v_cmp_lt_i32_e64 s[10:11], v50, v49
	v_cndmask_b32_e64 v46, v46, v48, s[10:11]
	v_cndmask_b32_e64 v47, v51, v47, s[10:11]
	v_cmp_ge_i32_e64 s[10:11], v47, v46
	s_or_b64 s[14:15], s[10:11], s[14:15]
	s_andn2_b64 exec, exec, s[14:15]
	s_cbranch_execnz .LBB2_4
; %bb.5:                                ;   in Loop: Header=BB2_2 Depth=1
	s_or_b64 exec, exec, s[14:15]
.LBB2_6:                                ;   in Loop: Header=BB2_2 Depth=1
	s_or_b64 exec, exec, s[12:13]
	v_sub_u32_e32 v46, v29, v47
	v_lshl_add_u32 v52, v47, 2, v40
	v_lshlrev_b32_e32 v51, 2, v46
	ds_read_b32 v48, v52
	ds_read_b32 v49, v51
	v_add_u32_e32 v47, v47, v1
	v_cmp_le_i32_e64 s[12:13], v2, v47
	v_cmp_gt_i32_e64 s[10:11], v3, v46
                                        ; implicit-def: $vgpr50
	s_waitcnt lgkmcnt(0)
	v_cmp_lt_i32_e64 s[14:15], v49, v48
	s_or_b64 s[12:13], s[12:13], s[14:15]
	s_and_b64 s[10:11], s[10:11], s[12:13]
	s_xor_b64 s[12:13], s[10:11], -1
	s_and_saveexec_b64 s[14:15], s[12:13]
	s_xor_b64 s[12:13], exec, s[14:15]
; %bb.7:                                ;   in Loop: Header=BB2_2 Depth=1
	ds_read_b32 v50, v52 offset:4
                                        ; implicit-def: $vgpr51
; %bb.8:                                ;   in Loop: Header=BB2_2 Depth=1
	s_or_saveexec_b64 s[12:13], s[12:13]
	v_mov_b32_e32 v52, v49
	s_xor_b64 exec, exec, s[12:13]
	s_cbranch_execz .LBB2_10
; %bb.9:                                ;   in Loop: Header=BB2_2 Depth=1
	ds_read_b32 v52, v51 offset:4
	s_waitcnt lgkmcnt(1)
	v_mov_b32_e32 v50, v48
.LBB2_10:                               ;   in Loop: Header=BB2_2 Depth=1
	s_or_b64 exec, exec, s[12:13]
	v_add_u32_e32 v51, 1, v47
	v_cndmask_b32_e64 v48, v48, v49, s[10:11]
	v_add_u32_e32 v49, 1, v46
	v_cndmask_b32_e64 v47, v51, v47, s[10:11]
	v_cndmask_b32_e64 v46, v46, v49, s[10:11]
	v_cmp_ge_i32_e64 s[12:13], v47, v2
	s_waitcnt lgkmcnt(0)
	v_cmp_lt_i32_e64 s[14:15], v52, v50
	v_cmp_lt_i32_e64 s[10:11], v46, v3
	s_or_b64 s[12:13], s[12:13], s[14:15]
	s_and_b64 s[10:11], s[10:11], s[12:13]
	v_cndmask_b32_e64 v46, v50, v52, s[10:11]
	; wave barrier
	ds_write2_b32 v39, v48, v46 offset1:1
	v_mov_b32_e32 v46, v18
	s_waitcnt lgkmcnt(0)
	; wave barrier
	s_and_saveexec_b64 s[12:13], s[0:1]
	s_cbranch_execz .LBB2_14
; %bb.11:                               ;   in Loop: Header=BB2_2 Depth=1
	s_mov_b64 s[14:15], 0
	v_mov_b32_e32 v46, v18
	v_mov_b32_e32 v47, v19
.LBB2_12:                               ;   Parent Loop BB2_2 Depth=1
                                        ; =>  This Inner Loop Header: Depth=2
	v_sub_u32_e32 v48, v47, v46
	v_lshrrev_b32_e32 v48, 1, v48
	v_add_u32_e32 v48, v48, v46
	v_not_b32_e32 v50, v48
	v_lshl_add_u32 v49, v48, 2, v41
	v_lshl_add_u32 v50, v50, 2, v32
	ds_read_b32 v49, v49
	ds_read_b32 v50, v50
	v_add_u32_e32 v51, 1, v48
	s_waitcnt lgkmcnt(0)
	v_cmp_lt_i32_e64 s[10:11], v50, v49
	v_cndmask_b32_e64 v47, v47, v48, s[10:11]
	v_cndmask_b32_e64 v46, v51, v46, s[10:11]
	v_cmp_ge_i32_e64 s[10:11], v46, v47
	s_or_b64 s[14:15], s[10:11], s[14:15]
	s_andn2_b64 exec, exec, s[14:15]
	s_cbranch_execnz .LBB2_12
; %bb.13:                               ;   in Loop: Header=BB2_2 Depth=1
	s_or_b64 exec, exec, s[14:15]
.LBB2_14:                               ;   in Loop: Header=BB2_2 Depth=1
	s_or_b64 exec, exec, s[12:13]
	v_sub_u32_e32 v47, v31, v46
	v_lshl_add_u32 v52, v46, 2, v41
	v_lshlrev_b32_e32 v51, 2, v47
	ds_read_b32 v48, v52
	ds_read_b32 v49, v51
	v_add_u32_e32 v46, v46, v4
	v_cmp_le_i32_e64 s[12:13], v5, v46
	v_cmp_gt_i32_e64 s[10:11], v6, v47
                                        ; implicit-def: $vgpr50
	s_waitcnt lgkmcnt(0)
	v_cmp_lt_i32_e64 s[14:15], v49, v48
	s_or_b64 s[12:13], s[12:13], s[14:15]
	s_and_b64 s[10:11], s[10:11], s[12:13]
	s_xor_b64 s[12:13], s[10:11], -1
	s_and_saveexec_b64 s[14:15], s[12:13]
	s_xor_b64 s[12:13], exec, s[14:15]
; %bb.15:                               ;   in Loop: Header=BB2_2 Depth=1
	ds_read_b32 v50, v52 offset:4
                                        ; implicit-def: $vgpr51
; %bb.16:                               ;   in Loop: Header=BB2_2 Depth=1
	s_or_saveexec_b64 s[12:13], s[12:13]
	v_mov_b32_e32 v52, v49
	s_xor_b64 exec, exec, s[12:13]
	s_cbranch_execz .LBB2_18
; %bb.17:                               ;   in Loop: Header=BB2_2 Depth=1
	ds_read_b32 v52, v51 offset:4
	s_waitcnt lgkmcnt(1)
	v_mov_b32_e32 v50, v48
.LBB2_18:                               ;   in Loop: Header=BB2_2 Depth=1
	s_or_b64 exec, exec, s[12:13]
	v_add_u32_e32 v51, 1, v46
	v_cndmask_b32_e64 v48, v48, v49, s[10:11]
	v_add_u32_e32 v49, 1, v47
	v_cndmask_b32_e64 v46, v51, v46, s[10:11]
	v_cndmask_b32_e64 v47, v47, v49, s[10:11]
	v_cmp_ge_i32_e64 s[12:13], v46, v5
	s_waitcnt lgkmcnt(0)
	v_cmp_lt_i32_e64 s[14:15], v52, v50
	v_cmp_lt_i32_e64 s[10:11], v47, v6
	s_or_b64 s[12:13], s[12:13], s[14:15]
	s_and_b64 s[10:11], s[10:11], s[12:13]
	v_cndmask_b32_e64 v46, v50, v52, s[10:11]
	; wave barrier
	ds_write2_b32 v39, v48, v46 offset1:1
	v_mov_b32_e32 v46, v20
	s_waitcnt lgkmcnt(0)
	; wave barrier
	s_and_saveexec_b64 s[12:13], s[2:3]
	s_cbranch_execz .LBB2_22
; %bb.19:                               ;   in Loop: Header=BB2_2 Depth=1
	s_mov_b64 s[14:15], 0
	v_mov_b32_e32 v46, v20
	v_mov_b32_e32 v47, v21
.LBB2_20:                               ;   Parent Loop BB2_2 Depth=1
                                        ; =>  This Inner Loop Header: Depth=2
	v_sub_u32_e32 v48, v47, v46
	v_lshrrev_b32_e32 v48, 1, v48
	v_add_u32_e32 v48, v48, v46
	v_not_b32_e32 v50, v48
	v_lshl_add_u32 v49, v48, 2, v42
	v_lshl_add_u32 v50, v50, 2, v34
	ds_read_b32 v49, v49
	ds_read_b32 v50, v50
	v_add_u32_e32 v51, 1, v48
	s_waitcnt lgkmcnt(0)
	v_cmp_lt_i32_e64 s[10:11], v50, v49
	v_cndmask_b32_e64 v47, v47, v48, s[10:11]
	v_cndmask_b32_e64 v46, v51, v46, s[10:11]
	v_cmp_ge_i32_e64 s[10:11], v46, v47
	s_or_b64 s[14:15], s[10:11], s[14:15]
	s_andn2_b64 exec, exec, s[14:15]
	s_cbranch_execnz .LBB2_20
; %bb.21:                               ;   in Loop: Header=BB2_2 Depth=1
	s_or_b64 exec, exec, s[14:15]
.LBB2_22:                               ;   in Loop: Header=BB2_2 Depth=1
	s_or_b64 exec, exec, s[12:13]
	v_sub_u32_e32 v47, v33, v46
	v_lshl_add_u32 v52, v46, 2, v42
	v_lshlrev_b32_e32 v51, 2, v47
	ds_read_b32 v48, v52
	ds_read_b32 v49, v51
	v_add_u32_e32 v46, v46, v7
	v_cmp_le_i32_e64 s[12:13], v8, v46
	v_cmp_gt_i32_e64 s[10:11], v9, v47
                                        ; implicit-def: $vgpr50
	s_waitcnt lgkmcnt(0)
	v_cmp_lt_i32_e64 s[14:15], v49, v48
	s_or_b64 s[12:13], s[12:13], s[14:15]
	s_and_b64 s[10:11], s[10:11], s[12:13]
	s_xor_b64 s[12:13], s[10:11], -1
	s_and_saveexec_b64 s[14:15], s[12:13]
	s_xor_b64 s[12:13], exec, s[14:15]
; %bb.23:                               ;   in Loop: Header=BB2_2 Depth=1
	ds_read_b32 v50, v52 offset:4
                                        ; implicit-def: $vgpr51
; %bb.24:                               ;   in Loop: Header=BB2_2 Depth=1
	s_or_saveexec_b64 s[12:13], s[12:13]
	v_mov_b32_e32 v52, v49
	s_xor_b64 exec, exec, s[12:13]
	s_cbranch_execz .LBB2_26
; %bb.25:                               ;   in Loop: Header=BB2_2 Depth=1
	ds_read_b32 v52, v51 offset:4
	s_waitcnt lgkmcnt(1)
	v_mov_b32_e32 v50, v48
.LBB2_26:                               ;   in Loop: Header=BB2_2 Depth=1
	s_or_b64 exec, exec, s[12:13]
	v_add_u32_e32 v51, 1, v46
	v_cndmask_b32_e64 v48, v48, v49, s[10:11]
	v_add_u32_e32 v49, 1, v47
	v_cndmask_b32_e64 v46, v51, v46, s[10:11]
	v_cndmask_b32_e64 v47, v47, v49, s[10:11]
	v_cmp_ge_i32_e64 s[12:13], v46, v8
	s_waitcnt lgkmcnt(0)
	v_cmp_lt_i32_e64 s[14:15], v52, v50
	v_cmp_lt_i32_e64 s[10:11], v47, v9
	s_or_b64 s[12:13], s[12:13], s[14:15]
	s_and_b64 s[10:11], s[10:11], s[12:13]
	v_cndmask_b32_e64 v46, v50, v52, s[10:11]
	; wave barrier
	ds_write2_b32 v39, v48, v46 offset1:1
	v_mov_b32_e32 v46, v22
	s_waitcnt lgkmcnt(0)
	; wave barrier
	s_and_saveexec_b64 s[12:13], s[4:5]
	s_cbranch_execz .LBB2_30
; %bb.27:                               ;   in Loop: Header=BB2_2 Depth=1
	s_mov_b64 s[14:15], 0
	v_mov_b32_e32 v46, v22
	v_mov_b32_e32 v47, v23
.LBB2_28:                               ;   Parent Loop BB2_2 Depth=1
                                        ; =>  This Inner Loop Header: Depth=2
	v_sub_u32_e32 v48, v47, v46
	v_lshrrev_b32_e32 v48, 1, v48
	v_add_u32_e32 v48, v48, v46
	v_not_b32_e32 v50, v48
	v_lshl_add_u32 v49, v48, 2, v43
	v_lshl_add_u32 v50, v50, 2, v36
	ds_read_b32 v49, v49
	ds_read_b32 v50, v50
	v_add_u32_e32 v51, 1, v48
	s_waitcnt lgkmcnt(0)
	v_cmp_lt_i32_e64 s[10:11], v50, v49
	v_cndmask_b32_e64 v47, v47, v48, s[10:11]
	v_cndmask_b32_e64 v46, v51, v46, s[10:11]
	v_cmp_ge_i32_e64 s[10:11], v46, v47
	s_or_b64 s[14:15], s[10:11], s[14:15]
	s_andn2_b64 exec, exec, s[14:15]
	s_cbranch_execnz .LBB2_28
; %bb.29:                               ;   in Loop: Header=BB2_2 Depth=1
	s_or_b64 exec, exec, s[14:15]
.LBB2_30:                               ;   in Loop: Header=BB2_2 Depth=1
	s_or_b64 exec, exec, s[12:13]
	v_sub_u32_e32 v47, v35, v46
	v_lshl_add_u32 v52, v46, 2, v43
	v_lshlrev_b32_e32 v51, 2, v47
	ds_read_b32 v48, v52
	ds_read_b32 v49, v51
	v_add_u32_e32 v46, v46, v10
	v_cmp_le_i32_e64 s[12:13], v11, v46
	v_cmp_gt_i32_e64 s[10:11], v12, v47
                                        ; implicit-def: $vgpr50
	s_waitcnt lgkmcnt(0)
	v_cmp_lt_i32_e64 s[14:15], v49, v48
	s_or_b64 s[12:13], s[12:13], s[14:15]
	s_and_b64 s[10:11], s[10:11], s[12:13]
	s_xor_b64 s[12:13], s[10:11], -1
	s_and_saveexec_b64 s[14:15], s[12:13]
	s_xor_b64 s[12:13], exec, s[14:15]
; %bb.31:                               ;   in Loop: Header=BB2_2 Depth=1
	ds_read_b32 v50, v52 offset:4
                                        ; implicit-def: $vgpr51
; %bb.32:                               ;   in Loop: Header=BB2_2 Depth=1
	s_or_saveexec_b64 s[12:13], s[12:13]
	v_mov_b32_e32 v52, v49
	s_xor_b64 exec, exec, s[12:13]
	s_cbranch_execz .LBB2_34
; %bb.33:                               ;   in Loop: Header=BB2_2 Depth=1
	ds_read_b32 v52, v51 offset:4
	s_waitcnt lgkmcnt(1)
	v_mov_b32_e32 v50, v48
.LBB2_34:                               ;   in Loop: Header=BB2_2 Depth=1
	s_or_b64 exec, exec, s[12:13]
	v_add_u32_e32 v51, 1, v46
	v_cndmask_b32_e64 v48, v48, v49, s[10:11]
	v_add_u32_e32 v49, 1, v47
	v_cndmask_b32_e64 v46, v51, v46, s[10:11]
	v_cndmask_b32_e64 v47, v47, v49, s[10:11]
	v_cmp_ge_i32_e64 s[12:13], v46, v11
	s_waitcnt lgkmcnt(0)
	v_cmp_lt_i32_e64 s[14:15], v52, v50
	v_cmp_lt_i32_e64 s[10:11], v47, v12
	s_or_b64 s[12:13], s[12:13], s[14:15]
	s_and_b64 s[10:11], s[10:11], s[12:13]
	v_cndmask_b32_e64 v46, v50, v52, s[10:11]
	; wave barrier
	ds_write2_b32 v39, v48, v46 offset1:1
	v_mov_b32_e32 v46, v24
	s_waitcnt lgkmcnt(0)
	; wave barrier
	s_and_saveexec_b64 s[12:13], s[6:7]
	s_cbranch_execz .LBB2_38
; %bb.35:                               ;   in Loop: Header=BB2_2 Depth=1
	s_mov_b64 s[14:15], 0
	v_mov_b32_e32 v46, v24
	v_mov_b32_e32 v47, v25
.LBB2_36:                               ;   Parent Loop BB2_2 Depth=1
                                        ; =>  This Inner Loop Header: Depth=2
	v_sub_u32_e32 v48, v47, v46
	v_lshrrev_b32_e32 v48, 1, v48
	v_add_u32_e32 v48, v48, v46
	v_not_b32_e32 v50, v48
	v_lshl_add_u32 v49, v48, 2, v44
	v_lshl_add_u32 v50, v50, 2, v38
	ds_read_b32 v49, v49
	ds_read_b32 v50, v50
	v_add_u32_e32 v51, 1, v48
	s_waitcnt lgkmcnt(0)
	v_cmp_lt_i32_e64 s[10:11], v50, v49
	v_cndmask_b32_e64 v47, v47, v48, s[10:11]
	v_cndmask_b32_e64 v46, v51, v46, s[10:11]
	v_cmp_ge_i32_e64 s[10:11], v46, v47
	s_or_b64 s[14:15], s[10:11], s[14:15]
	s_andn2_b64 exec, exec, s[14:15]
	s_cbranch_execnz .LBB2_36
; %bb.37:                               ;   in Loop: Header=BB2_2 Depth=1
	s_or_b64 exec, exec, s[14:15]
.LBB2_38:                               ;   in Loop: Header=BB2_2 Depth=1
	s_or_b64 exec, exec, s[12:13]
	v_sub_u32_e32 v47, v37, v46
	v_lshl_add_u32 v52, v46, 2, v44
	v_lshlrev_b32_e32 v51, 2, v47
	ds_read_b32 v48, v52
	ds_read_b32 v49, v51
	v_add_u32_e32 v46, v46, v13
	v_cmp_le_i32_e64 s[12:13], v14, v46
	v_cmp_gt_i32_e64 s[10:11], v15, v47
                                        ; implicit-def: $vgpr50
	s_waitcnt lgkmcnt(0)
	v_cmp_lt_i32_e64 s[14:15], v49, v48
	s_or_b64 s[12:13], s[12:13], s[14:15]
	s_and_b64 s[10:11], s[10:11], s[12:13]
	s_xor_b64 s[12:13], s[10:11], -1
	s_and_saveexec_b64 s[14:15], s[12:13]
	s_xor_b64 s[12:13], exec, s[14:15]
; %bb.39:                               ;   in Loop: Header=BB2_2 Depth=1
	ds_read_b32 v50, v52 offset:4
                                        ; implicit-def: $vgpr51
; %bb.40:                               ;   in Loop: Header=BB2_2 Depth=1
	s_or_saveexec_b64 s[12:13], s[12:13]
	v_mov_b32_e32 v52, v49
	s_xor_b64 exec, exec, s[12:13]
	s_cbranch_execz .LBB2_42
; %bb.41:                               ;   in Loop: Header=BB2_2 Depth=1
	ds_read_b32 v52, v51 offset:4
	s_waitcnt lgkmcnt(1)
	v_mov_b32_e32 v50, v48
.LBB2_42:                               ;   in Loop: Header=BB2_2 Depth=1
	s_or_b64 exec, exec, s[12:13]
	v_add_u32_e32 v51, 1, v46
	v_cndmask_b32_e64 v48, v48, v49, s[10:11]
	v_add_u32_e32 v49, 1, v47
	v_cndmask_b32_e64 v46, v51, v46, s[10:11]
	v_cndmask_b32_e64 v47, v47, v49, s[10:11]
	v_cmp_ge_i32_e64 s[12:13], v46, v14
	s_waitcnt lgkmcnt(0)
	v_cmp_lt_i32_e64 s[14:15], v52, v50
	v_cmp_lt_i32_e64 s[10:11], v47, v15
	s_or_b64 s[12:13], s[12:13], s[14:15]
	s_and_b64 s[10:11], s[10:11], s[12:13]
	v_cndmask_b32_e64 v46, v50, v52, s[10:11]
	v_mov_b32_e32 v47, v26
	; wave barrier
	ds_write2_b32 v39, v48, v46 offset1:1
	s_waitcnt lgkmcnt(0)
	; wave barrier
	s_and_saveexec_b64 s[12:13], s[8:9]
	s_cbranch_execz .LBB2_46
; %bb.43:                               ;   in Loop: Header=BB2_2 Depth=1
	s_mov_b64 s[14:15], 0
	v_mov_b32_e32 v47, v26
	v_mov_b32_e32 v46, v27
.LBB2_44:                               ;   Parent Loop BB2_2 Depth=1
                                        ; =>  This Inner Loop Header: Depth=2
	v_sub_u32_e32 v48, v46, v47
	v_lshrrev_b32_e32 v48, 1, v48
	v_add_u32_e32 v48, v48, v47
	v_not_b32_e32 v50, v48
	v_lshlrev_b32_e32 v49, 2, v48
	v_lshl_add_u32 v50, v50, 2, v45
	ds_read_b32 v49, v49
	ds_read_b32 v50, v50
	v_add_u32_e32 v51, 1, v48
	s_waitcnt lgkmcnt(0)
	v_cmp_lt_i32_e64 s[10:11], v50, v49
	v_cndmask_b32_e64 v46, v46, v48, s[10:11]
	v_cndmask_b32_e64 v47, v51, v47, s[10:11]
	v_cmp_ge_i32_e64 s[10:11], v47, v46
	s_or_b64 s[14:15], s[10:11], s[14:15]
	s_andn2_b64 exec, exec, s[14:15]
	s_cbranch_execnz .LBB2_44
; %bb.45:                               ;   in Loop: Header=BB2_2 Depth=1
	s_or_b64 exec, exec, s[14:15]
.LBB2_46:                               ;   in Loop: Header=BB2_2 Depth=1
	s_or_b64 exec, exec, s[12:13]
	v_sub_u32_e32 v48, v28, v47
	v_lshlrev_b32_e32 v52, 2, v47
	v_lshlrev_b32_e32 v51, 2, v48
	ds_read_b32 v46, v52
	ds_read_b32 v49, v51
	v_cmp_le_i32_e64 s[12:13], 64, v47
	v_cmp_gt_i32_e64 s[10:11], s16, v48
                                        ; implicit-def: $vgpr50
	s_waitcnt lgkmcnt(0)
	v_cmp_lt_i32_e64 s[14:15], v49, v46
	s_or_b64 s[12:13], s[12:13], s[14:15]
	s_and_b64 s[10:11], s[10:11], s[12:13]
	s_xor_b64 s[12:13], s[10:11], -1
	s_and_saveexec_b64 s[14:15], s[12:13]
	s_xor_b64 s[12:13], exec, s[14:15]
; %bb.47:                               ;   in Loop: Header=BB2_2 Depth=1
	ds_read_b32 v50, v52 offset:4
	v_add_u32_e32 v47, 1, v47
                                        ; implicit-def: $vgpr51
; %bb.48:                               ;   in Loop: Header=BB2_2 Depth=1
	s_or_saveexec_b64 s[12:13], s[12:13]
	v_mov_b32_e32 v52, v49
	s_xor_b64 exec, exec, s[12:13]
	s_cbranch_execz .LBB2_1
; %bb.49:                               ;   in Loop: Header=BB2_2 Depth=1
	ds_read_b32 v52, v51 offset:4
	v_add_u32_e32 v48, 1, v48
	s_waitcnt lgkmcnt(1)
	v_mov_b32_e32 v50, v46
	s_branch .LBB2_1
.LBB2_50:
	s_add_u32 s0, s18, s20
	s_addc_u32 s1, s19, s21
	v_lshlrev_b32_e32 v0, 2, v0
	global_store_dword v0, v46, s[0:1]
	global_store_dword v0, v47, s[0:1] offset:256
	s_endpgm
	.section	.rodata,"a",@progbits
	.p2align	6, 0x0
	.amdhsa_kernel _Z16sort_keys_kernelIiLj64ELj2EN10test_utils4lessELj10EEvPKT_PS2_T2_
		.amdhsa_group_segment_fixed_size 516
		.amdhsa_private_segment_fixed_size 0
		.amdhsa_kernarg_size 20
		.amdhsa_user_sgpr_count 6
		.amdhsa_user_sgpr_private_segment_buffer 1
		.amdhsa_user_sgpr_dispatch_ptr 0
		.amdhsa_user_sgpr_queue_ptr 0
		.amdhsa_user_sgpr_kernarg_segment_ptr 1
		.amdhsa_user_sgpr_dispatch_id 0
		.amdhsa_user_sgpr_flat_scratch_init 0
		.amdhsa_user_sgpr_private_segment_size 0
		.amdhsa_uses_dynamic_stack 0
		.amdhsa_system_sgpr_private_segment_wavefront_offset 0
		.amdhsa_system_sgpr_workgroup_id_x 1
		.amdhsa_system_sgpr_workgroup_id_y 0
		.amdhsa_system_sgpr_workgroup_id_z 0
		.amdhsa_system_sgpr_workgroup_info 0
		.amdhsa_system_vgpr_workitem_id 0
		.amdhsa_next_free_vgpr 53
		.amdhsa_next_free_sgpr 24
		.amdhsa_reserve_vcc 1
		.amdhsa_reserve_flat_scratch 0
		.amdhsa_float_round_mode_32 0
		.amdhsa_float_round_mode_16_64 0
		.amdhsa_float_denorm_mode_32 3
		.amdhsa_float_denorm_mode_16_64 3
		.amdhsa_dx10_clamp 1
		.amdhsa_ieee_mode 1
		.amdhsa_fp16_overflow 0
		.amdhsa_exception_fp_ieee_invalid_op 0
		.amdhsa_exception_fp_denorm_src 0
		.amdhsa_exception_fp_ieee_div_zero 0
		.amdhsa_exception_fp_ieee_overflow 0
		.amdhsa_exception_fp_ieee_underflow 0
		.amdhsa_exception_fp_ieee_inexact 0
		.amdhsa_exception_int_div_zero 0
	.end_amdhsa_kernel
	.section	.text._Z16sort_keys_kernelIiLj64ELj2EN10test_utils4lessELj10EEvPKT_PS2_T2_,"axG",@progbits,_Z16sort_keys_kernelIiLj64ELj2EN10test_utils4lessELj10EEvPKT_PS2_T2_,comdat
.Lfunc_end2:
	.size	_Z16sort_keys_kernelIiLj64ELj2EN10test_utils4lessELj10EEvPKT_PS2_T2_, .Lfunc_end2-_Z16sort_keys_kernelIiLj64ELj2EN10test_utils4lessELj10EEvPKT_PS2_T2_
                                        ; -- End function
	.set _Z16sort_keys_kernelIiLj64ELj2EN10test_utils4lessELj10EEvPKT_PS2_T2_.num_vgpr, 53
	.set _Z16sort_keys_kernelIiLj64ELj2EN10test_utils4lessELj10EEvPKT_PS2_T2_.num_agpr, 0
	.set _Z16sort_keys_kernelIiLj64ELj2EN10test_utils4lessELj10EEvPKT_PS2_T2_.numbered_sgpr, 24
	.set _Z16sort_keys_kernelIiLj64ELj2EN10test_utils4lessELj10EEvPKT_PS2_T2_.num_named_barrier, 0
	.set _Z16sort_keys_kernelIiLj64ELj2EN10test_utils4lessELj10EEvPKT_PS2_T2_.private_seg_size, 0
	.set _Z16sort_keys_kernelIiLj64ELj2EN10test_utils4lessELj10EEvPKT_PS2_T2_.uses_vcc, 1
	.set _Z16sort_keys_kernelIiLj64ELj2EN10test_utils4lessELj10EEvPKT_PS2_T2_.uses_flat_scratch, 0
	.set _Z16sort_keys_kernelIiLj64ELj2EN10test_utils4lessELj10EEvPKT_PS2_T2_.has_dyn_sized_stack, 0
	.set _Z16sort_keys_kernelIiLj64ELj2EN10test_utils4lessELj10EEvPKT_PS2_T2_.has_recursion, 0
	.set _Z16sort_keys_kernelIiLj64ELj2EN10test_utils4lessELj10EEvPKT_PS2_T2_.has_indirect_call, 0
	.section	.AMDGPU.csdata,"",@progbits
; Kernel info:
; codeLenInByte = 2620
; TotalNumSgprs: 28
; NumVgprs: 53
; ScratchSize: 0
; MemoryBound: 0
; FloatMode: 240
; IeeeMode: 1
; LDSByteSize: 516 bytes/workgroup (compile time only)
; SGPRBlocks: 3
; VGPRBlocks: 13
; NumSGPRsForWavesPerEU: 28
; NumVGPRsForWavesPerEU: 53
; Occupancy: 4
; WaveLimiterHint : 1
; COMPUTE_PGM_RSRC2:SCRATCH_EN: 0
; COMPUTE_PGM_RSRC2:USER_SGPR: 6
; COMPUTE_PGM_RSRC2:TRAP_HANDLER: 0
; COMPUTE_PGM_RSRC2:TGID_X_EN: 1
; COMPUTE_PGM_RSRC2:TGID_Y_EN: 0
; COMPUTE_PGM_RSRC2:TGID_Z_EN: 0
; COMPUTE_PGM_RSRC2:TIDIG_COMP_CNT: 0
	.section	.text._Z17sort_pairs_kernelIiLj64ELj2EN10test_utils4lessELj10EEvPKT_PS2_T2_,"axG",@progbits,_Z17sort_pairs_kernelIiLj64ELj2EN10test_utils4lessELj10EEvPKT_PS2_T2_,comdat
	.protected	_Z17sort_pairs_kernelIiLj64ELj2EN10test_utils4lessELj10EEvPKT_PS2_T2_ ; -- Begin function _Z17sort_pairs_kernelIiLj64ELj2EN10test_utils4lessELj10EEvPKT_PS2_T2_
	.globl	_Z17sort_pairs_kernelIiLj64ELj2EN10test_utils4lessELj10EEvPKT_PS2_T2_
	.p2align	8
	.type	_Z17sort_pairs_kernelIiLj64ELj2EN10test_utils4lessELj10EEvPKT_PS2_T2_,@function
_Z17sort_pairs_kernelIiLj64ELj2EN10test_utils4lessELj10EEvPKT_PS2_T2_: ; @_Z17sort_pairs_kernelIiLj64ELj2EN10test_utils4lessELj10EEvPKT_PS2_T2_
; %bb.0:
	s_load_dwordx4 s[16:19], s[4:5], 0x0
	s_lshl_b32 s22, s6, 7
	s_mov_b32 s23, 0
	s_lshl_b64 s[20:21], s[22:23], 2
	v_lshlrev_b32_e32 v1, 2, v0
	s_waitcnt lgkmcnt(0)
	s_add_u32 s0, s16, s20
	s_addc_u32 s1, s17, s21
	global_load_dword v47, v1, s[0:1]
	global_load_dword v46, v1, s[0:1] offset:256
	v_lshlrev_b32_e32 v8, 1, v0
	v_and_b32_e32 v1, 0x7c, v8
	v_and_b32_e32 v2, 0x78, v8
	v_or_b32_e32 v9, 2, v1
	v_add_u32_e32 v10, 4, v1
	v_and_b32_e32 v34, 2, v8
	v_and_b32_e32 v3, 0x70, v8
	v_or_b32_e32 v11, 4, v2
	v_add_u32_e32 v12, 8, v2
	v_sub_u32_e32 v39, v10, v9
	v_and_b32_e32 v35, 6, v8
	v_and_b32_e32 v4, 0x60, v8
	v_or_b32_e32 v13, 8, v3
	v_add_u32_e32 v14, 16, v3
	v_sub_u32_e32 v40, v12, v11
	v_sub_u32_e32 v29, v9, v1
	;; [unrolled: 1-line block ×3, first 2 shown]
	v_cmp_ge_i32_e64 s[0:1], v34, v39
	v_and_b32_e32 v36, 14, v8
	v_and_b32_e32 v5, 64, v8
	v_or_b32_e32 v15, 16, v4
	v_add_u32_e32 v16, 32, v4
	v_lshlrev_b32_e32 v24, 2, v34
	v_sub_u32_e32 v41, v14, v13
	v_add_u32_e32 v19, v9, v34
	v_sub_u32_e32 v30, v11, v2
	v_min_i32_e32 v29, v34, v29
	v_sub_u32_e32 v45, v35, v40
	v_cndmask_b32_e64 v34, 0, v44, s[0:1]
	v_cmp_ge_i32_e64 s[0:1], v35, v40
	v_and_b32_e32 v37, 30, v8
	v_or_b32_e32 v17, 32, v5
	v_lshlrev_b32_e32 v25, 2, v35
	v_add_u32_e32 v18, 64, v5
	v_sub_u32_e32 v42, v16, v15
	v_add_u32_e32 v20, v11, v35
	v_sub_u32_e32 v31, v13, v3
	v_min_i32_e32 v30, v35, v30
	v_sub_u32_e32 v48, v36, v41
	v_cndmask_b32_e64 v35, 0, v45, s[0:1]
	v_cmp_ge_i32_e64 s[0:1], v36, v41
	v_and_b32_e32 v38, 62, v8
	v_lshlrev_b32_e32 v26, 2, v36
	v_add_u32_e32 v21, v13, v36
	v_sub_u32_e32 v32, v15, v4
	v_sub_u32_e32 v43, v18, v17
	v_min_i32_e32 v31, v36, v31
	v_sub_u32_e32 v49, v37, v42
	v_cndmask_b32_e64 v36, 0, v48, s[0:1]
	v_cmp_ge_i32_e64 s[0:1], v37, v42
	v_lshlrev_b32_e32 v27, 2, v37
	v_add_u32_e32 v22, v15, v37
	v_sub_u32_e32 v33, v17, v5
	v_min_i32_e32 v32, v37, v32
	v_sub_u32_e32 v50, v38, v43
	v_cndmask_b32_e64 v37, 0, v49, s[0:1]
	v_cmp_ge_i32_e64 s[0:1], v38, v43
	v_sub_u32_e64 v6, v8, 64 clamp
	v_min_i32_e32 v7, 64, v8
	v_lshlrev_b32_e32 v28, 2, v38
	v_add_u32_e32 v23, v17, v38
	v_min_i32_e32 v33, v38, v33
	v_cndmask_b32_e64 v38, 0, v50, s[0:1]
	v_lshlrev_b32_e32 v39, 3, v0
	s_movk_i32 s22, 0x80
	v_add_u32_e32 v8, 64, v8
	v_cmp_lt_i32_e32 vcc, v6, v7
	v_lshl_add_u32 v24, v9, 2, v24
	v_lshl_add_u32 v25, v11, 2, v25
	;; [unrolled: 1-line block ×5, first 2 shown]
	v_cmp_lt_i32_e64 s[0:1], v34, v29
	v_cmp_lt_i32_e64 s[2:3], v35, v30
	v_cmp_lt_i32_e64 s[4:5], v36, v31
	v_cmp_lt_i32_e64 s[6:7], v37, v32
	v_cmp_lt_i32_e64 s[8:9], v38, v33
	v_lshlrev_b32_e32 v40, 2, v1
	s_waitcnt vmcnt(1)
	v_add_u32_e32 v48, 1, v47
	s_waitcnt vmcnt(0)
	v_add_u32_e32 v49, 1, v46
	v_lshlrev_b32_e32 v41, 2, v2
	v_lshlrev_b32_e32 v42, 2, v3
	;; [unrolled: 1-line block ×4, first 2 shown]
	v_add_u32_e32 v45, 0x100, v39
	s_branch .LBB3_2
.LBB3_1:                                ;   in Loop: Header=BB3_2 Depth=1
	s_or_b64 exec, exec, s[12:13]
	v_cmp_le_i32_e64 s[14:15], 64, v52
	s_waitcnt lgkmcnt(0)
	v_cmp_lt_i32_e64 s[16:17], v56, v53
	v_cmp_gt_i32_e64 s[12:13], s22, v49
	s_or_b64 s[14:15], s[14:15], s[16:17]
	s_and_b64 s[12:13], s[12:13], s[14:15]
	v_cndmask_b32_e64 v49, v52, v49, s[12:13]
	; wave barrier
	ds_write2_b32 v39, v47, v48 offset1:1
	v_lshlrev_b32_e32 v47, 2, v55
	v_lshlrev_b32_e32 v49, 2, v49
	s_waitcnt lgkmcnt(0)
	; wave barrier
	ds_read_b32 v48, v47
	ds_read_b32 v49, v49
	s_add_i32 s23, s23, 1
	v_cndmask_b32_e64 v46, v53, v56, s[12:13]
	s_cmp_eq_u32 s23, 10
	v_cndmask_b32_e64 v47, v50, v51, s[10:11]
	s_cbranch_scc1 .LBB3_50
.LBB3_2:                                ; =>This Loop Header: Depth=1
                                        ;     Child Loop BB3_4 Depth 2
                                        ;     Child Loop BB3_12 Depth 2
	;; [unrolled: 1-line block ×6, first 2 shown]
	v_cmp_lt_i32_e64 s[10:11], v46, v47
	v_cndmask_b32_e64 v50, v46, v47, s[10:11]
	v_cndmask_b32_e64 v46, v47, v46, s[10:11]
	v_mov_b32_e32 v47, v34
	; wave barrier
	ds_write2_b32 v39, v46, v50 offset1:1
	s_waitcnt lgkmcnt(0)
	; wave barrier
	s_and_saveexec_b64 s[14:15], s[0:1]
	s_cbranch_execz .LBB3_6
; %bb.3:                                ;   in Loop: Header=BB3_2 Depth=1
	s_mov_b64 s[16:17], 0
	v_mov_b32_e32 v47, v34
	v_mov_b32_e32 v46, v29
.LBB3_4:                                ;   Parent Loop BB3_2 Depth=1
                                        ; =>  This Inner Loop Header: Depth=2
	v_sub_u32_e32 v50, v46, v47
	v_lshrrev_b32_e32 v50, 1, v50
	v_add_u32_e32 v50, v50, v47
	v_not_b32_e32 v52, v50
	v_lshl_add_u32 v51, v50, 2, v40
	v_lshl_add_u32 v52, v52, 2, v24
	ds_read_b32 v51, v51
	ds_read_b32 v52, v52
	v_add_u32_e32 v53, 1, v50
	s_waitcnt lgkmcnt(0)
	v_cmp_lt_i32_e64 s[12:13], v52, v51
	v_cndmask_b32_e64 v46, v46, v50, s[12:13]
	v_cndmask_b32_e64 v47, v53, v47, s[12:13]
	v_cmp_ge_i32_e64 s[12:13], v47, v46
	s_or_b64 s[16:17], s[12:13], s[16:17]
	s_andn2_b64 exec, exec, s[16:17]
	s_cbranch_execnz .LBB3_4
; %bb.5:                                ;   in Loop: Header=BB3_2 Depth=1
	s_or_b64 exec, exec, s[16:17]
.LBB3_6:                                ;   in Loop: Header=BB3_2 Depth=1
	s_or_b64 exec, exec, s[14:15]
	v_sub_u32_e32 v46, v19, v47
	v_lshl_add_u32 v54, v47, 2, v40
	v_lshlrev_b32_e32 v53, 2, v46
	ds_read_b32 v50, v54
	ds_read_b32 v52, v53
	v_add_u32_e32 v47, v47, v1
	v_cmp_le_i32_e64 s[14:15], v9, v47
	v_cmp_gt_i32_e64 s[12:13], v10, v46
                                        ; implicit-def: $vgpr51
	s_waitcnt lgkmcnt(0)
	v_cmp_lt_i32_e64 s[16:17], v52, v50
	s_or_b64 s[14:15], s[14:15], s[16:17]
	s_and_b64 s[12:13], s[12:13], s[14:15]
	s_xor_b64 s[14:15], s[12:13], -1
	s_and_saveexec_b64 s[16:17], s[14:15]
	s_xor_b64 s[14:15], exec, s[16:17]
; %bb.7:                                ;   in Loop: Header=BB3_2 Depth=1
	ds_read_b32 v51, v54 offset:4
                                        ; implicit-def: $vgpr53
; %bb.8:                                ;   in Loop: Header=BB3_2 Depth=1
	s_or_saveexec_b64 s[14:15], s[14:15]
	v_mov_b32_e32 v54, v52
	s_xor_b64 exec, exec, s[14:15]
	s_cbranch_execz .LBB3_10
; %bb.9:                                ;   in Loop: Header=BB3_2 Depth=1
	ds_read_b32 v54, v53 offset:4
	s_waitcnt lgkmcnt(1)
	v_mov_b32_e32 v51, v50
.LBB3_10:                               ;   in Loop: Header=BB3_2 Depth=1
	s_or_b64 exec, exec, s[14:15]
	v_add_u32_e32 v53, 1, v47
	v_cndmask_b32_e64 v50, v50, v52, s[12:13]
	v_add_u32_e32 v52, 1, v46
	v_cndmask_b32_e64 v53, v53, v47, s[12:13]
	v_cndmask_b32_e64 v52, v46, v52, s[12:13]
	;; [unrolled: 1-line block ×3, first 2 shown]
	v_cmp_ge_i32_e64 s[12:13], v53, v9
	s_waitcnt lgkmcnt(0)
	v_cmp_lt_i32_e64 s[14:15], v54, v51
	v_cndmask_b32_e64 v47, v49, v48, s[10:11]
	v_cndmask_b32_e64 v48, v48, v49, s[10:11]
	v_cmp_lt_i32_e64 s[10:11], v52, v10
	s_or_b64 s[12:13], s[12:13], s[14:15]
	s_and_b64 s[10:11], s[10:11], s[12:13]
	v_cndmask_b32_e64 v49, v51, v54, s[10:11]
	v_cndmask_b32_e64 v51, v53, v52, s[10:11]
	; wave barrier
	ds_write2_b32 v39, v48, v47 offset1:1
	v_lshlrev_b32_e32 v46, 2, v46
	v_lshlrev_b32_e32 v47, 2, v51
	s_waitcnt lgkmcnt(0)
	; wave barrier
	ds_read_b32 v46, v46
	ds_read_b32 v47, v47
	s_waitcnt lgkmcnt(0)
	; wave barrier
	ds_write2_b32 v39, v50, v49 offset1:1
	v_mov_b32_e32 v49, v35
	s_waitcnt lgkmcnt(0)
	; wave barrier
	s_and_saveexec_b64 s[12:13], s[2:3]
	s_cbranch_execz .LBB3_14
; %bb.11:                               ;   in Loop: Header=BB3_2 Depth=1
	s_mov_b64 s[14:15], 0
	v_mov_b32_e32 v49, v35
	v_mov_b32_e32 v48, v30
.LBB3_12:                               ;   Parent Loop BB3_2 Depth=1
                                        ; =>  This Inner Loop Header: Depth=2
	v_sub_u32_e32 v50, v48, v49
	v_lshrrev_b32_e32 v50, 1, v50
	v_add_u32_e32 v50, v50, v49
	v_not_b32_e32 v52, v50
	v_lshl_add_u32 v51, v50, 2, v41
	v_lshl_add_u32 v52, v52, 2, v25
	ds_read_b32 v51, v51
	ds_read_b32 v52, v52
	v_add_u32_e32 v53, 1, v50
	s_waitcnt lgkmcnt(0)
	v_cmp_lt_i32_e64 s[10:11], v52, v51
	v_cndmask_b32_e64 v48, v48, v50, s[10:11]
	v_cndmask_b32_e64 v49, v53, v49, s[10:11]
	v_cmp_ge_i32_e64 s[10:11], v49, v48
	s_or_b64 s[14:15], s[10:11], s[14:15]
	s_andn2_b64 exec, exec, s[14:15]
	s_cbranch_execnz .LBB3_12
; %bb.13:                               ;   in Loop: Header=BB3_2 Depth=1
	s_or_b64 exec, exec, s[14:15]
.LBB3_14:                               ;   in Loop: Header=BB3_2 Depth=1
	s_or_b64 exec, exec, s[12:13]
	v_sub_u32_e32 v48, v20, v49
	v_lshl_add_u32 v54, v49, 2, v41
	v_lshlrev_b32_e32 v53, 2, v48
	ds_read_b32 v50, v54
	ds_read_b32 v51, v53
	v_add_u32_e32 v49, v49, v2
	v_cmp_le_i32_e64 s[12:13], v11, v49
	v_cmp_gt_i32_e64 s[10:11], v12, v48
                                        ; implicit-def: $vgpr52
	s_waitcnt lgkmcnt(0)
	v_cmp_lt_i32_e64 s[14:15], v51, v50
	s_or_b64 s[12:13], s[12:13], s[14:15]
	s_and_b64 s[10:11], s[10:11], s[12:13]
	s_xor_b64 s[12:13], s[10:11], -1
	s_and_saveexec_b64 s[14:15], s[12:13]
	s_xor_b64 s[12:13], exec, s[14:15]
; %bb.15:                               ;   in Loop: Header=BB3_2 Depth=1
	ds_read_b32 v52, v54 offset:4
                                        ; implicit-def: $vgpr53
; %bb.16:                               ;   in Loop: Header=BB3_2 Depth=1
	s_or_saveexec_b64 s[12:13], s[12:13]
	v_mov_b32_e32 v54, v51
	s_xor_b64 exec, exec, s[12:13]
	s_cbranch_execz .LBB3_18
; %bb.17:                               ;   in Loop: Header=BB3_2 Depth=1
	ds_read_b32 v54, v53 offset:4
	s_waitcnt lgkmcnt(1)
	v_mov_b32_e32 v52, v50
.LBB3_18:                               ;   in Loop: Header=BB3_2 Depth=1
	s_or_b64 exec, exec, s[12:13]
	v_add_u32_e32 v53, 1, v49
	v_cndmask_b32_e64 v50, v50, v51, s[10:11]
	v_add_u32_e32 v51, 1, v48
	v_cndmask_b32_e64 v53, v53, v49, s[10:11]
	v_cndmask_b32_e64 v51, v48, v51, s[10:11]
	v_cmp_ge_i32_e64 s[12:13], v53, v11
	s_waitcnt lgkmcnt(0)
	v_cmp_lt_i32_e64 s[14:15], v54, v52
	v_cndmask_b32_e64 v48, v49, v48, s[10:11]
	v_cmp_lt_i32_e64 s[10:11], v51, v12
	s_or_b64 s[12:13], s[12:13], s[14:15]
	s_and_b64 s[10:11], s[10:11], s[12:13]
	v_cndmask_b32_e64 v51, v53, v51, s[10:11]
	; wave barrier
	ds_write2_b32 v39, v46, v47 offset1:1
	v_lshlrev_b32_e32 v46, 2, v48
	v_lshlrev_b32_e32 v47, 2, v51
	s_waitcnt lgkmcnt(0)
	; wave barrier
	ds_read_b32 v46, v46
	ds_read_b32 v47, v47
	v_cndmask_b32_e64 v49, v52, v54, s[10:11]
	s_waitcnt lgkmcnt(0)
	; wave barrier
	ds_write2_b32 v39, v50, v49 offset1:1
	v_mov_b32_e32 v49, v36
	s_waitcnt lgkmcnt(0)
	; wave barrier
	s_and_saveexec_b64 s[12:13], s[4:5]
	s_cbranch_execz .LBB3_22
; %bb.19:                               ;   in Loop: Header=BB3_2 Depth=1
	s_mov_b64 s[14:15], 0
	v_mov_b32_e32 v49, v36
	v_mov_b32_e32 v48, v31
.LBB3_20:                               ;   Parent Loop BB3_2 Depth=1
                                        ; =>  This Inner Loop Header: Depth=2
	v_sub_u32_e32 v50, v48, v49
	v_lshrrev_b32_e32 v50, 1, v50
	v_add_u32_e32 v50, v50, v49
	v_not_b32_e32 v52, v50
	v_lshl_add_u32 v51, v50, 2, v42
	v_lshl_add_u32 v52, v52, 2, v26
	ds_read_b32 v51, v51
	ds_read_b32 v52, v52
	v_add_u32_e32 v53, 1, v50
	s_waitcnt lgkmcnt(0)
	v_cmp_lt_i32_e64 s[10:11], v52, v51
	v_cndmask_b32_e64 v48, v48, v50, s[10:11]
	v_cndmask_b32_e64 v49, v53, v49, s[10:11]
	v_cmp_ge_i32_e64 s[10:11], v49, v48
	s_or_b64 s[14:15], s[10:11], s[14:15]
	s_andn2_b64 exec, exec, s[14:15]
	s_cbranch_execnz .LBB3_20
; %bb.21:                               ;   in Loop: Header=BB3_2 Depth=1
	s_or_b64 exec, exec, s[14:15]
.LBB3_22:                               ;   in Loop: Header=BB3_2 Depth=1
	s_or_b64 exec, exec, s[12:13]
	v_sub_u32_e32 v48, v21, v49
	v_lshl_add_u32 v54, v49, 2, v42
	v_lshlrev_b32_e32 v53, 2, v48
	ds_read_b32 v50, v54
	ds_read_b32 v51, v53
	v_add_u32_e32 v49, v49, v3
	v_cmp_le_i32_e64 s[12:13], v13, v49
	v_cmp_gt_i32_e64 s[10:11], v14, v48
                                        ; implicit-def: $vgpr52
	s_waitcnt lgkmcnt(0)
	v_cmp_lt_i32_e64 s[14:15], v51, v50
	s_or_b64 s[12:13], s[12:13], s[14:15]
	s_and_b64 s[10:11], s[10:11], s[12:13]
	s_xor_b64 s[12:13], s[10:11], -1
	s_and_saveexec_b64 s[14:15], s[12:13]
	s_xor_b64 s[12:13], exec, s[14:15]
; %bb.23:                               ;   in Loop: Header=BB3_2 Depth=1
	ds_read_b32 v52, v54 offset:4
                                        ; implicit-def: $vgpr53
; %bb.24:                               ;   in Loop: Header=BB3_2 Depth=1
	s_or_saveexec_b64 s[12:13], s[12:13]
	v_mov_b32_e32 v54, v51
	s_xor_b64 exec, exec, s[12:13]
	s_cbranch_execz .LBB3_26
; %bb.25:                               ;   in Loop: Header=BB3_2 Depth=1
	ds_read_b32 v54, v53 offset:4
	s_waitcnt lgkmcnt(1)
	v_mov_b32_e32 v52, v50
.LBB3_26:                               ;   in Loop: Header=BB3_2 Depth=1
	s_or_b64 exec, exec, s[12:13]
	v_add_u32_e32 v53, 1, v49
	v_cndmask_b32_e64 v50, v50, v51, s[10:11]
	v_add_u32_e32 v51, 1, v48
	v_cndmask_b32_e64 v53, v53, v49, s[10:11]
	v_cndmask_b32_e64 v51, v48, v51, s[10:11]
	v_cmp_ge_i32_e64 s[12:13], v53, v13
	s_waitcnt lgkmcnt(0)
	v_cmp_lt_i32_e64 s[14:15], v54, v52
	v_cndmask_b32_e64 v48, v49, v48, s[10:11]
	v_cmp_lt_i32_e64 s[10:11], v51, v14
	s_or_b64 s[12:13], s[12:13], s[14:15]
	s_and_b64 s[10:11], s[10:11], s[12:13]
	v_cndmask_b32_e64 v51, v53, v51, s[10:11]
	; wave barrier
	ds_write2_b32 v39, v46, v47 offset1:1
	v_lshlrev_b32_e32 v46, 2, v48
	v_lshlrev_b32_e32 v47, 2, v51
	s_waitcnt lgkmcnt(0)
	; wave barrier
	ds_read_b32 v46, v46
	ds_read_b32 v47, v47
	v_cndmask_b32_e64 v49, v52, v54, s[10:11]
	s_waitcnt lgkmcnt(0)
	; wave barrier
	ds_write2_b32 v39, v50, v49 offset1:1
	v_mov_b32_e32 v49, v37
	s_waitcnt lgkmcnt(0)
	; wave barrier
	s_and_saveexec_b64 s[12:13], s[6:7]
	s_cbranch_execz .LBB3_30
; %bb.27:                               ;   in Loop: Header=BB3_2 Depth=1
	s_mov_b64 s[14:15], 0
	v_mov_b32_e32 v49, v37
	v_mov_b32_e32 v48, v32
.LBB3_28:                               ;   Parent Loop BB3_2 Depth=1
                                        ; =>  This Inner Loop Header: Depth=2
	v_sub_u32_e32 v50, v48, v49
	v_lshrrev_b32_e32 v50, 1, v50
	v_add_u32_e32 v50, v50, v49
	v_not_b32_e32 v52, v50
	v_lshl_add_u32 v51, v50, 2, v43
	v_lshl_add_u32 v52, v52, 2, v27
	ds_read_b32 v51, v51
	ds_read_b32 v52, v52
	v_add_u32_e32 v53, 1, v50
	s_waitcnt lgkmcnt(0)
	v_cmp_lt_i32_e64 s[10:11], v52, v51
	v_cndmask_b32_e64 v48, v48, v50, s[10:11]
	v_cndmask_b32_e64 v49, v53, v49, s[10:11]
	v_cmp_ge_i32_e64 s[10:11], v49, v48
	s_or_b64 s[14:15], s[10:11], s[14:15]
	s_andn2_b64 exec, exec, s[14:15]
	s_cbranch_execnz .LBB3_28
; %bb.29:                               ;   in Loop: Header=BB3_2 Depth=1
	s_or_b64 exec, exec, s[14:15]
.LBB3_30:                               ;   in Loop: Header=BB3_2 Depth=1
	s_or_b64 exec, exec, s[12:13]
	v_sub_u32_e32 v48, v22, v49
	v_lshl_add_u32 v54, v49, 2, v43
	v_lshlrev_b32_e32 v53, 2, v48
	ds_read_b32 v50, v54
	ds_read_b32 v51, v53
	v_add_u32_e32 v49, v49, v4
	v_cmp_le_i32_e64 s[12:13], v15, v49
	v_cmp_gt_i32_e64 s[10:11], v16, v48
                                        ; implicit-def: $vgpr52
	s_waitcnt lgkmcnt(0)
	v_cmp_lt_i32_e64 s[14:15], v51, v50
	s_or_b64 s[12:13], s[12:13], s[14:15]
	s_and_b64 s[10:11], s[10:11], s[12:13]
	s_xor_b64 s[12:13], s[10:11], -1
	s_and_saveexec_b64 s[14:15], s[12:13]
	s_xor_b64 s[12:13], exec, s[14:15]
; %bb.31:                               ;   in Loop: Header=BB3_2 Depth=1
	ds_read_b32 v52, v54 offset:4
                                        ; implicit-def: $vgpr53
; %bb.32:                               ;   in Loop: Header=BB3_2 Depth=1
	s_or_saveexec_b64 s[12:13], s[12:13]
	v_mov_b32_e32 v54, v51
	s_xor_b64 exec, exec, s[12:13]
	s_cbranch_execz .LBB3_34
; %bb.33:                               ;   in Loop: Header=BB3_2 Depth=1
	ds_read_b32 v54, v53 offset:4
	s_waitcnt lgkmcnt(1)
	v_mov_b32_e32 v52, v50
.LBB3_34:                               ;   in Loop: Header=BB3_2 Depth=1
	s_or_b64 exec, exec, s[12:13]
	v_add_u32_e32 v53, 1, v49
	v_cndmask_b32_e64 v50, v50, v51, s[10:11]
	v_add_u32_e32 v51, 1, v48
	v_cndmask_b32_e64 v53, v53, v49, s[10:11]
	v_cndmask_b32_e64 v51, v48, v51, s[10:11]
	v_cmp_ge_i32_e64 s[12:13], v53, v15
	s_waitcnt lgkmcnt(0)
	v_cmp_lt_i32_e64 s[14:15], v54, v52
	v_cndmask_b32_e64 v48, v49, v48, s[10:11]
	v_cmp_lt_i32_e64 s[10:11], v51, v16
	s_or_b64 s[12:13], s[12:13], s[14:15]
	s_and_b64 s[10:11], s[10:11], s[12:13]
	v_cndmask_b32_e64 v51, v53, v51, s[10:11]
	; wave barrier
	ds_write2_b32 v39, v46, v47 offset1:1
	v_lshlrev_b32_e32 v46, 2, v48
	v_lshlrev_b32_e32 v47, 2, v51
	s_waitcnt lgkmcnt(0)
	; wave barrier
	ds_read_b32 v46, v46
	ds_read_b32 v47, v47
	v_cndmask_b32_e64 v49, v52, v54, s[10:11]
	s_waitcnt lgkmcnt(0)
	; wave barrier
	ds_write2_b32 v39, v50, v49 offset1:1
	v_mov_b32_e32 v49, v38
	s_waitcnt lgkmcnt(0)
	; wave barrier
	s_and_saveexec_b64 s[12:13], s[8:9]
	s_cbranch_execz .LBB3_38
; %bb.35:                               ;   in Loop: Header=BB3_2 Depth=1
	s_mov_b64 s[14:15], 0
	v_mov_b32_e32 v49, v38
	v_mov_b32_e32 v48, v33
.LBB3_36:                               ;   Parent Loop BB3_2 Depth=1
                                        ; =>  This Inner Loop Header: Depth=2
	v_sub_u32_e32 v50, v48, v49
	v_lshrrev_b32_e32 v50, 1, v50
	v_add_u32_e32 v50, v50, v49
	v_not_b32_e32 v52, v50
	v_lshl_add_u32 v51, v50, 2, v44
	v_lshl_add_u32 v52, v52, 2, v28
	ds_read_b32 v51, v51
	ds_read_b32 v52, v52
	v_add_u32_e32 v53, 1, v50
	s_waitcnt lgkmcnt(0)
	v_cmp_lt_i32_e64 s[10:11], v52, v51
	v_cndmask_b32_e64 v48, v48, v50, s[10:11]
	v_cndmask_b32_e64 v49, v53, v49, s[10:11]
	v_cmp_ge_i32_e64 s[10:11], v49, v48
	s_or_b64 s[14:15], s[10:11], s[14:15]
	s_andn2_b64 exec, exec, s[14:15]
	s_cbranch_execnz .LBB3_36
; %bb.37:                               ;   in Loop: Header=BB3_2 Depth=1
	s_or_b64 exec, exec, s[14:15]
.LBB3_38:                               ;   in Loop: Header=BB3_2 Depth=1
	s_or_b64 exec, exec, s[12:13]
	v_sub_u32_e32 v48, v23, v49
	v_lshl_add_u32 v54, v49, 2, v44
	v_lshlrev_b32_e32 v53, 2, v48
	ds_read_b32 v50, v54
	ds_read_b32 v51, v53
	v_add_u32_e32 v49, v49, v5
	v_cmp_le_i32_e64 s[12:13], v17, v49
	v_cmp_gt_i32_e64 s[10:11], v18, v48
                                        ; implicit-def: $vgpr52
	s_waitcnt lgkmcnt(0)
	v_cmp_lt_i32_e64 s[14:15], v51, v50
	s_or_b64 s[12:13], s[12:13], s[14:15]
	s_and_b64 s[10:11], s[10:11], s[12:13]
	s_xor_b64 s[12:13], s[10:11], -1
	s_and_saveexec_b64 s[14:15], s[12:13]
	s_xor_b64 s[12:13], exec, s[14:15]
; %bb.39:                               ;   in Loop: Header=BB3_2 Depth=1
	ds_read_b32 v52, v54 offset:4
                                        ; implicit-def: $vgpr53
; %bb.40:                               ;   in Loop: Header=BB3_2 Depth=1
	s_or_saveexec_b64 s[12:13], s[12:13]
	v_mov_b32_e32 v54, v51
	s_xor_b64 exec, exec, s[12:13]
	s_cbranch_execz .LBB3_42
; %bb.41:                               ;   in Loop: Header=BB3_2 Depth=1
	ds_read_b32 v54, v53 offset:4
	s_waitcnt lgkmcnt(1)
	v_mov_b32_e32 v52, v50
.LBB3_42:                               ;   in Loop: Header=BB3_2 Depth=1
	s_or_b64 exec, exec, s[12:13]
	v_add_u32_e32 v53, 1, v49
	v_cndmask_b32_e64 v50, v50, v51, s[10:11]
	v_add_u32_e32 v51, 1, v48
	v_cndmask_b32_e64 v53, v53, v49, s[10:11]
	v_cndmask_b32_e64 v51, v48, v51, s[10:11]
	v_cmp_ge_i32_e64 s[12:13], v53, v17
	s_waitcnt lgkmcnt(0)
	v_cmp_lt_i32_e64 s[14:15], v54, v52
	v_cndmask_b32_e64 v48, v49, v48, s[10:11]
	v_cmp_lt_i32_e64 s[10:11], v51, v18
	s_or_b64 s[12:13], s[12:13], s[14:15]
	s_and_b64 s[10:11], s[10:11], s[12:13]
	v_cndmask_b32_e64 v51, v53, v51, s[10:11]
	; wave barrier
	ds_write2_b32 v39, v46, v47 offset1:1
	v_lshlrev_b32_e32 v46, 2, v48
	v_lshlrev_b32_e32 v48, 2, v51
	s_waitcnt lgkmcnt(0)
	; wave barrier
	ds_read_b32 v47, v46
	ds_read_b32 v48, v48
	v_cndmask_b32_e64 v49, v52, v54, s[10:11]
	v_mov_b32_e32 v46, v6
	s_waitcnt lgkmcnt(0)
	; wave barrier
	ds_write2_b32 v39, v50, v49 offset1:1
	s_waitcnt lgkmcnt(0)
	; wave barrier
	s_and_saveexec_b64 s[12:13], vcc
	s_cbranch_execz .LBB3_46
; %bb.43:                               ;   in Loop: Header=BB3_2 Depth=1
	s_mov_b64 s[14:15], 0
	v_mov_b32_e32 v46, v6
	v_mov_b32_e32 v49, v7
.LBB3_44:                               ;   Parent Loop BB3_2 Depth=1
                                        ; =>  This Inner Loop Header: Depth=2
	v_sub_u32_e32 v50, v49, v46
	v_lshrrev_b32_e32 v50, 1, v50
	v_add_u32_e32 v50, v50, v46
	v_not_b32_e32 v52, v50
	v_lshlrev_b32_e32 v51, 2, v50
	v_lshl_add_u32 v52, v52, 2, v45
	ds_read_b32 v51, v51
	ds_read_b32 v52, v52
	v_add_u32_e32 v53, 1, v50
	s_waitcnt lgkmcnt(0)
	v_cmp_lt_i32_e64 s[10:11], v52, v51
	v_cndmask_b32_e64 v49, v49, v50, s[10:11]
	v_cndmask_b32_e64 v46, v53, v46, s[10:11]
	v_cmp_ge_i32_e64 s[10:11], v46, v49
	s_or_b64 s[14:15], s[10:11], s[14:15]
	s_andn2_b64 exec, exec, s[14:15]
	s_cbranch_execnz .LBB3_44
; %bb.45:                               ;   in Loop: Header=BB3_2 Depth=1
	s_or_b64 exec, exec, s[14:15]
.LBB3_46:                               ;   in Loop: Header=BB3_2 Depth=1
	s_or_b64 exec, exec, s[12:13]
	v_sub_u32_e32 v49, v8, v46
	v_lshlrev_b32_e32 v55, 2, v46
	v_lshlrev_b32_e32 v54, 2, v49
	ds_read_b32 v50, v55
	ds_read_b32 v51, v54
	v_cmp_le_i32_e64 s[12:13], 64, v46
	v_cmp_gt_i32_e64 s[10:11], s22, v49
                                        ; implicit-def: $vgpr53
                                        ; implicit-def: $vgpr52
	s_waitcnt lgkmcnt(0)
	v_cmp_lt_i32_e64 s[14:15], v51, v50
	s_or_b64 s[12:13], s[12:13], s[14:15]
	s_and_b64 s[10:11], s[10:11], s[12:13]
	s_xor_b64 s[12:13], s[10:11], -1
	s_and_saveexec_b64 s[14:15], s[12:13]
	s_xor_b64 s[12:13], exec, s[14:15]
; %bb.47:                               ;   in Loop: Header=BB3_2 Depth=1
	ds_read_b32 v53, v55 offset:4
	v_add_u32_e32 v52, 1, v46
                                        ; implicit-def: $vgpr54
; %bb.48:                               ;   in Loop: Header=BB3_2 Depth=1
	s_or_saveexec_b64 s[12:13], s[12:13]
	v_mov_b32_e32 v55, v46
	v_mov_b32_e32 v56, v51
	s_xor_b64 exec, exec, s[12:13]
	s_cbranch_execz .LBB3_1
; %bb.49:                               ;   in Loop: Header=BB3_2 Depth=1
	ds_read_b32 v56, v54 offset:4
	s_waitcnt lgkmcnt(1)
	v_add_u32_e32 v53, 1, v49
	v_mov_b32_e32 v55, v49
	v_mov_b32_e32 v52, v46
	;; [unrolled: 1-line block ×4, first 2 shown]
	s_branch .LBB3_1
.LBB3_50:
	s_add_u32 s0, s18, s20
	s_waitcnt lgkmcnt(1)
	v_add_u32_e32 v1, v47, v48
	s_addc_u32 s1, s19, s21
	v_lshlrev_b32_e32 v0, 2, v0
	s_waitcnt lgkmcnt(0)
	v_add_u32_e32 v2, v46, v49
	global_store_dword v0, v1, s[0:1]
	global_store_dword v0, v2, s[0:1] offset:256
	s_endpgm
	.section	.rodata,"a",@progbits
	.p2align	6, 0x0
	.amdhsa_kernel _Z17sort_pairs_kernelIiLj64ELj2EN10test_utils4lessELj10EEvPKT_PS2_T2_
		.amdhsa_group_segment_fixed_size 516
		.amdhsa_private_segment_fixed_size 0
		.amdhsa_kernarg_size 20
		.amdhsa_user_sgpr_count 6
		.amdhsa_user_sgpr_private_segment_buffer 1
		.amdhsa_user_sgpr_dispatch_ptr 0
		.amdhsa_user_sgpr_queue_ptr 0
		.amdhsa_user_sgpr_kernarg_segment_ptr 1
		.amdhsa_user_sgpr_dispatch_id 0
		.amdhsa_user_sgpr_flat_scratch_init 0
		.amdhsa_user_sgpr_private_segment_size 0
		.amdhsa_uses_dynamic_stack 0
		.amdhsa_system_sgpr_private_segment_wavefront_offset 0
		.amdhsa_system_sgpr_workgroup_id_x 1
		.amdhsa_system_sgpr_workgroup_id_y 0
		.amdhsa_system_sgpr_workgroup_id_z 0
		.amdhsa_system_sgpr_workgroup_info 0
		.amdhsa_system_vgpr_workitem_id 0
		.amdhsa_next_free_vgpr 57
		.amdhsa_next_free_sgpr 24
		.amdhsa_reserve_vcc 1
		.amdhsa_reserve_flat_scratch 0
		.amdhsa_float_round_mode_32 0
		.amdhsa_float_round_mode_16_64 0
		.amdhsa_float_denorm_mode_32 3
		.amdhsa_float_denorm_mode_16_64 3
		.amdhsa_dx10_clamp 1
		.amdhsa_ieee_mode 1
		.amdhsa_fp16_overflow 0
		.amdhsa_exception_fp_ieee_invalid_op 0
		.amdhsa_exception_fp_denorm_src 0
		.amdhsa_exception_fp_ieee_div_zero 0
		.amdhsa_exception_fp_ieee_overflow 0
		.amdhsa_exception_fp_ieee_underflow 0
		.amdhsa_exception_fp_ieee_inexact 0
		.amdhsa_exception_int_div_zero 0
	.end_amdhsa_kernel
	.section	.text._Z17sort_pairs_kernelIiLj64ELj2EN10test_utils4lessELj10EEvPKT_PS2_T2_,"axG",@progbits,_Z17sort_pairs_kernelIiLj64ELj2EN10test_utils4lessELj10EEvPKT_PS2_T2_,comdat
.Lfunc_end3:
	.size	_Z17sort_pairs_kernelIiLj64ELj2EN10test_utils4lessELj10EEvPKT_PS2_T2_, .Lfunc_end3-_Z17sort_pairs_kernelIiLj64ELj2EN10test_utils4lessELj10EEvPKT_PS2_T2_
                                        ; -- End function
	.set _Z17sort_pairs_kernelIiLj64ELj2EN10test_utils4lessELj10EEvPKT_PS2_T2_.num_vgpr, 57
	.set _Z17sort_pairs_kernelIiLj64ELj2EN10test_utils4lessELj10EEvPKT_PS2_T2_.num_agpr, 0
	.set _Z17sort_pairs_kernelIiLj64ELj2EN10test_utils4lessELj10EEvPKT_PS2_T2_.numbered_sgpr, 24
	.set _Z17sort_pairs_kernelIiLj64ELj2EN10test_utils4lessELj10EEvPKT_PS2_T2_.num_named_barrier, 0
	.set _Z17sort_pairs_kernelIiLj64ELj2EN10test_utils4lessELj10EEvPKT_PS2_T2_.private_seg_size, 0
	.set _Z17sort_pairs_kernelIiLj64ELj2EN10test_utils4lessELj10EEvPKT_PS2_T2_.uses_vcc, 1
	.set _Z17sort_pairs_kernelIiLj64ELj2EN10test_utils4lessELj10EEvPKT_PS2_T2_.uses_flat_scratch, 0
	.set _Z17sort_pairs_kernelIiLj64ELj2EN10test_utils4lessELj10EEvPKT_PS2_T2_.has_dyn_sized_stack, 0
	.set _Z17sort_pairs_kernelIiLj64ELj2EN10test_utils4lessELj10EEvPKT_PS2_T2_.has_recursion, 0
	.set _Z17sort_pairs_kernelIiLj64ELj2EN10test_utils4lessELj10EEvPKT_PS2_T2_.has_indirect_call, 0
	.section	.AMDGPU.csdata,"",@progbits
; Kernel info:
; codeLenInByte = 3012
; TotalNumSgprs: 28
; NumVgprs: 57
; ScratchSize: 0
; MemoryBound: 0
; FloatMode: 240
; IeeeMode: 1
; LDSByteSize: 516 bytes/workgroup (compile time only)
; SGPRBlocks: 3
; VGPRBlocks: 14
; NumSGPRsForWavesPerEU: 28
; NumVGPRsForWavesPerEU: 57
; Occupancy: 4
; WaveLimiterHint : 1
; COMPUTE_PGM_RSRC2:SCRATCH_EN: 0
; COMPUTE_PGM_RSRC2:USER_SGPR: 6
; COMPUTE_PGM_RSRC2:TRAP_HANDLER: 0
; COMPUTE_PGM_RSRC2:TGID_X_EN: 1
; COMPUTE_PGM_RSRC2:TGID_Y_EN: 0
; COMPUTE_PGM_RSRC2:TGID_Z_EN: 0
; COMPUTE_PGM_RSRC2:TIDIG_COMP_CNT: 0
	.section	.text._Z16sort_keys_kernelIiLj64ELj3EN10test_utils4lessELj10EEvPKT_PS2_T2_,"axG",@progbits,_Z16sort_keys_kernelIiLj64ELj3EN10test_utils4lessELj10EEvPKT_PS2_T2_,comdat
	.protected	_Z16sort_keys_kernelIiLj64ELj3EN10test_utils4lessELj10EEvPKT_PS2_T2_ ; -- Begin function _Z16sort_keys_kernelIiLj64ELj3EN10test_utils4lessELj10EEvPKT_PS2_T2_
	.globl	_Z16sort_keys_kernelIiLj64ELj3EN10test_utils4lessELj10EEvPKT_PS2_T2_
	.p2align	8
	.type	_Z16sort_keys_kernelIiLj64ELj3EN10test_utils4lessELj10EEvPKT_PS2_T2_,@function
_Z16sort_keys_kernelIiLj64ELj3EN10test_utils4lessELj10EEvPKT_PS2_T2_: ; @_Z16sort_keys_kernelIiLj64ELj3EN10test_utils4lessELj10EEvPKT_PS2_T2_
; %bb.0:
	s_load_dwordx4 s[16:19], s[4:5], 0x0
	s_mul_i32 s22, s6, 0xc0
	s_mov_b32 s23, 0
	s_lshl_b64 s[20:21], s[22:23], 2
	v_and_b32_e32 v7, 48, v0
	s_waitcnt lgkmcnt(0)
	s_add_u32 s0, s16, s20
	v_mul_u32_u24_e32 v29, 3, v7
	s_addc_u32 s1, s17, s21
	v_lshlrev_b32_e32 v7, 2, v0
	global_load_dword v53, v7, s[0:1]
	global_load_dword v54, v7, s[0:1] offset:256
	global_load_dword v55, v7, s[0:1] offset:512
	v_and_b32_e32 v1, 62, v0
	v_and_b32_e32 v3, 60, v0
	;; [unrolled: 1-line block ×4, first 2 shown]
	v_mul_u32_u24_e32 v11, 3, v1
	v_mul_u32_u24_e32 v17, 3, v3
	;; [unrolled: 1-line block ×4, first 2 shown]
	v_and_b32_e32 v1, 1, v0
	v_min_u32_e32 v15, 0xbd, v11
	v_min_u32_e32 v2, 0xba, v11
	;; [unrolled: 1-line block ×10, first 2 shown]
	v_cmp_eq_u32_e32 vcc, 1, v1
	v_add_u32_e32 v1, 3, v15
	v_add_u32_e32 v2, 6, v2
	v_and_b32_e32 v22, 3, v0
	v_add_u32_e32 v3, 6, v21
	v_add_u32_e32 v4, 12, v4
	v_and_b32_e32 v28, 7, v0
	v_add_u32_e32 v5, 12, v27
	v_add_u32_e32 v6, 24, v6
	;; [unrolled: 1-line block ×3, first 2 shown]
	v_and_b32_e32 v34, 15, v0
	v_add_u32_e32 v8, 24, v33
	v_add_u32_e32 v9, 0x60, v9
	v_and_b32_e32 v40, 31, v0
	v_add_u32_e32 v10, 48, v39
	v_cndmask_b32_e64 v16, 0, 3, vcc
	v_sub_u32_e32 v12, v2, v1
	v_mul_u32_u24_e32 v20, 3, v22
	v_sub_u32_e32 v18, v4, v3
	v_mul_u32_u24_e32 v26, 3, v28
	;; [unrolled: 2-line block ×4, first 2 shown]
	v_sub_u32_e32 v36, v9, v10
	v_sub_u32_e32 v13, v16, v12
	;; [unrolled: 1-line block ×6, first 2 shown]
	v_min_u32_e32 v11, 0xc0, v11
	v_cmp_ge_i32_e32 vcc, v16, v12
	v_min_u32_e32 v17, 0xc0, v17
	v_cmp_ge_i32_e64 s[0:1], v20, v18
	v_min_u32_e32 v23, 0xc0, v23
	v_cmp_ge_i32_e64 s[2:3], v26, v24
	;; [unrolled: 2-line block ×4, first 2 shown]
	v_cndmask_b32_e32 v12, 0, v13, vcc
	v_sub_u32_e32 v13, v1, v11
	v_cndmask_b32_e64 v18, 0, v19, s[0:1]
	v_sub_u32_e32 v19, v3, v17
	v_cndmask_b32_e64 v24, 0, v25, s[2:3]
	;; [unrolled: 2-line block ×4, first 2 shown]
	v_sub_u32_e32 v37, v10, v35
	v_mov_b32_e32 v41, 0x60
	v_mul_u32_u24_e32 v42, 3, v0
	v_min_i32_e32 v13, v16, v13
	v_lshlrev_b32_e32 v14, 2, v16
	v_min_i32_e32 v19, v20, v19
	v_lshlrev_b32_e32 v20, 2, v20
	;; [unrolled: 2-line block ×5, first 2 shown]
	v_sub_u32_e64 v43, v42, v41 clamp
	v_min_i32_e32 v44, 0x60, v42
	s_movk_i32 s22, 0xc0
	v_cmp_lt_i32_e32 vcc, v12, v13
	v_lshl_add_u32 v14, v15, 2, v14
	v_add_u32_e32 v15, v15, v16
	v_add_u32_e32 v16, v1, v16
	v_cmp_lt_i32_e64 s[0:1], v18, v19
	v_lshl_add_u32 v20, v21, 2, v20
	v_mad_u32_u24 v21, v22, 3, v21
	v_mad_u32_u24 v22, v22, 3, v3
	v_cmp_lt_i32_e64 s[2:3], v24, v25
	v_lshl_add_u32 v26, v27, 2, v26
	v_mad_u32_u24 v27, v28, 3, v27
	v_mad_u32_u24 v28, v28, 3, v5
	;; [unrolled: 4-line block ×4, first 2 shown]
	v_cmp_lt_i32_e64 s[8:9], v43, v44
	v_mul_u32_u24_e32 v45, 12, v0
	v_lshlrev_b32_e32 v46, 2, v11
	v_lshlrev_b32_e32 v47, 2, v17
	;; [unrolled: 1-line block ×5, first 2 shown]
	v_mad_u32_u24 v51, v0, 3, v41
	v_lshlrev_b32_e32 v52, 2, v42
	s_branch .LBB4_2
.LBB4_1:                                ;   in Loop: Header=BB4_2 Depth=1
	s_or_b64 exec, exec, s[14:15]
	v_cndmask_b32_e64 v53, v53, v54, s[10:11]
	v_cndmask_b32_e64 v54, v56, v57, s[12:13]
	v_cmp_ge_i32_e64 s[12:13], v60, v41
	s_waitcnt lgkmcnt(0)
	v_cmp_lt_i32_e64 s[14:15], v61, v55
	v_cmp_gt_i32_e64 s[10:11], s22, v58
	s_or_b64 s[12:13], s[12:13], s[14:15]
	s_and_b64 s[10:11], s[10:11], s[12:13]
	s_add_i32 s23, s23, 1
	s_cmp_eq_u32 s23, 10
	v_cndmask_b32_e64 v55, v55, v61, s[10:11]
	s_cbranch_scc1 .LBB4_74
.LBB4_2:                                ; =>This Loop Header: Depth=1
                                        ;     Child Loop BB4_4 Depth 2
                                        ;     Child Loop BB4_16 Depth 2
                                        ;     Child Loop BB4_28 Depth 2
                                        ;     Child Loop BB4_40 Depth 2
                                        ;     Child Loop BB4_52 Depth 2
                                        ;     Child Loop BB4_64 Depth 2
	s_waitcnt vmcnt(1)
	v_cmp_lt_i32_e64 s[10:11], v54, v53
	v_cndmask_b32_e64 v56, v53, v54, s[10:11]
	v_cndmask_b32_e64 v57, v54, v53, s[10:11]
	v_min_i32_e32 v58, v54, v53
	v_max_i32_e32 v53, v54, v53
	s_waitcnt vmcnt(0)
	v_cmp_lt_i32_e64 s[10:11], v55, v53
	v_cndmask_b32_e64 v54, v55, v53, s[10:11]
	v_cndmask_b32_e64 v57, v57, v55, s[10:11]
	v_min_i32_e32 v53, v55, v53
	v_cmp_lt_i32_e64 s[10:11], v55, v58
	v_cndmask_b32_e64 v53, v56, v53, s[10:11]
	v_cndmask_b32_e64 v55, v57, v58, s[10:11]
	; wave barrier
	ds_write2_b32 v45, v53, v55 offset1:1
	ds_write_b32 v45, v54 offset:8
	v_mov_b32_e32 v55, v12
	s_waitcnt lgkmcnt(0)
	; wave barrier
	s_and_saveexec_b64 s[12:13], vcc
	s_cbranch_execz .LBB4_6
; %bb.3:                                ;   in Loop: Header=BB4_2 Depth=1
	s_mov_b64 s[14:15], 0
	v_mov_b32_e32 v55, v12
	v_mov_b32_e32 v53, v13
.LBB4_4:                                ;   Parent Loop BB4_2 Depth=1
                                        ; =>  This Inner Loop Header: Depth=2
	v_sub_u32_e32 v54, v53, v55
	v_lshrrev_b32_e32 v54, 1, v54
	v_add_u32_e32 v54, v54, v55
	v_not_b32_e32 v57, v54
	v_lshl_add_u32 v56, v54, 2, v46
	v_lshl_add_u32 v57, v57, 2, v14
	ds_read_b32 v56, v56
	ds_read_b32 v57, v57 offset:12
	v_add_u32_e32 v58, 1, v54
	s_waitcnt lgkmcnt(0)
	v_cmp_lt_i32_e64 s[10:11], v57, v56
	v_cndmask_b32_e64 v53, v53, v54, s[10:11]
	v_cndmask_b32_e64 v55, v58, v55, s[10:11]
	v_cmp_ge_i32_e64 s[10:11], v55, v53
	s_or_b64 s[14:15], s[10:11], s[14:15]
	s_andn2_b64 exec, exec, s[14:15]
	s_cbranch_execnz .LBB4_4
; %bb.5:                                ;   in Loop: Header=BB4_2 Depth=1
	s_or_b64 exec, exec, s[14:15]
.LBB4_6:                                ;   in Loop: Header=BB4_2 Depth=1
	s_or_b64 exec, exec, s[12:13]
	v_lshl_add_u32 v56, v55, 2, v46
	v_sub_u32_e32 v53, v15, v55
	v_lshlrev_b32_e32 v59, 2, v53
	ds_read_b32 v53, v56
	ds_read_b32 v54, v59 offset:12
	v_add_u32_e32 v57, v55, v11
	v_sub_u32_e32 v58, v16, v55
	v_cmp_le_i32_e64 s[12:13], v1, v57
	v_cmp_gt_i32_e64 s[10:11], v2, v58
	s_waitcnt lgkmcnt(0)
	v_cmp_lt_i32_e64 s[14:15], v54, v53
	s_or_b64 s[12:13], s[12:13], s[14:15]
	s_and_b64 s[10:11], s[10:11], s[12:13]
	s_xor_b64 s[12:13], s[10:11], -1
                                        ; implicit-def: $vgpr55
	s_and_saveexec_b64 s[14:15], s[12:13]
	s_xor_b64 s[12:13], exec, s[14:15]
; %bb.7:                                ;   in Loop: Header=BB4_2 Depth=1
	ds_read_b32 v55, v56 offset:4
                                        ; implicit-def: $vgpr59
; %bb.8:                                ;   in Loop: Header=BB4_2 Depth=1
	s_or_saveexec_b64 s[12:13], s[12:13]
	v_mov_b32_e32 v56, v54
	s_xor_b64 exec, exec, s[12:13]
	s_cbranch_execz .LBB4_10
; %bb.9:                                ;   in Loop: Header=BB4_2 Depth=1
	ds_read_b32 v56, v59 offset:16
	s_waitcnt lgkmcnt(1)
	v_mov_b32_e32 v55, v53
.LBB4_10:                               ;   in Loop: Header=BB4_2 Depth=1
	s_or_b64 exec, exec, s[12:13]
	v_add_u32_e32 v60, 1, v57
	v_add_u32_e32 v59, 1, v58
	v_cndmask_b32_e64 v57, v60, v57, s[10:11]
	v_cndmask_b32_e64 v58, v58, v59, s[10:11]
	v_cmp_ge_i32_e64 s[14:15], v57, v1
	s_waitcnt lgkmcnt(0)
	v_cmp_lt_i32_e64 s[16:17], v56, v55
	v_cmp_lt_i32_e64 s[12:13], v58, v2
	s_or_b64 s[14:15], s[14:15], s[16:17]
	s_and_b64 s[12:13], s[12:13], s[14:15]
	s_xor_b64 s[14:15], s[12:13], -1
                                        ; implicit-def: $vgpr59
	s_and_saveexec_b64 s[16:17], s[14:15]
	s_xor_b64 s[14:15], exec, s[16:17]
; %bb.11:                               ;   in Loop: Header=BB4_2 Depth=1
	v_lshlrev_b32_e32 v59, 2, v57
	ds_read_b32 v59, v59 offset:4
; %bb.12:                               ;   in Loop: Header=BB4_2 Depth=1
	s_or_saveexec_b64 s[14:15], s[14:15]
	v_mov_b32_e32 v60, v56
	s_xor_b64 exec, exec, s[14:15]
	s_cbranch_execz .LBB4_14
; %bb.13:                               ;   in Loop: Header=BB4_2 Depth=1
	s_waitcnt lgkmcnt(0)
	v_lshlrev_b32_e32 v59, 2, v58
	ds_read_b32 v60, v59 offset:4
	v_mov_b32_e32 v59, v55
.LBB4_14:                               ;   in Loop: Header=BB4_2 Depth=1
	s_or_b64 exec, exec, s[14:15]
	v_add_u32_e32 v61, 1, v57
	v_cndmask_b32_e64 v55, v55, v56, s[12:13]
	v_add_u32_e32 v56, 1, v58
	v_cndmask_b32_e64 v57, v61, v57, s[12:13]
	v_cndmask_b32_e64 v56, v58, v56, s[12:13]
	v_cmp_ge_i32_e64 s[12:13], v57, v1
	s_waitcnt lgkmcnt(0)
	v_cmp_lt_i32_e64 s[14:15], v60, v59
	v_cndmask_b32_e64 v53, v53, v54, s[10:11]
	v_cmp_lt_i32_e64 s[10:11], v56, v2
	s_or_b64 s[12:13], s[12:13], s[14:15]
	s_and_b64 s[10:11], s[10:11], s[12:13]
	v_cndmask_b32_e64 v54, v59, v60, s[10:11]
	; wave barrier
	ds_write2_b32 v45, v53, v55 offset1:1
	ds_write_b32 v45, v54 offset:8
	v_mov_b32_e32 v55, v18
	s_waitcnt lgkmcnt(0)
	; wave barrier
	s_and_saveexec_b64 s[12:13], s[0:1]
	s_cbranch_execz .LBB4_18
; %bb.15:                               ;   in Loop: Header=BB4_2 Depth=1
	s_mov_b64 s[14:15], 0
	v_mov_b32_e32 v55, v18
	v_mov_b32_e32 v53, v19
.LBB4_16:                               ;   Parent Loop BB4_2 Depth=1
                                        ; =>  This Inner Loop Header: Depth=2
	v_sub_u32_e32 v54, v53, v55
	v_lshrrev_b32_e32 v54, 1, v54
	v_add_u32_e32 v54, v54, v55
	v_not_b32_e32 v57, v54
	v_lshl_add_u32 v56, v54, 2, v47
	v_lshl_add_u32 v57, v57, 2, v20
	ds_read_b32 v56, v56
	ds_read_b32 v57, v57 offset:24
	v_add_u32_e32 v58, 1, v54
	s_waitcnt lgkmcnt(0)
	v_cmp_lt_i32_e64 s[10:11], v57, v56
	v_cndmask_b32_e64 v53, v53, v54, s[10:11]
	v_cndmask_b32_e64 v55, v58, v55, s[10:11]
	v_cmp_ge_i32_e64 s[10:11], v55, v53
	s_or_b64 s[14:15], s[10:11], s[14:15]
	s_andn2_b64 exec, exec, s[14:15]
	s_cbranch_execnz .LBB4_16
; %bb.17:                               ;   in Loop: Header=BB4_2 Depth=1
	s_or_b64 exec, exec, s[14:15]
.LBB4_18:                               ;   in Loop: Header=BB4_2 Depth=1
	s_or_b64 exec, exec, s[12:13]
	v_lshl_add_u32 v56, v55, 2, v47
	v_sub_u32_e32 v53, v21, v55
	v_lshlrev_b32_e32 v59, 2, v53
	ds_read_b32 v53, v56
	ds_read_b32 v54, v59 offset:24
	v_add_u32_e32 v57, v55, v17
	v_sub_u32_e32 v58, v22, v55
	v_cmp_le_i32_e64 s[12:13], v3, v57
	v_cmp_gt_i32_e64 s[10:11], v4, v58
	s_waitcnt lgkmcnt(0)
	v_cmp_lt_i32_e64 s[14:15], v54, v53
	s_or_b64 s[12:13], s[12:13], s[14:15]
	s_and_b64 s[10:11], s[10:11], s[12:13]
	s_xor_b64 s[12:13], s[10:11], -1
                                        ; implicit-def: $vgpr55
	s_and_saveexec_b64 s[14:15], s[12:13]
	s_xor_b64 s[12:13], exec, s[14:15]
; %bb.19:                               ;   in Loop: Header=BB4_2 Depth=1
	ds_read_b32 v55, v56 offset:4
                                        ; implicit-def: $vgpr59
; %bb.20:                               ;   in Loop: Header=BB4_2 Depth=1
	s_or_saveexec_b64 s[12:13], s[12:13]
	v_mov_b32_e32 v56, v54
	s_xor_b64 exec, exec, s[12:13]
	s_cbranch_execz .LBB4_22
; %bb.21:                               ;   in Loop: Header=BB4_2 Depth=1
	ds_read_b32 v56, v59 offset:28
	s_waitcnt lgkmcnt(1)
	v_mov_b32_e32 v55, v53
.LBB4_22:                               ;   in Loop: Header=BB4_2 Depth=1
	s_or_b64 exec, exec, s[12:13]
	v_add_u32_e32 v60, 1, v57
	v_add_u32_e32 v59, 1, v58
	v_cndmask_b32_e64 v57, v60, v57, s[10:11]
	v_cndmask_b32_e64 v58, v58, v59, s[10:11]
	v_cmp_ge_i32_e64 s[14:15], v57, v3
	s_waitcnt lgkmcnt(0)
	v_cmp_lt_i32_e64 s[16:17], v56, v55
	v_cmp_lt_i32_e64 s[12:13], v58, v4
	s_or_b64 s[14:15], s[14:15], s[16:17]
	s_and_b64 s[12:13], s[12:13], s[14:15]
	s_xor_b64 s[14:15], s[12:13], -1
                                        ; implicit-def: $vgpr59
	s_and_saveexec_b64 s[16:17], s[14:15]
	s_xor_b64 s[14:15], exec, s[16:17]
; %bb.23:                               ;   in Loop: Header=BB4_2 Depth=1
	v_lshlrev_b32_e32 v59, 2, v57
	ds_read_b32 v59, v59 offset:4
; %bb.24:                               ;   in Loop: Header=BB4_2 Depth=1
	s_or_saveexec_b64 s[14:15], s[14:15]
	v_mov_b32_e32 v60, v56
	s_xor_b64 exec, exec, s[14:15]
	s_cbranch_execz .LBB4_26
; %bb.25:                               ;   in Loop: Header=BB4_2 Depth=1
	s_waitcnt lgkmcnt(0)
	v_lshlrev_b32_e32 v59, 2, v58
	ds_read_b32 v60, v59 offset:4
	v_mov_b32_e32 v59, v55
.LBB4_26:                               ;   in Loop: Header=BB4_2 Depth=1
	s_or_b64 exec, exec, s[14:15]
	v_add_u32_e32 v61, 1, v57
	v_cndmask_b32_e64 v55, v55, v56, s[12:13]
	v_add_u32_e32 v56, 1, v58
	v_cndmask_b32_e64 v57, v61, v57, s[12:13]
	v_cndmask_b32_e64 v56, v58, v56, s[12:13]
	v_cmp_ge_i32_e64 s[12:13], v57, v3
	s_waitcnt lgkmcnt(0)
	v_cmp_lt_i32_e64 s[14:15], v60, v59
	v_cndmask_b32_e64 v53, v53, v54, s[10:11]
	v_cmp_lt_i32_e64 s[10:11], v56, v4
	s_or_b64 s[12:13], s[12:13], s[14:15]
	s_and_b64 s[10:11], s[10:11], s[12:13]
	v_cndmask_b32_e64 v54, v59, v60, s[10:11]
	; wave barrier
	ds_write2_b32 v45, v53, v55 offset1:1
	ds_write_b32 v45, v54 offset:8
	v_mov_b32_e32 v55, v24
	s_waitcnt lgkmcnt(0)
	; wave barrier
	s_and_saveexec_b64 s[12:13], s[2:3]
	s_cbranch_execz .LBB4_30
; %bb.27:                               ;   in Loop: Header=BB4_2 Depth=1
	s_mov_b64 s[14:15], 0
	v_mov_b32_e32 v55, v24
	v_mov_b32_e32 v53, v25
.LBB4_28:                               ;   Parent Loop BB4_2 Depth=1
                                        ; =>  This Inner Loop Header: Depth=2
	v_sub_u32_e32 v54, v53, v55
	v_lshrrev_b32_e32 v54, 1, v54
	v_add_u32_e32 v54, v54, v55
	v_not_b32_e32 v57, v54
	v_lshl_add_u32 v56, v54, 2, v48
	v_lshl_add_u32 v57, v57, 2, v26
	ds_read_b32 v56, v56
	ds_read_b32 v57, v57 offset:48
	v_add_u32_e32 v58, 1, v54
	s_waitcnt lgkmcnt(0)
	v_cmp_lt_i32_e64 s[10:11], v57, v56
	v_cndmask_b32_e64 v53, v53, v54, s[10:11]
	v_cndmask_b32_e64 v55, v58, v55, s[10:11]
	v_cmp_ge_i32_e64 s[10:11], v55, v53
	s_or_b64 s[14:15], s[10:11], s[14:15]
	s_andn2_b64 exec, exec, s[14:15]
	s_cbranch_execnz .LBB4_28
; %bb.29:                               ;   in Loop: Header=BB4_2 Depth=1
	s_or_b64 exec, exec, s[14:15]
.LBB4_30:                               ;   in Loop: Header=BB4_2 Depth=1
	s_or_b64 exec, exec, s[12:13]
	v_lshl_add_u32 v56, v55, 2, v48
	v_sub_u32_e32 v53, v27, v55
	v_lshlrev_b32_e32 v59, 2, v53
	ds_read_b32 v53, v56
	ds_read_b32 v54, v59 offset:48
	v_add_u32_e32 v57, v55, v23
	v_sub_u32_e32 v58, v28, v55
	v_cmp_le_i32_e64 s[12:13], v5, v57
	v_cmp_gt_i32_e64 s[10:11], v6, v58
	s_waitcnt lgkmcnt(0)
	v_cmp_lt_i32_e64 s[14:15], v54, v53
	s_or_b64 s[12:13], s[12:13], s[14:15]
	s_and_b64 s[10:11], s[10:11], s[12:13]
	s_xor_b64 s[12:13], s[10:11], -1
                                        ; implicit-def: $vgpr55
	s_and_saveexec_b64 s[14:15], s[12:13]
	s_xor_b64 s[12:13], exec, s[14:15]
; %bb.31:                               ;   in Loop: Header=BB4_2 Depth=1
	ds_read_b32 v55, v56 offset:4
                                        ; implicit-def: $vgpr59
; %bb.32:                               ;   in Loop: Header=BB4_2 Depth=1
	s_or_saveexec_b64 s[12:13], s[12:13]
	v_mov_b32_e32 v56, v54
	s_xor_b64 exec, exec, s[12:13]
	s_cbranch_execz .LBB4_34
; %bb.33:                               ;   in Loop: Header=BB4_2 Depth=1
	ds_read_b32 v56, v59 offset:52
	s_waitcnt lgkmcnt(1)
	v_mov_b32_e32 v55, v53
.LBB4_34:                               ;   in Loop: Header=BB4_2 Depth=1
	s_or_b64 exec, exec, s[12:13]
	v_add_u32_e32 v60, 1, v57
	v_add_u32_e32 v59, 1, v58
	v_cndmask_b32_e64 v57, v60, v57, s[10:11]
	v_cndmask_b32_e64 v58, v58, v59, s[10:11]
	v_cmp_ge_i32_e64 s[14:15], v57, v5
	s_waitcnt lgkmcnt(0)
	v_cmp_lt_i32_e64 s[16:17], v56, v55
	v_cmp_lt_i32_e64 s[12:13], v58, v6
	s_or_b64 s[14:15], s[14:15], s[16:17]
	s_and_b64 s[12:13], s[12:13], s[14:15]
	s_xor_b64 s[14:15], s[12:13], -1
                                        ; implicit-def: $vgpr59
	s_and_saveexec_b64 s[16:17], s[14:15]
	s_xor_b64 s[14:15], exec, s[16:17]
; %bb.35:                               ;   in Loop: Header=BB4_2 Depth=1
	v_lshlrev_b32_e32 v59, 2, v57
	ds_read_b32 v59, v59 offset:4
; %bb.36:                               ;   in Loop: Header=BB4_2 Depth=1
	s_or_saveexec_b64 s[14:15], s[14:15]
	v_mov_b32_e32 v60, v56
	s_xor_b64 exec, exec, s[14:15]
	s_cbranch_execz .LBB4_38
; %bb.37:                               ;   in Loop: Header=BB4_2 Depth=1
	s_waitcnt lgkmcnt(0)
	v_lshlrev_b32_e32 v59, 2, v58
	ds_read_b32 v60, v59 offset:4
	v_mov_b32_e32 v59, v55
.LBB4_38:                               ;   in Loop: Header=BB4_2 Depth=1
	s_or_b64 exec, exec, s[14:15]
	v_add_u32_e32 v61, 1, v57
	v_cndmask_b32_e64 v55, v55, v56, s[12:13]
	v_add_u32_e32 v56, 1, v58
	v_cndmask_b32_e64 v57, v61, v57, s[12:13]
	v_cndmask_b32_e64 v56, v58, v56, s[12:13]
	v_cmp_ge_i32_e64 s[12:13], v57, v5
	s_waitcnt lgkmcnt(0)
	v_cmp_lt_i32_e64 s[14:15], v60, v59
	v_cndmask_b32_e64 v53, v53, v54, s[10:11]
	v_cmp_lt_i32_e64 s[10:11], v56, v6
	s_or_b64 s[12:13], s[12:13], s[14:15]
	s_and_b64 s[10:11], s[10:11], s[12:13]
	v_cndmask_b32_e64 v54, v59, v60, s[10:11]
	; wave barrier
	ds_write2_b32 v45, v53, v55 offset1:1
	ds_write_b32 v45, v54 offset:8
	v_mov_b32_e32 v55, v30
	s_waitcnt lgkmcnt(0)
	; wave barrier
	s_and_saveexec_b64 s[12:13], s[4:5]
	s_cbranch_execz .LBB4_42
; %bb.39:                               ;   in Loop: Header=BB4_2 Depth=1
	s_mov_b64 s[14:15], 0
	v_mov_b32_e32 v55, v30
	v_mov_b32_e32 v53, v31
.LBB4_40:                               ;   Parent Loop BB4_2 Depth=1
                                        ; =>  This Inner Loop Header: Depth=2
	v_sub_u32_e32 v54, v53, v55
	v_lshrrev_b32_e32 v54, 1, v54
	v_add_u32_e32 v54, v54, v55
	v_not_b32_e32 v57, v54
	v_lshl_add_u32 v56, v54, 2, v49
	v_lshl_add_u32 v57, v57, 2, v32
	ds_read_b32 v56, v56
	ds_read_b32 v57, v57 offset:96
	v_add_u32_e32 v58, 1, v54
	s_waitcnt lgkmcnt(0)
	v_cmp_lt_i32_e64 s[10:11], v57, v56
	v_cndmask_b32_e64 v53, v53, v54, s[10:11]
	v_cndmask_b32_e64 v55, v58, v55, s[10:11]
	v_cmp_ge_i32_e64 s[10:11], v55, v53
	s_or_b64 s[14:15], s[10:11], s[14:15]
	s_andn2_b64 exec, exec, s[14:15]
	s_cbranch_execnz .LBB4_40
; %bb.41:                               ;   in Loop: Header=BB4_2 Depth=1
	s_or_b64 exec, exec, s[14:15]
.LBB4_42:                               ;   in Loop: Header=BB4_2 Depth=1
	s_or_b64 exec, exec, s[12:13]
	v_lshl_add_u32 v56, v55, 2, v49
	v_sub_u32_e32 v53, v33, v55
	v_lshlrev_b32_e32 v59, 2, v53
	ds_read_b32 v53, v56
	ds_read_b32 v54, v59 offset:96
	v_add_u32_e32 v57, v55, v29
	v_sub_u32_e32 v58, v34, v55
	v_cmp_le_i32_e64 s[12:13], v8, v57
	v_cmp_gt_i32_e64 s[10:11], v7, v58
	s_waitcnt lgkmcnt(0)
	v_cmp_lt_i32_e64 s[14:15], v54, v53
	s_or_b64 s[12:13], s[12:13], s[14:15]
	s_and_b64 s[10:11], s[10:11], s[12:13]
	s_xor_b64 s[12:13], s[10:11], -1
                                        ; implicit-def: $vgpr55
	s_and_saveexec_b64 s[14:15], s[12:13]
	s_xor_b64 s[12:13], exec, s[14:15]
; %bb.43:                               ;   in Loop: Header=BB4_2 Depth=1
	ds_read_b32 v55, v56 offset:4
                                        ; implicit-def: $vgpr59
; %bb.44:                               ;   in Loop: Header=BB4_2 Depth=1
	s_or_saveexec_b64 s[12:13], s[12:13]
	v_mov_b32_e32 v56, v54
	s_xor_b64 exec, exec, s[12:13]
	s_cbranch_execz .LBB4_46
; %bb.45:                               ;   in Loop: Header=BB4_2 Depth=1
	ds_read_b32 v56, v59 offset:100
	s_waitcnt lgkmcnt(1)
	v_mov_b32_e32 v55, v53
.LBB4_46:                               ;   in Loop: Header=BB4_2 Depth=1
	s_or_b64 exec, exec, s[12:13]
	v_add_u32_e32 v60, 1, v57
	v_add_u32_e32 v59, 1, v58
	v_cndmask_b32_e64 v57, v60, v57, s[10:11]
	v_cndmask_b32_e64 v58, v58, v59, s[10:11]
	v_cmp_ge_i32_e64 s[14:15], v57, v8
	s_waitcnt lgkmcnt(0)
	v_cmp_lt_i32_e64 s[16:17], v56, v55
	v_cmp_lt_i32_e64 s[12:13], v58, v7
	s_or_b64 s[14:15], s[14:15], s[16:17]
	s_and_b64 s[12:13], s[12:13], s[14:15]
	s_xor_b64 s[14:15], s[12:13], -1
                                        ; implicit-def: $vgpr59
	s_and_saveexec_b64 s[16:17], s[14:15]
	s_xor_b64 s[14:15], exec, s[16:17]
; %bb.47:                               ;   in Loop: Header=BB4_2 Depth=1
	v_lshlrev_b32_e32 v59, 2, v57
	ds_read_b32 v59, v59 offset:4
; %bb.48:                               ;   in Loop: Header=BB4_2 Depth=1
	s_or_saveexec_b64 s[14:15], s[14:15]
	v_mov_b32_e32 v60, v56
	s_xor_b64 exec, exec, s[14:15]
	s_cbranch_execz .LBB4_50
; %bb.49:                               ;   in Loop: Header=BB4_2 Depth=1
	s_waitcnt lgkmcnt(0)
	v_lshlrev_b32_e32 v59, 2, v58
	ds_read_b32 v60, v59 offset:4
	v_mov_b32_e32 v59, v55
.LBB4_50:                               ;   in Loop: Header=BB4_2 Depth=1
	s_or_b64 exec, exec, s[14:15]
	v_add_u32_e32 v61, 1, v57
	v_cndmask_b32_e64 v55, v55, v56, s[12:13]
	v_add_u32_e32 v56, 1, v58
	v_cndmask_b32_e64 v57, v61, v57, s[12:13]
	v_cndmask_b32_e64 v56, v58, v56, s[12:13]
	v_cmp_ge_i32_e64 s[12:13], v57, v8
	s_waitcnt lgkmcnt(0)
	v_cmp_lt_i32_e64 s[14:15], v60, v59
	v_cndmask_b32_e64 v53, v53, v54, s[10:11]
	v_cmp_lt_i32_e64 s[10:11], v56, v7
	s_or_b64 s[12:13], s[12:13], s[14:15]
	s_and_b64 s[10:11], s[10:11], s[12:13]
	v_cndmask_b32_e64 v54, v59, v60, s[10:11]
	; wave barrier
	ds_write2_b32 v45, v53, v55 offset1:1
	ds_write_b32 v45, v54 offset:8
	v_mov_b32_e32 v55, v36
	s_waitcnt lgkmcnt(0)
	; wave barrier
	s_and_saveexec_b64 s[12:13], s[6:7]
	s_cbranch_execz .LBB4_54
; %bb.51:                               ;   in Loop: Header=BB4_2 Depth=1
	s_mov_b64 s[14:15], 0
	v_mov_b32_e32 v55, v36
	v_mov_b32_e32 v53, v37
.LBB4_52:                               ;   Parent Loop BB4_2 Depth=1
                                        ; =>  This Inner Loop Header: Depth=2
	v_sub_u32_e32 v54, v53, v55
	v_lshrrev_b32_e32 v54, 1, v54
	v_add_u32_e32 v54, v54, v55
	v_not_b32_e32 v57, v54
	v_lshl_add_u32 v56, v54, 2, v50
	v_lshl_add_u32 v57, v57, 2, v38
	ds_read_b32 v56, v56
	ds_read_b32 v57, v57 offset:192
	v_add_u32_e32 v58, 1, v54
	s_waitcnt lgkmcnt(0)
	v_cmp_lt_i32_e64 s[10:11], v57, v56
	v_cndmask_b32_e64 v53, v53, v54, s[10:11]
	v_cndmask_b32_e64 v55, v58, v55, s[10:11]
	v_cmp_ge_i32_e64 s[10:11], v55, v53
	s_or_b64 s[14:15], s[10:11], s[14:15]
	s_andn2_b64 exec, exec, s[14:15]
	s_cbranch_execnz .LBB4_52
; %bb.53:                               ;   in Loop: Header=BB4_2 Depth=1
	s_or_b64 exec, exec, s[14:15]
.LBB4_54:                               ;   in Loop: Header=BB4_2 Depth=1
	s_or_b64 exec, exec, s[12:13]
	v_lshl_add_u32 v56, v55, 2, v50
	v_sub_u32_e32 v53, v39, v55
	v_lshlrev_b32_e32 v59, 2, v53
	ds_read_b32 v53, v56
	ds_read_b32 v54, v59 offset:192
	v_add_u32_e32 v57, v55, v35
	v_sub_u32_e32 v58, v40, v55
	v_cmp_le_i32_e64 s[12:13], v10, v57
	v_cmp_gt_i32_e64 s[10:11], v9, v58
	s_waitcnt lgkmcnt(0)
	v_cmp_lt_i32_e64 s[14:15], v54, v53
	s_or_b64 s[12:13], s[12:13], s[14:15]
	s_and_b64 s[10:11], s[10:11], s[12:13]
	s_xor_b64 s[12:13], s[10:11], -1
                                        ; implicit-def: $vgpr55
	s_and_saveexec_b64 s[14:15], s[12:13]
	s_xor_b64 s[12:13], exec, s[14:15]
; %bb.55:                               ;   in Loop: Header=BB4_2 Depth=1
	ds_read_b32 v55, v56 offset:4
                                        ; implicit-def: $vgpr59
; %bb.56:                               ;   in Loop: Header=BB4_2 Depth=1
	s_or_saveexec_b64 s[12:13], s[12:13]
	v_mov_b32_e32 v56, v54
	s_xor_b64 exec, exec, s[12:13]
	s_cbranch_execz .LBB4_58
; %bb.57:                               ;   in Loop: Header=BB4_2 Depth=1
	ds_read_b32 v56, v59 offset:196
	s_waitcnt lgkmcnt(1)
	v_mov_b32_e32 v55, v53
.LBB4_58:                               ;   in Loop: Header=BB4_2 Depth=1
	s_or_b64 exec, exec, s[12:13]
	v_add_u32_e32 v60, 1, v57
	v_add_u32_e32 v59, 1, v58
	v_cndmask_b32_e64 v57, v60, v57, s[10:11]
	v_cndmask_b32_e64 v58, v58, v59, s[10:11]
	v_cmp_ge_i32_e64 s[14:15], v57, v10
	s_waitcnt lgkmcnt(0)
	v_cmp_lt_i32_e64 s[16:17], v56, v55
	v_cmp_lt_i32_e64 s[12:13], v58, v9
	s_or_b64 s[14:15], s[14:15], s[16:17]
	s_and_b64 s[12:13], s[12:13], s[14:15]
	s_xor_b64 s[14:15], s[12:13], -1
                                        ; implicit-def: $vgpr59
	s_and_saveexec_b64 s[16:17], s[14:15]
	s_xor_b64 s[14:15], exec, s[16:17]
; %bb.59:                               ;   in Loop: Header=BB4_2 Depth=1
	v_lshlrev_b32_e32 v59, 2, v57
	ds_read_b32 v59, v59 offset:4
; %bb.60:                               ;   in Loop: Header=BB4_2 Depth=1
	s_or_saveexec_b64 s[14:15], s[14:15]
	v_mov_b32_e32 v60, v56
	s_xor_b64 exec, exec, s[14:15]
	s_cbranch_execz .LBB4_62
; %bb.61:                               ;   in Loop: Header=BB4_2 Depth=1
	s_waitcnt lgkmcnt(0)
	v_lshlrev_b32_e32 v59, 2, v58
	ds_read_b32 v60, v59 offset:4
	v_mov_b32_e32 v59, v55
.LBB4_62:                               ;   in Loop: Header=BB4_2 Depth=1
	s_or_b64 exec, exec, s[14:15]
	v_add_u32_e32 v61, 1, v57
	v_cndmask_b32_e64 v55, v55, v56, s[12:13]
	v_add_u32_e32 v56, 1, v58
	v_cndmask_b32_e64 v57, v61, v57, s[12:13]
	v_cndmask_b32_e64 v56, v58, v56, s[12:13]
	v_cmp_ge_i32_e64 s[12:13], v57, v10
	s_waitcnt lgkmcnt(0)
	v_cmp_lt_i32_e64 s[14:15], v60, v59
	v_cndmask_b32_e64 v53, v53, v54, s[10:11]
	v_cmp_lt_i32_e64 s[10:11], v56, v9
	s_or_b64 s[12:13], s[12:13], s[14:15]
	s_and_b64 s[10:11], s[10:11], s[12:13]
	v_cndmask_b32_e64 v54, v59, v60, s[10:11]
	; wave barrier
	ds_write2_b32 v45, v53, v55 offset1:1
	ds_write_b32 v45, v54 offset:8
	v_mov_b32_e32 v55, v43
	s_waitcnt lgkmcnt(0)
	; wave barrier
	s_and_saveexec_b64 s[12:13], s[8:9]
	s_cbranch_execz .LBB4_66
; %bb.63:                               ;   in Loop: Header=BB4_2 Depth=1
	s_mov_b64 s[14:15], 0
	v_mov_b32_e32 v55, v43
	v_mov_b32_e32 v53, v44
.LBB4_64:                               ;   Parent Loop BB4_2 Depth=1
                                        ; =>  This Inner Loop Header: Depth=2
	v_sub_u32_e32 v54, v53, v55
	v_lshrrev_b32_e32 v54, 1, v54
	v_add_u32_e32 v54, v54, v55
	v_not_b32_e32 v57, v54
	v_lshlrev_b32_e32 v56, 2, v54
	v_lshl_add_u32 v57, v57, 2, v52
	ds_read_b32 v56, v56
	ds_read_b32 v57, v57 offset:384
	v_add_u32_e32 v58, 1, v54
	s_waitcnt lgkmcnt(0)
	v_cmp_lt_i32_e64 s[10:11], v57, v56
	v_cndmask_b32_e64 v53, v53, v54, s[10:11]
	v_cndmask_b32_e64 v55, v58, v55, s[10:11]
	v_cmp_ge_i32_e64 s[10:11], v55, v53
	s_or_b64 s[14:15], s[10:11], s[14:15]
	s_andn2_b64 exec, exec, s[14:15]
	s_cbranch_execnz .LBB4_64
; %bb.65:                               ;   in Loop: Header=BB4_2 Depth=1
	s_or_b64 exec, exec, s[14:15]
.LBB4_66:                               ;   in Loop: Header=BB4_2 Depth=1
	s_or_b64 exec, exec, s[12:13]
	v_lshlrev_b32_e32 v57, 2, v55
	v_sub_u32_e32 v53, v42, v55
	v_lshlrev_b32_e32 v59, 2, v53
	ds_read_b32 v53, v57
	ds_read_b32 v54, v59 offset:384
	v_sub_u32_e32 v58, v51, v55
	v_cmp_le_i32_e64 s[12:13], v41, v55
	v_cmp_gt_i32_e64 s[10:11], s22, v58
                                        ; implicit-def: $vgpr56
	s_waitcnt lgkmcnt(0)
	v_cmp_lt_i32_e64 s[14:15], v54, v53
	s_or_b64 s[12:13], s[12:13], s[14:15]
	s_and_b64 s[10:11], s[10:11], s[12:13]
	s_xor_b64 s[12:13], s[10:11], -1
	s_and_saveexec_b64 s[14:15], s[12:13]
	s_xor_b64 s[12:13], exec, s[14:15]
; %bb.67:                               ;   in Loop: Header=BB4_2 Depth=1
	ds_read_b32 v56, v57 offset:4
                                        ; implicit-def: $vgpr59
; %bb.68:                               ;   in Loop: Header=BB4_2 Depth=1
	s_or_saveexec_b64 s[12:13], s[12:13]
	v_mov_b32_e32 v57, v54
	s_xor_b64 exec, exec, s[12:13]
	s_cbranch_execz .LBB4_70
; %bb.69:                               ;   in Loop: Header=BB4_2 Depth=1
	ds_read_b32 v57, v59 offset:388
	s_waitcnt lgkmcnt(1)
	v_mov_b32_e32 v56, v53
.LBB4_70:                               ;   in Loop: Header=BB4_2 Depth=1
	s_or_b64 exec, exec, s[12:13]
	v_add_u32_e32 v59, 1, v58
	v_add_u32_e32 v60, 1, v55
	v_cndmask_b32_e64 v58, v58, v59, s[10:11]
	v_cndmask_b32_e64 v59, v60, v55, s[10:11]
	v_cmp_ge_i32_e64 s[14:15], v59, v41
	s_waitcnt lgkmcnt(0)
	v_cmp_lt_i32_e64 s[16:17], v57, v56
	v_cmp_gt_i32_e64 s[12:13], s22, v58
	s_or_b64 s[14:15], s[14:15], s[16:17]
	s_and_b64 s[12:13], s[12:13], s[14:15]
	s_xor_b64 s[14:15], s[12:13], -1
                                        ; implicit-def: $vgpr55
                                        ; implicit-def: $vgpr60
	s_and_saveexec_b64 s[16:17], s[14:15]
	s_xor_b64 s[14:15], exec, s[16:17]
; %bb.71:                               ;   in Loop: Header=BB4_2 Depth=1
	v_lshlrev_b32_e32 v55, 2, v59
	ds_read_b32 v55, v55 offset:4
	v_add_u32_e32 v60, 1, v59
                                        ; implicit-def: $vgpr59
; %bb.72:                               ;   in Loop: Header=BB4_2 Depth=1
	s_or_saveexec_b64 s[14:15], s[14:15]
	v_mov_b32_e32 v61, v57
	s_xor_b64 exec, exec, s[14:15]
	s_cbranch_execz .LBB4_1
; %bb.73:                               ;   in Loop: Header=BB4_2 Depth=1
	s_waitcnt lgkmcnt(0)
	v_lshlrev_b32_e32 v55, 2, v58
	ds_read_b32 v61, v55 offset:4
	v_add_u32_e32 v58, 1, v58
	v_mov_b32_e32 v60, v59
	v_mov_b32_e32 v55, v56
	s_branch .LBB4_1
.LBB4_74:
	s_add_u32 s0, s18, s20
	s_addc_u32 s1, s19, s21
	v_lshlrev_b32_e32 v0, 2, v0
	global_store_dword v0, v53, s[0:1]
	global_store_dword v0, v54, s[0:1] offset:256
	global_store_dword v0, v55, s[0:1] offset:512
	s_endpgm
	.section	.rodata,"a",@progbits
	.p2align	6, 0x0
	.amdhsa_kernel _Z16sort_keys_kernelIiLj64ELj3EN10test_utils4lessELj10EEvPKT_PS2_T2_
		.amdhsa_group_segment_fixed_size 772
		.amdhsa_private_segment_fixed_size 0
		.amdhsa_kernarg_size 20
		.amdhsa_user_sgpr_count 6
		.amdhsa_user_sgpr_private_segment_buffer 1
		.amdhsa_user_sgpr_dispatch_ptr 0
		.amdhsa_user_sgpr_queue_ptr 0
		.amdhsa_user_sgpr_kernarg_segment_ptr 1
		.amdhsa_user_sgpr_dispatch_id 0
		.amdhsa_user_sgpr_flat_scratch_init 0
		.amdhsa_user_sgpr_private_segment_size 0
		.amdhsa_uses_dynamic_stack 0
		.amdhsa_system_sgpr_private_segment_wavefront_offset 0
		.amdhsa_system_sgpr_workgroup_id_x 1
		.amdhsa_system_sgpr_workgroup_id_y 0
		.amdhsa_system_sgpr_workgroup_id_z 0
		.amdhsa_system_sgpr_workgroup_info 0
		.amdhsa_system_vgpr_workitem_id 0
		.amdhsa_next_free_vgpr 62
		.amdhsa_next_free_sgpr 24
		.amdhsa_reserve_vcc 1
		.amdhsa_reserve_flat_scratch 0
		.amdhsa_float_round_mode_32 0
		.amdhsa_float_round_mode_16_64 0
		.amdhsa_float_denorm_mode_32 3
		.amdhsa_float_denorm_mode_16_64 3
		.amdhsa_dx10_clamp 1
		.amdhsa_ieee_mode 1
		.amdhsa_fp16_overflow 0
		.amdhsa_exception_fp_ieee_invalid_op 0
		.amdhsa_exception_fp_denorm_src 0
		.amdhsa_exception_fp_ieee_div_zero 0
		.amdhsa_exception_fp_ieee_overflow 0
		.amdhsa_exception_fp_ieee_underflow 0
		.amdhsa_exception_fp_ieee_inexact 0
		.amdhsa_exception_int_div_zero 0
	.end_amdhsa_kernel
	.section	.text._Z16sort_keys_kernelIiLj64ELj3EN10test_utils4lessELj10EEvPKT_PS2_T2_,"axG",@progbits,_Z16sort_keys_kernelIiLj64ELj3EN10test_utils4lessELj10EEvPKT_PS2_T2_,comdat
.Lfunc_end4:
	.size	_Z16sort_keys_kernelIiLj64ELj3EN10test_utils4lessELj10EEvPKT_PS2_T2_, .Lfunc_end4-_Z16sort_keys_kernelIiLj64ELj3EN10test_utils4lessELj10EEvPKT_PS2_T2_
                                        ; -- End function
	.set _Z16sort_keys_kernelIiLj64ELj3EN10test_utils4lessELj10EEvPKT_PS2_T2_.num_vgpr, 62
	.set _Z16sort_keys_kernelIiLj64ELj3EN10test_utils4lessELj10EEvPKT_PS2_T2_.num_agpr, 0
	.set _Z16sort_keys_kernelIiLj64ELj3EN10test_utils4lessELj10EEvPKT_PS2_T2_.numbered_sgpr, 24
	.set _Z16sort_keys_kernelIiLj64ELj3EN10test_utils4lessELj10EEvPKT_PS2_T2_.num_named_barrier, 0
	.set _Z16sort_keys_kernelIiLj64ELj3EN10test_utils4lessELj10EEvPKT_PS2_T2_.private_seg_size, 0
	.set _Z16sort_keys_kernelIiLj64ELj3EN10test_utils4lessELj10EEvPKT_PS2_T2_.uses_vcc, 1
	.set _Z16sort_keys_kernelIiLj64ELj3EN10test_utils4lessELj10EEvPKT_PS2_T2_.uses_flat_scratch, 0
	.set _Z16sort_keys_kernelIiLj64ELj3EN10test_utils4lessELj10EEvPKT_PS2_T2_.has_dyn_sized_stack, 0
	.set _Z16sort_keys_kernelIiLj64ELj3EN10test_utils4lessELj10EEvPKT_PS2_T2_.has_recursion, 0
	.set _Z16sort_keys_kernelIiLj64ELj3EN10test_utils4lessELj10EEvPKT_PS2_T2_.has_indirect_call, 0
	.section	.AMDGPU.csdata,"",@progbits
; Kernel info:
; codeLenInByte = 3792
; TotalNumSgprs: 28
; NumVgprs: 62
; ScratchSize: 0
; MemoryBound: 0
; FloatMode: 240
; IeeeMode: 1
; LDSByteSize: 772 bytes/workgroup (compile time only)
; SGPRBlocks: 3
; VGPRBlocks: 15
; NumSGPRsForWavesPerEU: 28
; NumVGPRsForWavesPerEU: 62
; Occupancy: 4
; WaveLimiterHint : 1
; COMPUTE_PGM_RSRC2:SCRATCH_EN: 0
; COMPUTE_PGM_RSRC2:USER_SGPR: 6
; COMPUTE_PGM_RSRC2:TRAP_HANDLER: 0
; COMPUTE_PGM_RSRC2:TGID_X_EN: 1
; COMPUTE_PGM_RSRC2:TGID_Y_EN: 0
; COMPUTE_PGM_RSRC2:TGID_Z_EN: 0
; COMPUTE_PGM_RSRC2:TIDIG_COMP_CNT: 0
	.section	.text._Z17sort_pairs_kernelIiLj64ELj3EN10test_utils4lessELj10EEvPKT_PS2_T2_,"axG",@progbits,_Z17sort_pairs_kernelIiLj64ELj3EN10test_utils4lessELj10EEvPKT_PS2_T2_,comdat
	.protected	_Z17sort_pairs_kernelIiLj64ELj3EN10test_utils4lessELj10EEvPKT_PS2_T2_ ; -- Begin function _Z17sort_pairs_kernelIiLj64ELj3EN10test_utils4lessELj10EEvPKT_PS2_T2_
	.globl	_Z17sort_pairs_kernelIiLj64ELj3EN10test_utils4lessELj10EEvPKT_PS2_T2_
	.p2align	8
	.type	_Z17sort_pairs_kernelIiLj64ELj3EN10test_utils4lessELj10EEvPKT_PS2_T2_,@function
_Z17sort_pairs_kernelIiLj64ELj3EN10test_utils4lessELj10EEvPKT_PS2_T2_: ; @_Z17sort_pairs_kernelIiLj64ELj3EN10test_utils4lessELj10EEvPKT_PS2_T2_
; %bb.0:
	s_load_dwordx4 s[24:27], s[4:5], 0x0
	s_mul_i32 s30, s6, 0xc0
	s_mov_b32 s31, 0
	s_lshl_b64 s[28:29], s[30:31], 2
	v_lshlrev_b32_e32 v7, 2, v0
	s_waitcnt lgkmcnt(0)
	s_add_u32 s0, s24, s28
	s_addc_u32 s1, s25, s29
	global_load_dword v57, v7, s[0:1]
	global_load_dword v58, v7, s[0:1] offset:256
	global_load_dword v56, v7, s[0:1] offset:512
	v_and_b32_e32 v1, 62, v0
	v_and_b32_e32 v3, 60, v0
	;; [unrolled: 1-line block ×5, first 2 shown]
	v_mul_u32_u24_e32 v11, 3, v1
	v_mul_u32_u24_e32 v17, 3, v3
	;; [unrolled: 1-line block ×5, first 2 shown]
	v_and_b32_e32 v1, 1, v0
	v_min_u32_e32 v15, 0xbd, v11
	v_min_u32_e32 v2, 0xba, v11
	;; [unrolled: 1-line block ×10, first 2 shown]
	v_cmp_eq_u32_e32 vcc, 1, v1
	v_add_u32_e32 v1, 3, v15
	v_add_u32_e32 v2, 6, v2
	v_and_b32_e32 v22, 3, v0
	v_add_u32_e32 v3, 6, v21
	v_add_u32_e32 v4, 12, v4
	v_and_b32_e32 v28, 7, v0
	v_add_u32_e32 v5, 12, v27
	v_add_u32_e32 v6, 24, v6
	;; [unrolled: 1-line block ×3, first 2 shown]
	v_and_b32_e32 v34, 15, v0
	v_add_u32_e32 v8, 24, v33
	v_add_u32_e32 v9, 0x60, v9
	v_and_b32_e32 v40, 31, v0
	v_add_u32_e32 v10, 48, v39
	v_cndmask_b32_e64 v16, 0, 3, vcc
	v_sub_u32_e32 v12, v2, v1
	v_mul_u32_u24_e32 v20, 3, v22
	v_sub_u32_e32 v18, v4, v3
	v_mul_u32_u24_e32 v26, 3, v28
	;; [unrolled: 2-line block ×4, first 2 shown]
	v_sub_u32_e32 v36, v9, v10
	v_sub_u32_e32 v13, v16, v12
	;; [unrolled: 1-line block ×6, first 2 shown]
	v_min_u32_e32 v11, 0xc0, v11
	v_cmp_ge_i32_e32 vcc, v16, v12
	v_min_u32_e32 v17, 0xc0, v17
	v_cmp_ge_i32_e64 s[0:1], v20, v18
	v_min_u32_e32 v23, 0xc0, v23
	v_cmp_ge_i32_e64 s[2:3], v26, v24
	v_min_u32_e32 v29, 0xc0, v29
	v_cmp_ge_i32_e64 s[4:5], v32, v30
	v_min_u32_e32 v35, 0xc0, v35
	v_cmp_ge_i32_e64 s[6:7], v38, v36
	v_cndmask_b32_e32 v12, 0, v13, vcc
	v_sub_u32_e32 v13, v1, v11
	v_cndmask_b32_e64 v18, 0, v19, s[0:1]
	v_sub_u32_e32 v19, v3, v17
	v_cndmask_b32_e64 v24, 0, v25, s[2:3]
	;; [unrolled: 2-line block ×4, first 2 shown]
	v_sub_u32_e32 v37, v10, v35
	v_mov_b32_e32 v41, 0x60
	v_mul_u32_u24_e32 v42, 3, v0
	v_min_i32_e32 v13, v16, v13
	v_lshlrev_b32_e32 v14, 2, v16
	v_min_i32_e32 v19, v20, v19
	v_lshlrev_b32_e32 v20, 2, v20
	v_min_i32_e32 v25, v26, v25
	v_lshlrev_b32_e32 v26, 2, v26
	v_min_i32_e32 v31, v32, v31
	v_lshlrev_b32_e32 v32, 2, v32
	v_min_i32_e32 v37, v38, v37
	v_lshlrev_b32_e32 v38, 2, v38
	v_sub_u32_e64 v43, v42, v41 clamp
	v_min_i32_e32 v44, 0x60, v42
	s_movk_i32 s24, 0xc0
	v_cmp_lt_i32_e32 vcc, v12, v13
	v_lshl_add_u32 v14, v15, 2, v14
	v_add_u32_e32 v15, v15, v16
	v_add_u32_e32 v16, v1, v16
	v_cmp_lt_i32_e64 s[0:1], v18, v19
	v_lshl_add_u32 v20, v21, 2, v20
	v_mad_u32_u24 v21, v22, 3, v21
	v_mad_u32_u24 v22, v22, 3, v3
	v_cmp_lt_i32_e64 s[2:3], v24, v25
	v_lshl_add_u32 v26, v27, 2, v26
	v_mad_u32_u24 v27, v28, 3, v27
	v_mad_u32_u24 v28, v28, 3, v5
	v_cmp_lt_i32_e64 s[4:5], v30, v31
	v_lshl_add_u32 v32, v33, 2, v32
	v_mad_u32_u24 v33, v34, 3, v33
	v_mad_u32_u24 v34, v34, 3, v8
	v_cmp_lt_i32_e64 s[6:7], v36, v37
	v_lshl_add_u32 v38, v39, 2, v38
	v_mad_u32_u24 v39, v40, 3, v39
	v_mad_u32_u24 v40, v40, 3, v10
	v_cmp_lt_i32_e64 s[8:9], v43, v44
	s_waitcnt vmcnt(2)
	v_add_u32_e32 v53, 1, v57
	s_waitcnt vmcnt(1)
	v_add_u32_e32 v55, 1, v58
	;; [unrolled: 2-line block ×3, first 2 shown]
	v_mul_u32_u24_e32 v45, 12, v0
	v_lshlrev_b32_e32 v46, 2, v11
	v_lshlrev_b32_e32 v47, 2, v17
	;; [unrolled: 1-line block ×5, first 2 shown]
	v_mad_u32_u24 v51, v0, 3, v41
	v_lshlrev_b32_e32 v52, 2, v42
	s_branch .LBB5_2
.LBB5_1:                                ;   in Loop: Header=BB5_2 Depth=1
	s_or_b64 exec, exec, s[14:15]
	v_cmp_ge_i32_e64 s[16:17], v63, v41
	s_waitcnt lgkmcnt(0)
	v_cmp_lt_i32_e64 s[18:19], v67, v64
	v_cmp_gt_i32_e64 s[14:15], s24, v62
	s_or_b64 s[16:17], s[16:17], s[18:19]
	v_cndmask_b32_e64 v60, v56, v60, s[10:11]
	s_and_b64 s[14:15], s[14:15], s[16:17]
	v_cndmask_b32_e64 v62, v63, v62, s[14:15]
	; wave barrier
	ds_write2_b32 v45, v53, v54 offset1:1
	ds_write_b32 v45, v55 offset:8
	v_lshlrev_b32_e32 v53, 2, v60
	v_lshlrev_b32_e32 v54, 2, v65
	s_waitcnt lgkmcnt(0)
	; wave barrier
	v_lshlrev_b32_e32 v60, 2, v62
	ds_read_b32 v53, v53
	ds_read_b32 v55, v54
	;; [unrolled: 1-line block ×3, first 2 shown]
	s_add_i32 s31, s31, 1
	v_cndmask_b32_e64 v56, v64, v67, s[14:15]
	v_cndmask_b32_e64 v57, v57, v58, s[10:11]
	s_cmp_eq_u32 s31, 10
	v_cndmask_b32_e64 v58, v59, v61, s[12:13]
	s_cbranch_scc1 .LBB5_74
.LBB5_2:                                ; =>This Loop Header: Depth=1
                                        ;     Child Loop BB5_4 Depth 2
                                        ;     Child Loop BB5_16 Depth 2
	;; [unrolled: 1-line block ×6, first 2 shown]
	v_cmp_lt_i32_e64 s[10:11], v58, v57
	v_cndmask_b32_e64 v59, v57, v58, s[10:11]
	v_cndmask_b32_e64 v60, v58, v57, s[10:11]
	v_max_i32_e32 v57, v58, v57
	v_cmp_lt_i32_e64 s[12:13], v56, v57
	v_cndmask_b32_e64 v58, v56, v57, s[12:13]
	v_cndmask_b32_e64 v60, v60, v56, s[12:13]
	v_min_i32_e32 v56, v56, v57
	v_cmp_lt_i32_e64 s[14:15], v56, v59
	v_cndmask_b32_e64 v57, v60, v59, s[14:15]
	v_cndmask_b32_e64 v56, v59, v56, s[14:15]
	v_mov_b32_e32 v59, v12
	; wave barrier
	ds_write2_b32 v45, v56, v57 offset1:1
	ds_write_b32 v45, v58 offset:8
	s_waitcnt lgkmcnt(0)
	; wave barrier
	s_and_saveexec_b64 s[18:19], vcc
	s_cbranch_execz .LBB5_6
; %bb.3:                                ;   in Loop: Header=BB5_2 Depth=1
	s_mov_b64 s[20:21], 0
	v_mov_b32_e32 v59, v12
	v_mov_b32_e32 v56, v13
.LBB5_4:                                ;   Parent Loop BB5_2 Depth=1
                                        ; =>  This Inner Loop Header: Depth=2
	v_sub_u32_e32 v57, v56, v59
	v_lshrrev_b32_e32 v57, 1, v57
	v_add_u32_e32 v57, v57, v59
	v_not_b32_e32 v60, v57
	v_lshl_add_u32 v58, v57, 2, v46
	v_lshl_add_u32 v60, v60, 2, v14
	ds_read_b32 v58, v58
	ds_read_b32 v60, v60 offset:12
	v_add_u32_e32 v61, 1, v57
	s_waitcnt lgkmcnt(0)
	v_cmp_lt_i32_e64 s[16:17], v60, v58
	v_cndmask_b32_e64 v56, v56, v57, s[16:17]
	v_cndmask_b32_e64 v59, v61, v59, s[16:17]
	v_cmp_ge_i32_e64 s[16:17], v59, v56
	s_or_b64 s[20:21], s[16:17], s[20:21]
	s_andn2_b64 exec, exec, s[20:21]
	s_cbranch_execnz .LBB5_4
; %bb.5:                                ;   in Loop: Header=BB5_2 Depth=1
	s_or_b64 exec, exec, s[20:21]
.LBB5_6:                                ;   in Loop: Header=BB5_2 Depth=1
	s_or_b64 exec, exec, s[18:19]
	v_lshl_add_u32 v61, v59, 2, v46
	v_sub_u32_e32 v56, v15, v59
	v_lshlrev_b32_e32 v62, 2, v56
	ds_read_b32 v56, v61
	ds_read_b32 v58, v62 offset:12
	v_add_u32_e32 v57, v59, v11
	v_sub_u32_e32 v59, v16, v59
	v_cmp_le_i32_e64 s[18:19], v1, v57
	v_cmp_gt_i32_e64 s[16:17], v2, v59
	s_waitcnt lgkmcnt(0)
	v_cmp_lt_i32_e64 s[20:21], v58, v56
	s_or_b64 s[18:19], s[18:19], s[20:21]
	s_and_b64 s[16:17], s[16:17], s[18:19]
	s_xor_b64 s[18:19], s[16:17], -1
                                        ; implicit-def: $vgpr60
	s_and_saveexec_b64 s[20:21], s[18:19]
	s_xor_b64 s[18:19], exec, s[20:21]
; %bb.7:                                ;   in Loop: Header=BB5_2 Depth=1
	ds_read_b32 v60, v61 offset:4
                                        ; implicit-def: $vgpr62
; %bb.8:                                ;   in Loop: Header=BB5_2 Depth=1
	s_or_saveexec_b64 s[18:19], s[18:19]
	v_mov_b32_e32 v61, v58
	s_xor_b64 exec, exec, s[18:19]
	s_cbranch_execz .LBB5_10
; %bb.9:                                ;   in Loop: Header=BB5_2 Depth=1
	ds_read_b32 v61, v62 offset:16
	s_waitcnt lgkmcnt(1)
	v_mov_b32_e32 v60, v56
.LBB5_10:                               ;   in Loop: Header=BB5_2 Depth=1
	s_or_b64 exec, exec, s[18:19]
	v_add_u32_e32 v64, 1, v57
	v_add_u32_e32 v62, 1, v59
	v_cndmask_b32_e64 v64, v64, v57, s[16:17]
	v_cndmask_b32_e64 v63, v59, v62, s[16:17]
	v_cmp_ge_i32_e64 s[20:21], v64, v1
	s_waitcnt lgkmcnt(0)
	v_cmp_lt_i32_e64 s[22:23], v61, v60
	v_cmp_lt_i32_e64 s[18:19], v63, v2
	s_or_b64 s[20:21], s[20:21], s[22:23]
	s_and_b64 s[18:19], s[18:19], s[20:21]
	s_xor_b64 s[20:21], s[18:19], -1
                                        ; implicit-def: $vgpr62
	s_and_saveexec_b64 s[22:23], s[20:21]
	s_xor_b64 s[20:21], exec, s[22:23]
; %bb.11:                               ;   in Loop: Header=BB5_2 Depth=1
	v_lshlrev_b32_e32 v62, 2, v64
	ds_read_b32 v62, v62 offset:4
; %bb.12:                               ;   in Loop: Header=BB5_2 Depth=1
	s_or_saveexec_b64 s[20:21], s[20:21]
	v_mov_b32_e32 v65, v61
	s_xor_b64 exec, exec, s[20:21]
	s_cbranch_execz .LBB5_14
; %bb.13:                               ;   in Loop: Header=BB5_2 Depth=1
	s_waitcnt lgkmcnt(0)
	v_lshlrev_b32_e32 v62, 2, v63
	ds_read_b32 v65, v62 offset:4
	v_mov_b32_e32 v62, v60
.LBB5_14:                               ;   in Loop: Header=BB5_2 Depth=1
	s_or_b64 exec, exec, s[20:21]
	v_add_u32_e32 v66, 1, v64
	v_cndmask_b32_e64 v56, v56, v58, s[16:17]
	v_cndmask_b32_e64 v58, v53, v55, s[10:11]
	;; [unrolled: 1-line block ×4, first 2 shown]
	v_add_u32_e32 v61, 1, v63
	v_cndmask_b32_e64 v66, v66, v64, s[18:19]
	v_cndmask_b32_e64 v55, v54, v53, s[12:13]
	v_cndmask_b32_e64 v53, v53, v54, s[12:13]
	v_cndmask_b32_e64 v61, v63, v61, s[18:19]
	v_cndmask_b32_e64 v54, v53, v58, s[14:15]
	v_cndmask_b32_e64 v53, v58, v53, s[14:15]
	v_cmp_ge_i32_e64 s[12:13], v66, v1
	s_waitcnt lgkmcnt(0)
	v_cmp_lt_i32_e64 s[14:15], v65, v62
	v_cmp_lt_i32_e64 s[10:11], v61, v2
	s_or_b64 s[12:13], s[12:13], s[14:15]
	s_and_b64 s[10:11], s[10:11], s[12:13]
	v_cndmask_b32_e64 v63, v64, v63, s[18:19]
	v_cndmask_b32_e64 v57, v57, v59, s[16:17]
	;; [unrolled: 1-line block ×3, first 2 shown]
	; wave barrier
	ds_write2_b32 v45, v53, v54 offset1:1
	ds_write_b32 v45, v55 offset:8
	v_lshlrev_b32_e32 v53, 2, v57
	v_lshlrev_b32_e32 v54, 2, v63
	;; [unrolled: 1-line block ×3, first 2 shown]
	s_waitcnt lgkmcnt(0)
	; wave barrier
	ds_read_b32 v53, v53
	ds_read_b32 v54, v54
	;; [unrolled: 1-line block ×3, first 2 shown]
	v_mov_b32_e32 v59, v18
	v_cndmask_b32_e64 v58, v62, v65, s[10:11]
	s_waitcnt lgkmcnt(0)
	; wave barrier
	ds_write2_b32 v45, v56, v60 offset1:1
	ds_write_b32 v45, v58 offset:8
	s_waitcnt lgkmcnt(0)
	; wave barrier
	s_and_saveexec_b64 s[12:13], s[0:1]
	s_cbranch_execz .LBB5_18
; %bb.15:                               ;   in Loop: Header=BB5_2 Depth=1
	s_mov_b64 s[14:15], 0
	v_mov_b32_e32 v59, v18
	v_mov_b32_e32 v56, v19
.LBB5_16:                               ;   Parent Loop BB5_2 Depth=1
                                        ; =>  This Inner Loop Header: Depth=2
	v_sub_u32_e32 v57, v56, v59
	v_lshrrev_b32_e32 v57, 1, v57
	v_add_u32_e32 v57, v57, v59
	v_not_b32_e32 v60, v57
	v_lshl_add_u32 v58, v57, 2, v47
	v_lshl_add_u32 v60, v60, 2, v20
	ds_read_b32 v58, v58
	ds_read_b32 v60, v60 offset:24
	v_add_u32_e32 v61, 1, v57
	s_waitcnt lgkmcnt(0)
	v_cmp_lt_i32_e64 s[10:11], v60, v58
	v_cndmask_b32_e64 v56, v56, v57, s[10:11]
	v_cndmask_b32_e64 v59, v61, v59, s[10:11]
	v_cmp_ge_i32_e64 s[10:11], v59, v56
	s_or_b64 s[14:15], s[10:11], s[14:15]
	s_andn2_b64 exec, exec, s[14:15]
	s_cbranch_execnz .LBB5_16
; %bb.17:                               ;   in Loop: Header=BB5_2 Depth=1
	s_or_b64 exec, exec, s[14:15]
.LBB5_18:                               ;   in Loop: Header=BB5_2 Depth=1
	s_or_b64 exec, exec, s[12:13]
	v_lshl_add_u32 v61, v59, 2, v47
	v_sub_u32_e32 v56, v21, v59
	v_lshlrev_b32_e32 v62, 2, v56
	ds_read_b32 v56, v61
	ds_read_b32 v58, v62 offset:24
	v_add_u32_e32 v57, v59, v17
	v_sub_u32_e32 v59, v22, v59
	v_cmp_le_i32_e64 s[12:13], v3, v57
	v_cmp_gt_i32_e64 s[10:11], v4, v59
	s_waitcnt lgkmcnt(0)
	v_cmp_lt_i32_e64 s[14:15], v58, v56
	s_or_b64 s[12:13], s[12:13], s[14:15]
	s_and_b64 s[10:11], s[10:11], s[12:13]
	s_xor_b64 s[12:13], s[10:11], -1
                                        ; implicit-def: $vgpr60
	s_and_saveexec_b64 s[14:15], s[12:13]
	s_xor_b64 s[12:13], exec, s[14:15]
; %bb.19:                               ;   in Loop: Header=BB5_2 Depth=1
	ds_read_b32 v60, v61 offset:4
                                        ; implicit-def: $vgpr62
; %bb.20:                               ;   in Loop: Header=BB5_2 Depth=1
	s_or_saveexec_b64 s[12:13], s[12:13]
	v_mov_b32_e32 v61, v58
	s_xor_b64 exec, exec, s[12:13]
	s_cbranch_execz .LBB5_22
; %bb.21:                               ;   in Loop: Header=BB5_2 Depth=1
	ds_read_b32 v61, v62 offset:28
	s_waitcnt lgkmcnt(1)
	v_mov_b32_e32 v60, v56
.LBB5_22:                               ;   in Loop: Header=BB5_2 Depth=1
	s_or_b64 exec, exec, s[12:13]
	v_add_u32_e32 v63, 1, v57
	v_add_u32_e32 v62, 1, v59
	v_cndmask_b32_e64 v63, v63, v57, s[10:11]
	v_cndmask_b32_e64 v62, v59, v62, s[10:11]
	v_cmp_ge_i32_e64 s[14:15], v63, v3
	s_waitcnt lgkmcnt(0)
	v_cmp_lt_i32_e64 s[16:17], v61, v60
	v_cmp_lt_i32_e64 s[12:13], v62, v4
	s_or_b64 s[14:15], s[14:15], s[16:17]
	s_and_b64 s[12:13], s[12:13], s[14:15]
	s_xor_b64 s[14:15], s[12:13], -1
                                        ; implicit-def: $vgpr64
	s_and_saveexec_b64 s[16:17], s[14:15]
	s_xor_b64 s[14:15], exec, s[16:17]
; %bb.23:                               ;   in Loop: Header=BB5_2 Depth=1
	v_lshlrev_b32_e32 v64, 2, v63
	ds_read_b32 v64, v64 offset:4
; %bb.24:                               ;   in Loop: Header=BB5_2 Depth=1
	s_or_saveexec_b64 s[14:15], s[14:15]
	v_mov_b32_e32 v65, v61
	s_xor_b64 exec, exec, s[14:15]
	s_cbranch_execz .LBB5_26
; %bb.25:                               ;   in Loop: Header=BB5_2 Depth=1
	s_waitcnt lgkmcnt(0)
	v_lshlrev_b32_e32 v64, 2, v62
	ds_read_b32 v65, v64 offset:4
	v_mov_b32_e32 v64, v60
.LBB5_26:                               ;   in Loop: Header=BB5_2 Depth=1
	s_or_b64 exec, exec, s[14:15]
	v_add_u32_e32 v66, 1, v63
	v_cndmask_b32_e64 v60, v60, v61, s[12:13]
	v_add_u32_e32 v61, 1, v62
	v_cndmask_b32_e64 v66, v66, v63, s[12:13]
	v_cndmask_b32_e64 v61, v62, v61, s[12:13]
	;; [unrolled: 1-line block ×3, first 2 shown]
	v_cmp_ge_i32_e64 s[12:13], v66, v3
	s_waitcnt lgkmcnt(0)
	v_cmp_lt_i32_e64 s[14:15], v65, v64
	v_cndmask_b32_e64 v56, v56, v58, s[10:11]
	v_cndmask_b32_e64 v57, v57, v59, s[10:11]
	v_cmp_lt_i32_e64 s[10:11], v61, v4
	s_or_b64 s[12:13], s[12:13], s[14:15]
	s_and_b64 s[10:11], s[10:11], s[12:13]
	v_cndmask_b32_e64 v59, v66, v61, s[10:11]
	; wave barrier
	ds_write2_b32 v45, v53, v54 offset1:1
	ds_write_b32 v45, v55 offset:8
	v_lshlrev_b32_e32 v53, 2, v57
	v_lshlrev_b32_e32 v54, 2, v62
	;; [unrolled: 1-line block ×3, first 2 shown]
	s_waitcnt lgkmcnt(0)
	; wave barrier
	ds_read_b32 v53, v53
	ds_read_b32 v54, v54
	;; [unrolled: 1-line block ×3, first 2 shown]
	v_mov_b32_e32 v59, v24
	v_cndmask_b32_e64 v58, v64, v65, s[10:11]
	s_waitcnt lgkmcnt(0)
	; wave barrier
	ds_write2_b32 v45, v56, v60 offset1:1
	ds_write_b32 v45, v58 offset:8
	s_waitcnt lgkmcnt(0)
	; wave barrier
	s_and_saveexec_b64 s[12:13], s[2:3]
	s_cbranch_execz .LBB5_30
; %bb.27:                               ;   in Loop: Header=BB5_2 Depth=1
	s_mov_b64 s[14:15], 0
	v_mov_b32_e32 v59, v24
	v_mov_b32_e32 v56, v25
.LBB5_28:                               ;   Parent Loop BB5_2 Depth=1
                                        ; =>  This Inner Loop Header: Depth=2
	v_sub_u32_e32 v57, v56, v59
	v_lshrrev_b32_e32 v57, 1, v57
	v_add_u32_e32 v57, v57, v59
	v_not_b32_e32 v60, v57
	v_lshl_add_u32 v58, v57, 2, v48
	v_lshl_add_u32 v60, v60, 2, v26
	ds_read_b32 v58, v58
	ds_read_b32 v60, v60 offset:48
	v_add_u32_e32 v61, 1, v57
	s_waitcnt lgkmcnt(0)
	v_cmp_lt_i32_e64 s[10:11], v60, v58
	v_cndmask_b32_e64 v56, v56, v57, s[10:11]
	v_cndmask_b32_e64 v59, v61, v59, s[10:11]
	v_cmp_ge_i32_e64 s[10:11], v59, v56
	s_or_b64 s[14:15], s[10:11], s[14:15]
	s_andn2_b64 exec, exec, s[14:15]
	s_cbranch_execnz .LBB5_28
; %bb.29:                               ;   in Loop: Header=BB5_2 Depth=1
	s_or_b64 exec, exec, s[14:15]
.LBB5_30:                               ;   in Loop: Header=BB5_2 Depth=1
	s_or_b64 exec, exec, s[12:13]
	v_lshl_add_u32 v61, v59, 2, v48
	v_sub_u32_e32 v56, v27, v59
	v_lshlrev_b32_e32 v62, 2, v56
	ds_read_b32 v56, v61
	ds_read_b32 v58, v62 offset:48
	v_add_u32_e32 v57, v59, v23
	v_sub_u32_e32 v59, v28, v59
	v_cmp_le_i32_e64 s[12:13], v5, v57
	v_cmp_gt_i32_e64 s[10:11], v6, v59
	s_waitcnt lgkmcnt(0)
	v_cmp_lt_i32_e64 s[14:15], v58, v56
	s_or_b64 s[12:13], s[12:13], s[14:15]
	s_and_b64 s[10:11], s[10:11], s[12:13]
	s_xor_b64 s[12:13], s[10:11], -1
                                        ; implicit-def: $vgpr60
	s_and_saveexec_b64 s[14:15], s[12:13]
	s_xor_b64 s[12:13], exec, s[14:15]
; %bb.31:                               ;   in Loop: Header=BB5_2 Depth=1
	ds_read_b32 v60, v61 offset:4
                                        ; implicit-def: $vgpr62
; %bb.32:                               ;   in Loop: Header=BB5_2 Depth=1
	s_or_saveexec_b64 s[12:13], s[12:13]
	v_mov_b32_e32 v61, v58
	s_xor_b64 exec, exec, s[12:13]
	s_cbranch_execz .LBB5_34
; %bb.33:                               ;   in Loop: Header=BB5_2 Depth=1
	ds_read_b32 v61, v62 offset:52
	s_waitcnt lgkmcnt(1)
	v_mov_b32_e32 v60, v56
.LBB5_34:                               ;   in Loop: Header=BB5_2 Depth=1
	s_or_b64 exec, exec, s[12:13]
	v_add_u32_e32 v63, 1, v57
	v_add_u32_e32 v62, 1, v59
	v_cndmask_b32_e64 v63, v63, v57, s[10:11]
	v_cndmask_b32_e64 v62, v59, v62, s[10:11]
	v_cmp_ge_i32_e64 s[14:15], v63, v5
	s_waitcnt lgkmcnt(0)
	v_cmp_lt_i32_e64 s[16:17], v61, v60
	v_cmp_lt_i32_e64 s[12:13], v62, v6
	s_or_b64 s[14:15], s[14:15], s[16:17]
	s_and_b64 s[12:13], s[12:13], s[14:15]
	s_xor_b64 s[14:15], s[12:13], -1
                                        ; implicit-def: $vgpr64
	s_and_saveexec_b64 s[16:17], s[14:15]
	s_xor_b64 s[14:15], exec, s[16:17]
; %bb.35:                               ;   in Loop: Header=BB5_2 Depth=1
	v_lshlrev_b32_e32 v64, 2, v63
	ds_read_b32 v64, v64 offset:4
; %bb.36:                               ;   in Loop: Header=BB5_2 Depth=1
	s_or_saveexec_b64 s[14:15], s[14:15]
	v_mov_b32_e32 v65, v61
	s_xor_b64 exec, exec, s[14:15]
	s_cbranch_execz .LBB5_38
; %bb.37:                               ;   in Loop: Header=BB5_2 Depth=1
	s_waitcnt lgkmcnt(0)
	v_lshlrev_b32_e32 v64, 2, v62
	ds_read_b32 v65, v64 offset:4
	v_mov_b32_e32 v64, v60
.LBB5_38:                               ;   in Loop: Header=BB5_2 Depth=1
	s_or_b64 exec, exec, s[14:15]
	v_add_u32_e32 v66, 1, v63
	v_cndmask_b32_e64 v60, v60, v61, s[12:13]
	v_add_u32_e32 v61, 1, v62
	v_cndmask_b32_e64 v66, v66, v63, s[12:13]
	v_cndmask_b32_e64 v61, v62, v61, s[12:13]
	;; [unrolled: 1-line block ×3, first 2 shown]
	v_cmp_ge_i32_e64 s[12:13], v66, v5
	s_waitcnt lgkmcnt(0)
	v_cmp_lt_i32_e64 s[14:15], v65, v64
	v_cndmask_b32_e64 v56, v56, v58, s[10:11]
	v_cndmask_b32_e64 v57, v57, v59, s[10:11]
	v_cmp_lt_i32_e64 s[10:11], v61, v6
	s_or_b64 s[12:13], s[12:13], s[14:15]
	s_and_b64 s[10:11], s[10:11], s[12:13]
	v_cndmask_b32_e64 v59, v66, v61, s[10:11]
	; wave barrier
	ds_write2_b32 v45, v53, v54 offset1:1
	ds_write_b32 v45, v55 offset:8
	v_lshlrev_b32_e32 v53, 2, v57
	v_lshlrev_b32_e32 v54, 2, v62
	v_lshlrev_b32_e32 v55, 2, v59
	s_waitcnt lgkmcnt(0)
	; wave barrier
	ds_read_b32 v53, v53
	ds_read_b32 v54, v54
	;; [unrolled: 1-line block ×3, first 2 shown]
	v_mov_b32_e32 v59, v30
	v_cndmask_b32_e64 v58, v64, v65, s[10:11]
	s_waitcnt lgkmcnt(0)
	; wave barrier
	ds_write2_b32 v45, v56, v60 offset1:1
	ds_write_b32 v45, v58 offset:8
	s_waitcnt lgkmcnt(0)
	; wave barrier
	s_and_saveexec_b64 s[12:13], s[4:5]
	s_cbranch_execz .LBB5_42
; %bb.39:                               ;   in Loop: Header=BB5_2 Depth=1
	s_mov_b64 s[14:15], 0
	v_mov_b32_e32 v59, v30
	v_mov_b32_e32 v56, v31
.LBB5_40:                               ;   Parent Loop BB5_2 Depth=1
                                        ; =>  This Inner Loop Header: Depth=2
	v_sub_u32_e32 v57, v56, v59
	v_lshrrev_b32_e32 v57, 1, v57
	v_add_u32_e32 v57, v57, v59
	v_not_b32_e32 v60, v57
	v_lshl_add_u32 v58, v57, 2, v49
	v_lshl_add_u32 v60, v60, 2, v32
	ds_read_b32 v58, v58
	ds_read_b32 v60, v60 offset:96
	v_add_u32_e32 v61, 1, v57
	s_waitcnt lgkmcnt(0)
	v_cmp_lt_i32_e64 s[10:11], v60, v58
	v_cndmask_b32_e64 v56, v56, v57, s[10:11]
	v_cndmask_b32_e64 v59, v61, v59, s[10:11]
	v_cmp_ge_i32_e64 s[10:11], v59, v56
	s_or_b64 s[14:15], s[10:11], s[14:15]
	s_andn2_b64 exec, exec, s[14:15]
	s_cbranch_execnz .LBB5_40
; %bb.41:                               ;   in Loop: Header=BB5_2 Depth=1
	s_or_b64 exec, exec, s[14:15]
.LBB5_42:                               ;   in Loop: Header=BB5_2 Depth=1
	s_or_b64 exec, exec, s[12:13]
	v_lshl_add_u32 v61, v59, 2, v49
	v_sub_u32_e32 v56, v33, v59
	v_lshlrev_b32_e32 v62, 2, v56
	ds_read_b32 v56, v61
	ds_read_b32 v58, v62 offset:96
	v_add_u32_e32 v57, v59, v29
	v_sub_u32_e32 v59, v34, v59
	v_cmp_le_i32_e64 s[12:13], v8, v57
	v_cmp_gt_i32_e64 s[10:11], v7, v59
	s_waitcnt lgkmcnt(0)
	v_cmp_lt_i32_e64 s[14:15], v58, v56
	s_or_b64 s[12:13], s[12:13], s[14:15]
	s_and_b64 s[10:11], s[10:11], s[12:13]
	s_xor_b64 s[12:13], s[10:11], -1
                                        ; implicit-def: $vgpr60
	s_and_saveexec_b64 s[14:15], s[12:13]
	s_xor_b64 s[12:13], exec, s[14:15]
; %bb.43:                               ;   in Loop: Header=BB5_2 Depth=1
	ds_read_b32 v60, v61 offset:4
                                        ; implicit-def: $vgpr62
; %bb.44:                               ;   in Loop: Header=BB5_2 Depth=1
	s_or_saveexec_b64 s[12:13], s[12:13]
	v_mov_b32_e32 v61, v58
	s_xor_b64 exec, exec, s[12:13]
	s_cbranch_execz .LBB5_46
; %bb.45:                               ;   in Loop: Header=BB5_2 Depth=1
	ds_read_b32 v61, v62 offset:100
	s_waitcnt lgkmcnt(1)
	v_mov_b32_e32 v60, v56
.LBB5_46:                               ;   in Loop: Header=BB5_2 Depth=1
	s_or_b64 exec, exec, s[12:13]
	v_add_u32_e32 v63, 1, v57
	v_add_u32_e32 v62, 1, v59
	v_cndmask_b32_e64 v63, v63, v57, s[10:11]
	v_cndmask_b32_e64 v62, v59, v62, s[10:11]
	v_cmp_ge_i32_e64 s[14:15], v63, v8
	s_waitcnt lgkmcnt(0)
	v_cmp_lt_i32_e64 s[16:17], v61, v60
	v_cmp_lt_i32_e64 s[12:13], v62, v7
	s_or_b64 s[14:15], s[14:15], s[16:17]
	s_and_b64 s[12:13], s[12:13], s[14:15]
	s_xor_b64 s[14:15], s[12:13], -1
                                        ; implicit-def: $vgpr64
	s_and_saveexec_b64 s[16:17], s[14:15]
	s_xor_b64 s[14:15], exec, s[16:17]
; %bb.47:                               ;   in Loop: Header=BB5_2 Depth=1
	v_lshlrev_b32_e32 v64, 2, v63
	ds_read_b32 v64, v64 offset:4
; %bb.48:                               ;   in Loop: Header=BB5_2 Depth=1
	s_or_saveexec_b64 s[14:15], s[14:15]
	v_mov_b32_e32 v65, v61
	s_xor_b64 exec, exec, s[14:15]
	s_cbranch_execz .LBB5_50
; %bb.49:                               ;   in Loop: Header=BB5_2 Depth=1
	s_waitcnt lgkmcnt(0)
	v_lshlrev_b32_e32 v64, 2, v62
	ds_read_b32 v65, v64 offset:4
	v_mov_b32_e32 v64, v60
.LBB5_50:                               ;   in Loop: Header=BB5_2 Depth=1
	s_or_b64 exec, exec, s[14:15]
	v_add_u32_e32 v66, 1, v63
	v_cndmask_b32_e64 v60, v60, v61, s[12:13]
	v_add_u32_e32 v61, 1, v62
	v_cndmask_b32_e64 v66, v66, v63, s[12:13]
	v_cndmask_b32_e64 v61, v62, v61, s[12:13]
	;; [unrolled: 1-line block ×3, first 2 shown]
	v_cmp_ge_i32_e64 s[12:13], v66, v8
	s_waitcnt lgkmcnt(0)
	v_cmp_lt_i32_e64 s[14:15], v65, v64
	v_cndmask_b32_e64 v56, v56, v58, s[10:11]
	v_cndmask_b32_e64 v57, v57, v59, s[10:11]
	v_cmp_lt_i32_e64 s[10:11], v61, v7
	s_or_b64 s[12:13], s[12:13], s[14:15]
	s_and_b64 s[10:11], s[10:11], s[12:13]
	v_cndmask_b32_e64 v59, v66, v61, s[10:11]
	; wave barrier
	ds_write2_b32 v45, v53, v54 offset1:1
	ds_write_b32 v45, v55 offset:8
	v_lshlrev_b32_e32 v53, 2, v57
	v_lshlrev_b32_e32 v54, 2, v62
	;; [unrolled: 1-line block ×3, first 2 shown]
	s_waitcnt lgkmcnt(0)
	; wave barrier
	ds_read_b32 v53, v53
	ds_read_b32 v54, v54
	;; [unrolled: 1-line block ×3, first 2 shown]
	v_mov_b32_e32 v59, v36
	v_cndmask_b32_e64 v58, v64, v65, s[10:11]
	s_waitcnt lgkmcnt(0)
	; wave barrier
	ds_write2_b32 v45, v56, v60 offset1:1
	ds_write_b32 v45, v58 offset:8
	s_waitcnt lgkmcnt(0)
	; wave barrier
	s_and_saveexec_b64 s[12:13], s[6:7]
	s_cbranch_execz .LBB5_54
; %bb.51:                               ;   in Loop: Header=BB5_2 Depth=1
	s_mov_b64 s[14:15], 0
	v_mov_b32_e32 v59, v36
	v_mov_b32_e32 v56, v37
.LBB5_52:                               ;   Parent Loop BB5_2 Depth=1
                                        ; =>  This Inner Loop Header: Depth=2
	v_sub_u32_e32 v57, v56, v59
	v_lshrrev_b32_e32 v57, 1, v57
	v_add_u32_e32 v57, v57, v59
	v_not_b32_e32 v60, v57
	v_lshl_add_u32 v58, v57, 2, v50
	v_lshl_add_u32 v60, v60, 2, v38
	ds_read_b32 v58, v58
	ds_read_b32 v60, v60 offset:192
	v_add_u32_e32 v61, 1, v57
	s_waitcnt lgkmcnt(0)
	v_cmp_lt_i32_e64 s[10:11], v60, v58
	v_cndmask_b32_e64 v56, v56, v57, s[10:11]
	v_cndmask_b32_e64 v59, v61, v59, s[10:11]
	v_cmp_ge_i32_e64 s[10:11], v59, v56
	s_or_b64 s[14:15], s[10:11], s[14:15]
	s_andn2_b64 exec, exec, s[14:15]
	s_cbranch_execnz .LBB5_52
; %bb.53:                               ;   in Loop: Header=BB5_2 Depth=1
	s_or_b64 exec, exec, s[14:15]
.LBB5_54:                               ;   in Loop: Header=BB5_2 Depth=1
	s_or_b64 exec, exec, s[12:13]
	v_lshl_add_u32 v61, v59, 2, v50
	v_sub_u32_e32 v56, v39, v59
	v_lshlrev_b32_e32 v62, 2, v56
	ds_read_b32 v56, v61
	ds_read_b32 v58, v62 offset:192
	v_add_u32_e32 v57, v59, v35
	v_sub_u32_e32 v59, v40, v59
	v_cmp_le_i32_e64 s[12:13], v10, v57
	v_cmp_gt_i32_e64 s[10:11], v9, v59
	s_waitcnt lgkmcnt(0)
	v_cmp_lt_i32_e64 s[14:15], v58, v56
	s_or_b64 s[12:13], s[12:13], s[14:15]
	s_and_b64 s[10:11], s[10:11], s[12:13]
	s_xor_b64 s[12:13], s[10:11], -1
                                        ; implicit-def: $vgpr60
	s_and_saveexec_b64 s[14:15], s[12:13]
	s_xor_b64 s[12:13], exec, s[14:15]
; %bb.55:                               ;   in Loop: Header=BB5_2 Depth=1
	ds_read_b32 v60, v61 offset:4
                                        ; implicit-def: $vgpr62
; %bb.56:                               ;   in Loop: Header=BB5_2 Depth=1
	s_or_saveexec_b64 s[12:13], s[12:13]
	v_mov_b32_e32 v61, v58
	s_xor_b64 exec, exec, s[12:13]
	s_cbranch_execz .LBB5_58
; %bb.57:                               ;   in Loop: Header=BB5_2 Depth=1
	ds_read_b32 v61, v62 offset:196
	s_waitcnt lgkmcnt(1)
	v_mov_b32_e32 v60, v56
.LBB5_58:                               ;   in Loop: Header=BB5_2 Depth=1
	s_or_b64 exec, exec, s[12:13]
	v_add_u32_e32 v63, 1, v57
	v_add_u32_e32 v62, 1, v59
	v_cndmask_b32_e64 v63, v63, v57, s[10:11]
	v_cndmask_b32_e64 v62, v59, v62, s[10:11]
	v_cmp_ge_i32_e64 s[14:15], v63, v10
	s_waitcnt lgkmcnt(0)
	v_cmp_lt_i32_e64 s[16:17], v61, v60
	v_cmp_lt_i32_e64 s[12:13], v62, v9
	s_or_b64 s[14:15], s[14:15], s[16:17]
	s_and_b64 s[12:13], s[12:13], s[14:15]
	s_xor_b64 s[14:15], s[12:13], -1
                                        ; implicit-def: $vgpr64
	s_and_saveexec_b64 s[16:17], s[14:15]
	s_xor_b64 s[14:15], exec, s[16:17]
; %bb.59:                               ;   in Loop: Header=BB5_2 Depth=1
	v_lshlrev_b32_e32 v64, 2, v63
	ds_read_b32 v64, v64 offset:4
; %bb.60:                               ;   in Loop: Header=BB5_2 Depth=1
	s_or_saveexec_b64 s[14:15], s[14:15]
	v_mov_b32_e32 v65, v61
	s_xor_b64 exec, exec, s[14:15]
	s_cbranch_execz .LBB5_62
; %bb.61:                               ;   in Loop: Header=BB5_2 Depth=1
	s_waitcnt lgkmcnt(0)
	v_lshlrev_b32_e32 v64, 2, v62
	ds_read_b32 v65, v64 offset:4
	v_mov_b32_e32 v64, v60
.LBB5_62:                               ;   in Loop: Header=BB5_2 Depth=1
	s_or_b64 exec, exec, s[14:15]
	v_add_u32_e32 v66, 1, v63
	v_cndmask_b32_e64 v60, v60, v61, s[12:13]
	v_add_u32_e32 v61, 1, v62
	v_cndmask_b32_e64 v66, v66, v63, s[12:13]
	v_cndmask_b32_e64 v61, v62, v61, s[12:13]
	;; [unrolled: 1-line block ×3, first 2 shown]
	v_cmp_ge_i32_e64 s[12:13], v66, v10
	s_waitcnt lgkmcnt(0)
	v_cmp_lt_i32_e64 s[14:15], v65, v64
	v_cndmask_b32_e64 v56, v56, v58, s[10:11]
	v_cndmask_b32_e64 v57, v57, v59, s[10:11]
	v_cmp_lt_i32_e64 s[10:11], v61, v9
	s_or_b64 s[12:13], s[12:13], s[14:15]
	s_and_b64 s[10:11], s[10:11], s[12:13]
	v_cndmask_b32_e64 v59, v66, v61, s[10:11]
	; wave barrier
	ds_write2_b32 v45, v53, v54 offset1:1
	ds_write_b32 v45, v55 offset:8
	v_lshlrev_b32_e32 v53, 2, v57
	v_lshlrev_b32_e32 v54, 2, v62
	;; [unrolled: 1-line block ×3, first 2 shown]
	s_waitcnt lgkmcnt(0)
	; wave barrier
	ds_read_b32 v53, v53
	ds_read_b32 v54, v54
	;; [unrolled: 1-line block ×3, first 2 shown]
	v_cndmask_b32_e64 v58, v64, v65, s[10:11]
	s_waitcnt lgkmcnt(0)
	; wave barrier
	ds_write2_b32 v45, v56, v60 offset1:1
	ds_write_b32 v45, v58 offset:8
	v_mov_b32_e32 v56, v43
	s_waitcnt lgkmcnt(0)
	; wave barrier
	s_and_saveexec_b64 s[12:13], s[8:9]
	s_cbranch_execz .LBB5_66
; %bb.63:                               ;   in Loop: Header=BB5_2 Depth=1
	s_mov_b64 s[14:15], 0
	v_mov_b32_e32 v56, v43
	v_mov_b32_e32 v57, v44
.LBB5_64:                               ;   Parent Loop BB5_2 Depth=1
                                        ; =>  This Inner Loop Header: Depth=2
	v_sub_u32_e32 v58, v57, v56
	v_lshrrev_b32_e32 v58, 1, v58
	v_add_u32_e32 v58, v58, v56
	v_not_b32_e32 v60, v58
	v_lshlrev_b32_e32 v59, 2, v58
	v_lshl_add_u32 v60, v60, 2, v52
	ds_read_b32 v59, v59
	ds_read_b32 v60, v60 offset:384
	v_add_u32_e32 v61, 1, v58
	s_waitcnt lgkmcnt(0)
	v_cmp_lt_i32_e64 s[10:11], v60, v59
	v_cndmask_b32_e64 v57, v57, v58, s[10:11]
	v_cndmask_b32_e64 v56, v61, v56, s[10:11]
	v_cmp_ge_i32_e64 s[10:11], v56, v57
	s_or_b64 s[14:15], s[10:11], s[14:15]
	s_andn2_b64 exec, exec, s[14:15]
	s_cbranch_execnz .LBB5_64
; %bb.65:                               ;   in Loop: Header=BB5_2 Depth=1
	s_or_b64 exec, exec, s[14:15]
.LBB5_66:                               ;   in Loop: Header=BB5_2 Depth=1
	s_or_b64 exec, exec, s[12:13]
	v_lshlrev_b32_e32 v61, 2, v56
	v_sub_u32_e32 v57, v42, v56
	v_lshlrev_b32_e32 v62, 2, v57
	ds_read_b32 v57, v61
	ds_read_b32 v58, v62 offset:384
	v_sub_u32_e32 v60, v51, v56
	v_cmp_le_i32_e64 s[12:13], v41, v56
	v_cmp_gt_i32_e64 s[10:11], s24, v60
                                        ; implicit-def: $vgpr59
	s_waitcnt lgkmcnt(0)
	v_cmp_lt_i32_e64 s[14:15], v58, v57
	s_or_b64 s[12:13], s[12:13], s[14:15]
	s_and_b64 s[10:11], s[10:11], s[12:13]
	s_xor_b64 s[12:13], s[10:11], -1
	s_and_saveexec_b64 s[14:15], s[12:13]
	s_xor_b64 s[12:13], exec, s[14:15]
; %bb.67:                               ;   in Loop: Header=BB5_2 Depth=1
	ds_read_b32 v59, v61 offset:4
                                        ; implicit-def: $vgpr62
; %bb.68:                               ;   in Loop: Header=BB5_2 Depth=1
	s_or_saveexec_b64 s[12:13], s[12:13]
	v_mov_b32_e32 v61, v58
	s_xor_b64 exec, exec, s[12:13]
	s_cbranch_execz .LBB5_70
; %bb.69:                               ;   in Loop: Header=BB5_2 Depth=1
	ds_read_b32 v61, v62 offset:388
	s_waitcnt lgkmcnt(1)
	v_mov_b32_e32 v59, v57
.LBB5_70:                               ;   in Loop: Header=BB5_2 Depth=1
	s_or_b64 exec, exec, s[12:13]
	v_add_u32_e32 v63, 1, v56
	v_add_u32_e32 v62, 1, v60
	v_cndmask_b32_e64 v66, v63, v56, s[10:11]
	v_cndmask_b32_e64 v62, v60, v62, s[10:11]
	v_cmp_ge_i32_e64 s[14:15], v66, v41
	s_waitcnt lgkmcnt(0)
	v_cmp_lt_i32_e64 s[16:17], v61, v59
	v_cmp_gt_i32_e64 s[12:13], s24, v62
	s_or_b64 s[14:15], s[14:15], s[16:17]
	s_and_b64 s[12:13], s[12:13], s[14:15]
	s_xor_b64 s[14:15], s[12:13], -1
                                        ; implicit-def: $vgpr64
                                        ; implicit-def: $vgpr63
	s_and_saveexec_b64 s[16:17], s[14:15]
	s_xor_b64 s[14:15], exec, s[16:17]
; %bb.71:                               ;   in Loop: Header=BB5_2 Depth=1
	v_lshlrev_b32_e32 v63, 2, v66
	ds_read_b32 v64, v63 offset:4
	v_add_u32_e32 v63, 1, v66
; %bb.72:                               ;   in Loop: Header=BB5_2 Depth=1
	s_or_saveexec_b64 s[14:15], s[14:15]
	v_mov_b32_e32 v65, v66
	v_mov_b32_e32 v67, v61
	s_xor_b64 exec, exec, s[14:15]
	s_cbranch_execz .LBB5_1
; %bb.73:                               ;   in Loop: Header=BB5_2 Depth=1
	v_lshlrev_b32_e32 v63, 2, v62
	ds_read_b32 v67, v63 offset:4
	s_waitcnt lgkmcnt(1)
	v_add_u32_e32 v64, 1, v62
	v_mov_b32_e32 v65, v62
	v_mov_b32_e32 v63, v66
	;; [unrolled: 1-line block ×4, first 2 shown]
	s_branch .LBB5_1
.LBB5_74:
	s_add_u32 s0, s26, s28
	s_waitcnt lgkmcnt(2)
	v_add_u32_e32 v1, v57, v53
	s_addc_u32 s1, s27, s29
	v_lshlrev_b32_e32 v0, 2, v0
	s_waitcnt lgkmcnt(1)
	v_add_u32_e32 v2, v58, v55
	s_waitcnt lgkmcnt(0)
	v_add_u32_e32 v3, v56, v54
	global_store_dword v0, v1, s[0:1]
	global_store_dword v0, v2, s[0:1] offset:256
	global_store_dword v0, v3, s[0:1] offset:512
	s_endpgm
	.section	.rodata,"a",@progbits
	.p2align	6, 0x0
	.amdhsa_kernel _Z17sort_pairs_kernelIiLj64ELj3EN10test_utils4lessELj10EEvPKT_PS2_T2_
		.amdhsa_group_segment_fixed_size 772
		.amdhsa_private_segment_fixed_size 0
		.amdhsa_kernarg_size 20
		.amdhsa_user_sgpr_count 6
		.amdhsa_user_sgpr_private_segment_buffer 1
		.amdhsa_user_sgpr_dispatch_ptr 0
		.amdhsa_user_sgpr_queue_ptr 0
		.amdhsa_user_sgpr_kernarg_segment_ptr 1
		.amdhsa_user_sgpr_dispatch_id 0
		.amdhsa_user_sgpr_flat_scratch_init 0
		.amdhsa_user_sgpr_private_segment_size 0
		.amdhsa_uses_dynamic_stack 0
		.amdhsa_system_sgpr_private_segment_wavefront_offset 0
		.amdhsa_system_sgpr_workgroup_id_x 1
		.amdhsa_system_sgpr_workgroup_id_y 0
		.amdhsa_system_sgpr_workgroup_id_z 0
		.amdhsa_system_sgpr_workgroup_info 0
		.amdhsa_system_vgpr_workitem_id 0
		.amdhsa_next_free_vgpr 68
		.amdhsa_next_free_sgpr 32
		.amdhsa_reserve_vcc 1
		.amdhsa_reserve_flat_scratch 0
		.amdhsa_float_round_mode_32 0
		.amdhsa_float_round_mode_16_64 0
		.amdhsa_float_denorm_mode_32 3
		.amdhsa_float_denorm_mode_16_64 3
		.amdhsa_dx10_clamp 1
		.amdhsa_ieee_mode 1
		.amdhsa_fp16_overflow 0
		.amdhsa_exception_fp_ieee_invalid_op 0
		.amdhsa_exception_fp_denorm_src 0
		.amdhsa_exception_fp_ieee_div_zero 0
		.amdhsa_exception_fp_ieee_overflow 0
		.amdhsa_exception_fp_ieee_underflow 0
		.amdhsa_exception_fp_ieee_inexact 0
		.amdhsa_exception_int_div_zero 0
	.end_amdhsa_kernel
	.section	.text._Z17sort_pairs_kernelIiLj64ELj3EN10test_utils4lessELj10EEvPKT_PS2_T2_,"axG",@progbits,_Z17sort_pairs_kernelIiLj64ELj3EN10test_utils4lessELj10EEvPKT_PS2_T2_,comdat
.Lfunc_end5:
	.size	_Z17sort_pairs_kernelIiLj64ELj3EN10test_utils4lessELj10EEvPKT_PS2_T2_, .Lfunc_end5-_Z17sort_pairs_kernelIiLj64ELj3EN10test_utils4lessELj10EEvPKT_PS2_T2_
                                        ; -- End function
	.set _Z17sort_pairs_kernelIiLj64ELj3EN10test_utils4lessELj10EEvPKT_PS2_T2_.num_vgpr, 68
	.set _Z17sort_pairs_kernelIiLj64ELj3EN10test_utils4lessELj10EEvPKT_PS2_T2_.num_agpr, 0
	.set _Z17sort_pairs_kernelIiLj64ELj3EN10test_utils4lessELj10EEvPKT_PS2_T2_.numbered_sgpr, 32
	.set _Z17sort_pairs_kernelIiLj64ELj3EN10test_utils4lessELj10EEvPKT_PS2_T2_.num_named_barrier, 0
	.set _Z17sort_pairs_kernelIiLj64ELj3EN10test_utils4lessELj10EEvPKT_PS2_T2_.private_seg_size, 0
	.set _Z17sort_pairs_kernelIiLj64ELj3EN10test_utils4lessELj10EEvPKT_PS2_T2_.uses_vcc, 1
	.set _Z17sort_pairs_kernelIiLj64ELj3EN10test_utils4lessELj10EEvPKT_PS2_T2_.uses_flat_scratch, 0
	.set _Z17sort_pairs_kernelIiLj64ELj3EN10test_utils4lessELj10EEvPKT_PS2_T2_.has_dyn_sized_stack, 0
	.set _Z17sort_pairs_kernelIiLj64ELj3EN10test_utils4lessELj10EEvPKT_PS2_T2_.has_recursion, 0
	.set _Z17sort_pairs_kernelIiLj64ELj3EN10test_utils4lessELj10EEvPKT_PS2_T2_.has_indirect_call, 0
	.section	.AMDGPU.csdata,"",@progbits
; Kernel info:
; codeLenInByte = 4380
; TotalNumSgprs: 36
; NumVgprs: 68
; ScratchSize: 0
; MemoryBound: 0
; FloatMode: 240
; IeeeMode: 1
; LDSByteSize: 772 bytes/workgroup (compile time only)
; SGPRBlocks: 4
; VGPRBlocks: 16
; NumSGPRsForWavesPerEU: 36
; NumVGPRsForWavesPerEU: 68
; Occupancy: 3
; WaveLimiterHint : 1
; COMPUTE_PGM_RSRC2:SCRATCH_EN: 0
; COMPUTE_PGM_RSRC2:USER_SGPR: 6
; COMPUTE_PGM_RSRC2:TRAP_HANDLER: 0
; COMPUTE_PGM_RSRC2:TGID_X_EN: 1
; COMPUTE_PGM_RSRC2:TGID_Y_EN: 0
; COMPUTE_PGM_RSRC2:TGID_Z_EN: 0
; COMPUTE_PGM_RSRC2:TIDIG_COMP_CNT: 0
	.section	.text._Z16sort_keys_kernelIiLj64ELj4EN10test_utils4lessELj10EEvPKT_PS2_T2_,"axG",@progbits,_Z16sort_keys_kernelIiLj64ELj4EN10test_utils4lessELj10EEvPKT_PS2_T2_,comdat
	.protected	_Z16sort_keys_kernelIiLj64ELj4EN10test_utils4lessELj10EEvPKT_PS2_T2_ ; -- Begin function _Z16sort_keys_kernelIiLj64ELj4EN10test_utils4lessELj10EEvPKT_PS2_T2_
	.globl	_Z16sort_keys_kernelIiLj64ELj4EN10test_utils4lessELj10EEvPKT_PS2_T2_
	.p2align	8
	.type	_Z16sort_keys_kernelIiLj64ELj4EN10test_utils4lessELj10EEvPKT_PS2_T2_,@function
_Z16sort_keys_kernelIiLj64ELj4EN10test_utils4lessELj10EEvPKT_PS2_T2_: ; @_Z16sort_keys_kernelIiLj64ELj4EN10test_utils4lessELj10EEvPKT_PS2_T2_
; %bb.0:
	s_load_dwordx4 s[20:23], s[4:5], 0x0
	s_lshl_b32 s26, s6, 8
	s_mov_b32 s27, 0
	s_lshl_b64 s[24:25], s[26:27], 2
	v_lshlrev_b32_e32 v29, 2, v0
	s_waitcnt lgkmcnt(0)
	s_add_u32 s0, s20, s24
	s_addc_u32 s1, s21, s25
	global_load_dword v48, v29, s[0:1]
	global_load_dword v49, v29, s[0:1] offset:256
	global_load_dword v47, v29, s[0:1] offset:512
	;; [unrolled: 1-line block ×3, first 2 shown]
	v_and_b32_e32 v1, 0xf8, v29
	v_and_b32_e32 v4, 0xf0, v29
	;; [unrolled: 1-line block ×5, first 2 shown]
	v_or_b32_e32 v2, 4, v1
	v_add_u32_e32 v3, 8, v1
	v_or_b32_e32 v5, 8, v4
	v_add_u32_e32 v6, 16, v4
	;; [unrolled: 2-line block ×5, first 2 shown]
	v_and_b32_e32 v31, 4, v29
	v_sub_u32_e32 v16, v3, v2
	v_and_b32_e32 v33, 12, v29
	v_sub_u32_e32 v18, v6, v5
	;; [unrolled: 2-line block ×5, first 2 shown]
	v_sub_u32_e32 v17, v31, v16
	v_sub_u32_e32 v19, v33, v18
	;; [unrolled: 1-line block ×5, first 2 shown]
	v_cmp_ge_i32_e32 vcc, v31, v16
	v_cmp_ge_i32_e64 s[0:1], v33, v18
	v_cmp_ge_i32_e64 s[2:3], v35, v20
	;; [unrolled: 1-line block ×4, first 2 shown]
	v_cndmask_b32_e32 v16, 0, v17, vcc
	v_sub_u32_e32 v17, v2, v1
	v_cndmask_b32_e64 v18, 0, v19, s[0:1]
	v_sub_u32_e32 v19, v5, v4
	v_cndmask_b32_e64 v20, 0, v21, s[2:3]
	;; [unrolled: 2-line block ×4, first 2 shown]
	v_sub_u32_e32 v25, v14, v13
	v_mov_b32_e32 v26, 0x80
	v_min_i32_e32 v17, v31, v17
	v_min_i32_e32 v19, v33, v19
	;; [unrolled: 1-line block ×5, first 2 shown]
	v_sub_u32_e64 v27, v29, v26 clamp
	v_min_i32_e32 v28, 0x80, v29
	v_add_u32_e32 v30, v2, v31
	v_lshlrev_b32_e32 v31, 2, v31
	v_add_u32_e32 v32, v5, v33
	v_lshlrev_b32_e32 v33, 2, v33
	;; [unrolled: 2-line block ×5, first 2 shown]
	v_lshlrev_b32_e32 v40, 4, v0
	v_cmp_lt_i32_e32 vcc, v16, v17
	v_cmp_lt_i32_e64 s[0:1], v18, v19
	v_cmp_lt_i32_e64 s[2:3], v20, v21
	;; [unrolled: 1-line block ×5, first 2 shown]
	v_add_u32_e32 v29, 0x80, v29
	v_lshl_add_u32 v31, v2, 2, v31
	v_lshl_add_u32 v33, v5, 2, v33
	;; [unrolled: 1-line block ×5, first 2 shown]
	s_movk_i32 s20, 0x100
	v_lshlrev_b32_e32 v41, 2, v1
	v_lshlrev_b32_e32 v42, 2, v4
	v_lshlrev_b32_e32 v43, 2, v7
	v_lshlrev_b32_e32 v44, 2, v10
	v_lshlrev_b32_e32 v45, 2, v13
	v_add_u32_e32 v46, 0x200, v40
	s_branch .LBB6_2
.LBB6_1:                                ;   in Loop: Header=BB6_2 Depth=1
	s_or_b64 exec, exec, s[16:17]
	v_cndmask_b32_e64 v48, v47, v48, s[10:11]
	v_cndmask_b32_e64 v49, v49, v50, s[12:13]
	;; [unrolled: 1-line block ×3, first 2 shown]
	v_cmp_ge_i32_e64 s[12:13], v56, v26
	s_waitcnt lgkmcnt(0)
	v_cmp_lt_i32_e64 s[14:15], v57, v54
	v_cmp_gt_i32_e64 s[10:11], s20, v53
	s_or_b64 s[12:13], s[12:13], s[14:15]
	s_and_b64 s[10:11], s[10:11], s[12:13]
	s_add_i32 s27, s27, 1
	s_cmp_eq_u32 s27, 10
	v_cndmask_b32_e64 v50, v54, v57, s[10:11]
	s_cbranch_scc1 .LBB6_98
.LBB6_2:                                ; =>This Loop Header: Depth=1
                                        ;     Child Loop BB6_4 Depth 2
                                        ;     Child Loop BB6_20 Depth 2
	;; [unrolled: 1-line block ×6, first 2 shown]
	s_waitcnt vmcnt(2)
	v_cmp_lt_i32_e64 s[10:11], v49, v48
	v_cndmask_b32_e64 v51, v48, v49, s[10:11]
	v_cndmask_b32_e64 v52, v49, v48, s[10:11]
	s_waitcnt vmcnt(0)
	v_cmp_lt_i32_e64 s[10:11], v50, v47
	v_min_i32_e32 v53, v49, v48
	v_max_i32_e32 v48, v49, v48
	v_cndmask_b32_e64 v49, v50, v47, s[10:11]
	v_cndmask_b32_e64 v54, v47, v50, s[10:11]
	v_max_i32_e32 v55, v50, v47
	v_min_i32_e32 v47, v50, v47
	v_cmp_lt_i32_e64 s[10:11], v47, v48
	v_cndmask_b32_e64 v50, v54, v48, s[10:11]
	v_cndmask_b32_e64 v52, v52, v47, s[10:11]
	v_min_i32_e32 v56, v47, v48
	v_cmp_lt_i32_e64 s[10:11], v47, v53
	v_max_i32_e32 v54, v47, v48
	v_cndmask_b32_e64 v47, v51, v56, s[10:11]
	v_cndmask_b32_e64 v51, v52, v53, s[10:11]
	;; [unrolled: 1-line block ×3, first 2 shown]
	v_cmp_gt_i32_e64 s[10:11], v48, v55
	v_cndmask_b32_e64 v48, v49, v54, s[10:11]
	v_cndmask_b32_e64 v49, v50, v55, s[10:11]
	;; [unrolled: 1-line block ×3, first 2 shown]
	v_cmp_lt_i32_e64 s[10:11], v50, v52
	v_cndmask_b32_e64 v49, v49, v52, s[10:11]
	v_cndmask_b32_e64 v50, v51, v50, s[10:11]
	; wave barrier
	ds_write2_b32 v40, v47, v50 offset1:1
	ds_write2_b32 v40, v49, v48 offset0:2 offset1:3
	v_mov_b32_e32 v49, v16
	s_waitcnt lgkmcnt(0)
	; wave barrier
	s_and_saveexec_b64 s[12:13], vcc
	s_cbranch_execz .LBB6_6
; %bb.3:                                ;   in Loop: Header=BB6_2 Depth=1
	s_mov_b64 s[14:15], 0
	v_mov_b32_e32 v49, v16
	v_mov_b32_e32 v47, v17
.LBB6_4:                                ;   Parent Loop BB6_2 Depth=1
                                        ; =>  This Inner Loop Header: Depth=2
	v_sub_u32_e32 v48, v47, v49
	v_lshrrev_b32_e32 v48, 1, v48
	v_add_u32_e32 v48, v48, v49
	v_not_b32_e32 v51, v48
	v_lshl_add_u32 v50, v48, 2, v41
	v_lshl_add_u32 v51, v51, 2, v31
	ds_read_b32 v50, v50
	ds_read_b32 v51, v51
	v_add_u32_e32 v52, 1, v48
	s_waitcnt lgkmcnt(0)
	v_cmp_lt_i32_e64 s[10:11], v51, v50
	v_cndmask_b32_e64 v47, v47, v48, s[10:11]
	v_cndmask_b32_e64 v49, v52, v49, s[10:11]
	v_cmp_ge_i32_e64 s[10:11], v49, v47
	s_or_b64 s[14:15], s[10:11], s[14:15]
	s_andn2_b64 exec, exec, s[14:15]
	s_cbranch_execnz .LBB6_4
; %bb.5:                                ;   in Loop: Header=BB6_2 Depth=1
	s_or_b64 exec, exec, s[14:15]
.LBB6_6:                                ;   in Loop: Header=BB6_2 Depth=1
	s_or_b64 exec, exec, s[12:13]
	v_sub_u32_e32 v51, v30, v49
	v_lshl_add_u32 v50, v49, 2, v41
	v_lshlrev_b32_e32 v53, 2, v51
	ds_read_b32 v47, v50
	ds_read_b32 v48, v53
	v_add_u32_e32 v52, v49, v1
	v_cmp_le_i32_e64 s[12:13], v2, v52
	v_cmp_gt_i32_e64 s[10:11], v3, v51
                                        ; implicit-def: $vgpr49
	s_waitcnt lgkmcnt(0)
	v_cmp_lt_i32_e64 s[14:15], v48, v47
	s_or_b64 s[12:13], s[12:13], s[14:15]
	s_and_b64 s[10:11], s[10:11], s[12:13]
	s_xor_b64 s[12:13], s[10:11], -1
	s_and_saveexec_b64 s[14:15], s[12:13]
	s_xor_b64 s[12:13], exec, s[14:15]
; %bb.7:                                ;   in Loop: Header=BB6_2 Depth=1
	ds_read_b32 v49, v50 offset:4
                                        ; implicit-def: $vgpr53
; %bb.8:                                ;   in Loop: Header=BB6_2 Depth=1
	s_or_saveexec_b64 s[12:13], s[12:13]
	v_mov_b32_e32 v50, v48
	s_xor_b64 exec, exec, s[12:13]
	s_cbranch_execz .LBB6_10
; %bb.9:                                ;   in Loop: Header=BB6_2 Depth=1
	ds_read_b32 v50, v53 offset:4
	s_waitcnt lgkmcnt(1)
	v_mov_b32_e32 v49, v47
.LBB6_10:                               ;   in Loop: Header=BB6_2 Depth=1
	s_or_b64 exec, exec, s[12:13]
	v_add_u32_e32 v54, 1, v52
	v_add_u32_e32 v53, 1, v51
	v_cndmask_b32_e64 v54, v54, v52, s[10:11]
	v_cndmask_b32_e64 v53, v51, v53, s[10:11]
	v_cmp_ge_i32_e64 s[14:15], v54, v2
	s_waitcnt lgkmcnt(0)
	v_cmp_lt_i32_e64 s[16:17], v50, v49
	v_cmp_lt_i32_e64 s[12:13], v53, v3
	s_or_b64 s[14:15], s[14:15], s[16:17]
	s_and_b64 s[12:13], s[12:13], s[14:15]
	s_xor_b64 s[14:15], s[12:13], -1
                                        ; implicit-def: $vgpr51
	s_and_saveexec_b64 s[16:17], s[14:15]
	s_xor_b64 s[14:15], exec, s[16:17]
; %bb.11:                               ;   in Loop: Header=BB6_2 Depth=1
	v_lshlrev_b32_e32 v51, 2, v54
	ds_read_b32 v51, v51 offset:4
; %bb.12:                               ;   in Loop: Header=BB6_2 Depth=1
	s_or_saveexec_b64 s[14:15], s[14:15]
	v_mov_b32_e32 v52, v50
	s_xor_b64 exec, exec, s[14:15]
	s_cbranch_execz .LBB6_14
; %bb.13:                               ;   in Loop: Header=BB6_2 Depth=1
	s_waitcnt lgkmcnt(0)
	v_lshlrev_b32_e32 v51, 2, v53
	ds_read_b32 v52, v51 offset:4
	v_mov_b32_e32 v51, v49
.LBB6_14:                               ;   in Loop: Header=BB6_2 Depth=1
	s_or_b64 exec, exec, s[14:15]
	v_add_u32_e32 v56, 1, v54
	v_add_u32_e32 v55, 1, v53
	v_cndmask_b32_e64 v54, v56, v54, s[12:13]
	v_cndmask_b32_e64 v53, v53, v55, s[12:13]
	v_cmp_ge_i32_e64 s[16:17], v54, v2
	s_waitcnt lgkmcnt(0)
	v_cmp_lt_i32_e64 s[18:19], v52, v51
	v_cmp_lt_i32_e64 s[14:15], v53, v3
	s_or_b64 s[16:17], s[16:17], s[18:19]
	s_and_b64 s[14:15], s[14:15], s[16:17]
	s_xor_b64 s[16:17], s[14:15], -1
                                        ; implicit-def: $vgpr55
	s_and_saveexec_b64 s[18:19], s[16:17]
	s_xor_b64 s[16:17], exec, s[18:19]
; %bb.15:                               ;   in Loop: Header=BB6_2 Depth=1
	v_lshlrev_b32_e32 v55, 2, v54
	ds_read_b32 v55, v55 offset:4
; %bb.16:                               ;   in Loop: Header=BB6_2 Depth=1
	s_or_saveexec_b64 s[16:17], s[16:17]
	v_mov_b32_e32 v56, v52
	s_xor_b64 exec, exec, s[16:17]
	s_cbranch_execz .LBB6_18
; %bb.17:                               ;   in Loop: Header=BB6_2 Depth=1
	s_waitcnt lgkmcnt(0)
	v_lshlrev_b32_e32 v55, 2, v53
	ds_read_b32 v56, v55 offset:4
	v_mov_b32_e32 v55, v51
.LBB6_18:                               ;   in Loop: Header=BB6_2 Depth=1
	s_or_b64 exec, exec, s[16:17]
	v_cndmask_b32_e64 v51, v51, v52, s[14:15]
	v_add_u32_e32 v52, 1, v53
	v_add_u32_e32 v57, 1, v54
	v_cndmask_b32_e64 v52, v53, v52, s[14:15]
	v_cndmask_b32_e64 v53, v57, v54, s[14:15]
	;; [unrolled: 1-line block ×3, first 2 shown]
	v_cmp_ge_i32_e64 s[12:13], v53, v2
	s_waitcnt lgkmcnt(0)
	v_cmp_lt_i32_e64 s[14:15], v56, v55
	v_cndmask_b32_e64 v47, v47, v48, s[10:11]
	v_cmp_lt_i32_e64 s[10:11], v52, v3
	s_or_b64 s[12:13], s[12:13], s[14:15]
	s_and_b64 s[10:11], s[10:11], s[12:13]
	v_cndmask_b32_e64 v48, v55, v56, s[10:11]
	; wave barrier
	ds_write2_b32 v40, v47, v49 offset1:1
	ds_write2_b32 v40, v51, v48 offset0:2 offset1:3
	v_mov_b32_e32 v49, v18
	s_waitcnt lgkmcnt(0)
	; wave barrier
	s_and_saveexec_b64 s[12:13], s[0:1]
	s_cbranch_execz .LBB6_22
; %bb.19:                               ;   in Loop: Header=BB6_2 Depth=1
	s_mov_b64 s[14:15], 0
	v_mov_b32_e32 v49, v18
	v_mov_b32_e32 v47, v19
.LBB6_20:                               ;   Parent Loop BB6_2 Depth=1
                                        ; =>  This Inner Loop Header: Depth=2
	v_sub_u32_e32 v48, v47, v49
	v_lshrrev_b32_e32 v48, 1, v48
	v_add_u32_e32 v48, v48, v49
	v_not_b32_e32 v51, v48
	v_lshl_add_u32 v50, v48, 2, v42
	v_lshl_add_u32 v51, v51, 2, v33
	ds_read_b32 v50, v50
	ds_read_b32 v51, v51
	v_add_u32_e32 v52, 1, v48
	s_waitcnt lgkmcnt(0)
	v_cmp_lt_i32_e64 s[10:11], v51, v50
	v_cndmask_b32_e64 v47, v47, v48, s[10:11]
	v_cndmask_b32_e64 v49, v52, v49, s[10:11]
	v_cmp_ge_i32_e64 s[10:11], v49, v47
	s_or_b64 s[14:15], s[10:11], s[14:15]
	s_andn2_b64 exec, exec, s[14:15]
	s_cbranch_execnz .LBB6_20
; %bb.21:                               ;   in Loop: Header=BB6_2 Depth=1
	s_or_b64 exec, exec, s[14:15]
.LBB6_22:                               ;   in Loop: Header=BB6_2 Depth=1
	s_or_b64 exec, exec, s[12:13]
	v_sub_u32_e32 v51, v32, v49
	v_lshl_add_u32 v50, v49, 2, v42
	v_lshlrev_b32_e32 v53, 2, v51
	ds_read_b32 v47, v50
	ds_read_b32 v48, v53
	v_add_u32_e32 v52, v49, v4
	v_cmp_le_i32_e64 s[12:13], v5, v52
	v_cmp_gt_i32_e64 s[10:11], v6, v51
                                        ; implicit-def: $vgpr49
	s_waitcnt lgkmcnt(0)
	v_cmp_lt_i32_e64 s[14:15], v48, v47
	s_or_b64 s[12:13], s[12:13], s[14:15]
	s_and_b64 s[10:11], s[10:11], s[12:13]
	s_xor_b64 s[12:13], s[10:11], -1
	s_and_saveexec_b64 s[14:15], s[12:13]
	s_xor_b64 s[12:13], exec, s[14:15]
; %bb.23:                               ;   in Loop: Header=BB6_2 Depth=1
	ds_read_b32 v49, v50 offset:4
                                        ; implicit-def: $vgpr53
; %bb.24:                               ;   in Loop: Header=BB6_2 Depth=1
	s_or_saveexec_b64 s[12:13], s[12:13]
	v_mov_b32_e32 v50, v48
	s_xor_b64 exec, exec, s[12:13]
	s_cbranch_execz .LBB6_26
; %bb.25:                               ;   in Loop: Header=BB6_2 Depth=1
	ds_read_b32 v50, v53 offset:4
	s_waitcnt lgkmcnt(1)
	v_mov_b32_e32 v49, v47
.LBB6_26:                               ;   in Loop: Header=BB6_2 Depth=1
	s_or_b64 exec, exec, s[12:13]
	v_add_u32_e32 v54, 1, v52
	v_add_u32_e32 v53, 1, v51
	v_cndmask_b32_e64 v54, v54, v52, s[10:11]
	v_cndmask_b32_e64 v53, v51, v53, s[10:11]
	v_cmp_ge_i32_e64 s[14:15], v54, v5
	s_waitcnt lgkmcnt(0)
	v_cmp_lt_i32_e64 s[16:17], v50, v49
	v_cmp_lt_i32_e64 s[12:13], v53, v6
	s_or_b64 s[14:15], s[14:15], s[16:17]
	s_and_b64 s[12:13], s[12:13], s[14:15]
	s_xor_b64 s[14:15], s[12:13], -1
                                        ; implicit-def: $vgpr51
	s_and_saveexec_b64 s[16:17], s[14:15]
	s_xor_b64 s[14:15], exec, s[16:17]
; %bb.27:                               ;   in Loop: Header=BB6_2 Depth=1
	v_lshlrev_b32_e32 v51, 2, v54
	ds_read_b32 v51, v51 offset:4
; %bb.28:                               ;   in Loop: Header=BB6_2 Depth=1
	s_or_saveexec_b64 s[14:15], s[14:15]
	v_mov_b32_e32 v52, v50
	s_xor_b64 exec, exec, s[14:15]
	s_cbranch_execz .LBB6_30
; %bb.29:                               ;   in Loop: Header=BB6_2 Depth=1
	s_waitcnt lgkmcnt(0)
	v_lshlrev_b32_e32 v51, 2, v53
	ds_read_b32 v52, v51 offset:4
	v_mov_b32_e32 v51, v49
.LBB6_30:                               ;   in Loop: Header=BB6_2 Depth=1
	s_or_b64 exec, exec, s[14:15]
	v_add_u32_e32 v56, 1, v54
	v_add_u32_e32 v55, 1, v53
	v_cndmask_b32_e64 v54, v56, v54, s[12:13]
	v_cndmask_b32_e64 v53, v53, v55, s[12:13]
	v_cmp_ge_i32_e64 s[16:17], v54, v5
	s_waitcnt lgkmcnt(0)
	v_cmp_lt_i32_e64 s[18:19], v52, v51
	v_cmp_lt_i32_e64 s[14:15], v53, v6
	s_or_b64 s[16:17], s[16:17], s[18:19]
	s_and_b64 s[14:15], s[14:15], s[16:17]
	s_xor_b64 s[16:17], s[14:15], -1
                                        ; implicit-def: $vgpr55
	s_and_saveexec_b64 s[18:19], s[16:17]
	s_xor_b64 s[16:17], exec, s[18:19]
; %bb.31:                               ;   in Loop: Header=BB6_2 Depth=1
	v_lshlrev_b32_e32 v55, 2, v54
	ds_read_b32 v55, v55 offset:4
; %bb.32:                               ;   in Loop: Header=BB6_2 Depth=1
	s_or_saveexec_b64 s[16:17], s[16:17]
	v_mov_b32_e32 v56, v52
	s_xor_b64 exec, exec, s[16:17]
	s_cbranch_execz .LBB6_34
; %bb.33:                               ;   in Loop: Header=BB6_2 Depth=1
	s_waitcnt lgkmcnt(0)
	v_lshlrev_b32_e32 v55, 2, v53
	ds_read_b32 v56, v55 offset:4
	v_mov_b32_e32 v55, v51
.LBB6_34:                               ;   in Loop: Header=BB6_2 Depth=1
	s_or_b64 exec, exec, s[16:17]
	v_cndmask_b32_e64 v51, v51, v52, s[14:15]
	v_add_u32_e32 v52, 1, v53
	v_add_u32_e32 v57, 1, v54
	v_cndmask_b32_e64 v52, v53, v52, s[14:15]
	v_cndmask_b32_e64 v53, v57, v54, s[14:15]
	;; [unrolled: 1-line block ×3, first 2 shown]
	v_cmp_ge_i32_e64 s[12:13], v53, v5
	s_waitcnt lgkmcnt(0)
	v_cmp_lt_i32_e64 s[14:15], v56, v55
	v_cndmask_b32_e64 v47, v47, v48, s[10:11]
	v_cmp_lt_i32_e64 s[10:11], v52, v6
	s_or_b64 s[12:13], s[12:13], s[14:15]
	s_and_b64 s[10:11], s[10:11], s[12:13]
	v_cndmask_b32_e64 v48, v55, v56, s[10:11]
	; wave barrier
	ds_write2_b32 v40, v47, v49 offset1:1
	ds_write2_b32 v40, v51, v48 offset0:2 offset1:3
	v_mov_b32_e32 v49, v20
	s_waitcnt lgkmcnt(0)
	; wave barrier
	s_and_saveexec_b64 s[12:13], s[2:3]
	s_cbranch_execz .LBB6_38
; %bb.35:                               ;   in Loop: Header=BB6_2 Depth=1
	s_mov_b64 s[14:15], 0
	v_mov_b32_e32 v49, v20
	v_mov_b32_e32 v47, v21
.LBB6_36:                               ;   Parent Loop BB6_2 Depth=1
                                        ; =>  This Inner Loop Header: Depth=2
	v_sub_u32_e32 v48, v47, v49
	v_lshrrev_b32_e32 v48, 1, v48
	v_add_u32_e32 v48, v48, v49
	v_not_b32_e32 v51, v48
	v_lshl_add_u32 v50, v48, 2, v43
	v_lshl_add_u32 v51, v51, 2, v35
	ds_read_b32 v50, v50
	ds_read_b32 v51, v51
	v_add_u32_e32 v52, 1, v48
	s_waitcnt lgkmcnt(0)
	v_cmp_lt_i32_e64 s[10:11], v51, v50
	v_cndmask_b32_e64 v47, v47, v48, s[10:11]
	v_cndmask_b32_e64 v49, v52, v49, s[10:11]
	v_cmp_ge_i32_e64 s[10:11], v49, v47
	s_or_b64 s[14:15], s[10:11], s[14:15]
	s_andn2_b64 exec, exec, s[14:15]
	s_cbranch_execnz .LBB6_36
; %bb.37:                               ;   in Loop: Header=BB6_2 Depth=1
	s_or_b64 exec, exec, s[14:15]
.LBB6_38:                               ;   in Loop: Header=BB6_2 Depth=1
	s_or_b64 exec, exec, s[12:13]
	v_sub_u32_e32 v51, v34, v49
	v_lshl_add_u32 v50, v49, 2, v43
	v_lshlrev_b32_e32 v53, 2, v51
	ds_read_b32 v47, v50
	ds_read_b32 v48, v53
	v_add_u32_e32 v52, v49, v7
	v_cmp_le_i32_e64 s[12:13], v8, v52
	v_cmp_gt_i32_e64 s[10:11], v9, v51
                                        ; implicit-def: $vgpr49
	s_waitcnt lgkmcnt(0)
	v_cmp_lt_i32_e64 s[14:15], v48, v47
	s_or_b64 s[12:13], s[12:13], s[14:15]
	s_and_b64 s[10:11], s[10:11], s[12:13]
	s_xor_b64 s[12:13], s[10:11], -1
	s_and_saveexec_b64 s[14:15], s[12:13]
	s_xor_b64 s[12:13], exec, s[14:15]
; %bb.39:                               ;   in Loop: Header=BB6_2 Depth=1
	ds_read_b32 v49, v50 offset:4
                                        ; implicit-def: $vgpr53
; %bb.40:                               ;   in Loop: Header=BB6_2 Depth=1
	s_or_saveexec_b64 s[12:13], s[12:13]
	v_mov_b32_e32 v50, v48
	s_xor_b64 exec, exec, s[12:13]
	s_cbranch_execz .LBB6_42
; %bb.41:                               ;   in Loop: Header=BB6_2 Depth=1
	ds_read_b32 v50, v53 offset:4
	s_waitcnt lgkmcnt(1)
	v_mov_b32_e32 v49, v47
.LBB6_42:                               ;   in Loop: Header=BB6_2 Depth=1
	s_or_b64 exec, exec, s[12:13]
	v_add_u32_e32 v54, 1, v52
	v_add_u32_e32 v53, 1, v51
	v_cndmask_b32_e64 v54, v54, v52, s[10:11]
	v_cndmask_b32_e64 v53, v51, v53, s[10:11]
	v_cmp_ge_i32_e64 s[14:15], v54, v8
	s_waitcnt lgkmcnt(0)
	v_cmp_lt_i32_e64 s[16:17], v50, v49
	v_cmp_lt_i32_e64 s[12:13], v53, v9
	s_or_b64 s[14:15], s[14:15], s[16:17]
	s_and_b64 s[12:13], s[12:13], s[14:15]
	s_xor_b64 s[14:15], s[12:13], -1
                                        ; implicit-def: $vgpr51
	s_and_saveexec_b64 s[16:17], s[14:15]
	s_xor_b64 s[14:15], exec, s[16:17]
; %bb.43:                               ;   in Loop: Header=BB6_2 Depth=1
	v_lshlrev_b32_e32 v51, 2, v54
	ds_read_b32 v51, v51 offset:4
; %bb.44:                               ;   in Loop: Header=BB6_2 Depth=1
	s_or_saveexec_b64 s[14:15], s[14:15]
	v_mov_b32_e32 v52, v50
	s_xor_b64 exec, exec, s[14:15]
	s_cbranch_execz .LBB6_46
; %bb.45:                               ;   in Loop: Header=BB6_2 Depth=1
	s_waitcnt lgkmcnt(0)
	v_lshlrev_b32_e32 v51, 2, v53
	ds_read_b32 v52, v51 offset:4
	v_mov_b32_e32 v51, v49
.LBB6_46:                               ;   in Loop: Header=BB6_2 Depth=1
	s_or_b64 exec, exec, s[14:15]
	v_add_u32_e32 v56, 1, v54
	v_add_u32_e32 v55, 1, v53
	v_cndmask_b32_e64 v54, v56, v54, s[12:13]
	v_cndmask_b32_e64 v53, v53, v55, s[12:13]
	v_cmp_ge_i32_e64 s[16:17], v54, v8
	s_waitcnt lgkmcnt(0)
	v_cmp_lt_i32_e64 s[18:19], v52, v51
	v_cmp_lt_i32_e64 s[14:15], v53, v9
	s_or_b64 s[16:17], s[16:17], s[18:19]
	s_and_b64 s[14:15], s[14:15], s[16:17]
	s_xor_b64 s[16:17], s[14:15], -1
                                        ; implicit-def: $vgpr55
	s_and_saveexec_b64 s[18:19], s[16:17]
	s_xor_b64 s[16:17], exec, s[18:19]
; %bb.47:                               ;   in Loop: Header=BB6_2 Depth=1
	v_lshlrev_b32_e32 v55, 2, v54
	ds_read_b32 v55, v55 offset:4
; %bb.48:                               ;   in Loop: Header=BB6_2 Depth=1
	s_or_saveexec_b64 s[16:17], s[16:17]
	v_mov_b32_e32 v56, v52
	s_xor_b64 exec, exec, s[16:17]
	s_cbranch_execz .LBB6_50
; %bb.49:                               ;   in Loop: Header=BB6_2 Depth=1
	s_waitcnt lgkmcnt(0)
	v_lshlrev_b32_e32 v55, 2, v53
	ds_read_b32 v56, v55 offset:4
	v_mov_b32_e32 v55, v51
.LBB6_50:                               ;   in Loop: Header=BB6_2 Depth=1
	s_or_b64 exec, exec, s[16:17]
	v_cndmask_b32_e64 v51, v51, v52, s[14:15]
	v_add_u32_e32 v52, 1, v53
	v_add_u32_e32 v57, 1, v54
	v_cndmask_b32_e64 v52, v53, v52, s[14:15]
	v_cndmask_b32_e64 v53, v57, v54, s[14:15]
	;; [unrolled: 1-line block ×3, first 2 shown]
	v_cmp_ge_i32_e64 s[12:13], v53, v8
	s_waitcnt lgkmcnt(0)
	v_cmp_lt_i32_e64 s[14:15], v56, v55
	v_cndmask_b32_e64 v47, v47, v48, s[10:11]
	v_cmp_lt_i32_e64 s[10:11], v52, v9
	s_or_b64 s[12:13], s[12:13], s[14:15]
	s_and_b64 s[10:11], s[10:11], s[12:13]
	v_cndmask_b32_e64 v48, v55, v56, s[10:11]
	; wave barrier
	ds_write2_b32 v40, v47, v49 offset1:1
	ds_write2_b32 v40, v51, v48 offset0:2 offset1:3
	v_mov_b32_e32 v49, v22
	s_waitcnt lgkmcnt(0)
	; wave barrier
	s_and_saveexec_b64 s[12:13], s[4:5]
	s_cbranch_execz .LBB6_54
; %bb.51:                               ;   in Loop: Header=BB6_2 Depth=1
	s_mov_b64 s[14:15], 0
	v_mov_b32_e32 v49, v22
	v_mov_b32_e32 v47, v23
.LBB6_52:                               ;   Parent Loop BB6_2 Depth=1
                                        ; =>  This Inner Loop Header: Depth=2
	v_sub_u32_e32 v48, v47, v49
	v_lshrrev_b32_e32 v48, 1, v48
	v_add_u32_e32 v48, v48, v49
	v_not_b32_e32 v51, v48
	v_lshl_add_u32 v50, v48, 2, v44
	v_lshl_add_u32 v51, v51, 2, v37
	ds_read_b32 v50, v50
	ds_read_b32 v51, v51
	v_add_u32_e32 v52, 1, v48
	s_waitcnt lgkmcnt(0)
	v_cmp_lt_i32_e64 s[10:11], v51, v50
	v_cndmask_b32_e64 v47, v47, v48, s[10:11]
	v_cndmask_b32_e64 v49, v52, v49, s[10:11]
	v_cmp_ge_i32_e64 s[10:11], v49, v47
	s_or_b64 s[14:15], s[10:11], s[14:15]
	s_andn2_b64 exec, exec, s[14:15]
	s_cbranch_execnz .LBB6_52
; %bb.53:                               ;   in Loop: Header=BB6_2 Depth=1
	s_or_b64 exec, exec, s[14:15]
.LBB6_54:                               ;   in Loop: Header=BB6_2 Depth=1
	s_or_b64 exec, exec, s[12:13]
	v_sub_u32_e32 v51, v36, v49
	v_lshl_add_u32 v50, v49, 2, v44
	v_lshlrev_b32_e32 v53, 2, v51
	ds_read_b32 v47, v50
	ds_read_b32 v48, v53
	v_add_u32_e32 v52, v49, v10
	v_cmp_le_i32_e64 s[12:13], v11, v52
	v_cmp_gt_i32_e64 s[10:11], v12, v51
                                        ; implicit-def: $vgpr49
	s_waitcnt lgkmcnt(0)
	v_cmp_lt_i32_e64 s[14:15], v48, v47
	s_or_b64 s[12:13], s[12:13], s[14:15]
	s_and_b64 s[10:11], s[10:11], s[12:13]
	s_xor_b64 s[12:13], s[10:11], -1
	s_and_saveexec_b64 s[14:15], s[12:13]
	s_xor_b64 s[12:13], exec, s[14:15]
; %bb.55:                               ;   in Loop: Header=BB6_2 Depth=1
	ds_read_b32 v49, v50 offset:4
                                        ; implicit-def: $vgpr53
; %bb.56:                               ;   in Loop: Header=BB6_2 Depth=1
	s_or_saveexec_b64 s[12:13], s[12:13]
	v_mov_b32_e32 v50, v48
	s_xor_b64 exec, exec, s[12:13]
	s_cbranch_execz .LBB6_58
; %bb.57:                               ;   in Loop: Header=BB6_2 Depth=1
	ds_read_b32 v50, v53 offset:4
	s_waitcnt lgkmcnt(1)
	v_mov_b32_e32 v49, v47
.LBB6_58:                               ;   in Loop: Header=BB6_2 Depth=1
	s_or_b64 exec, exec, s[12:13]
	v_add_u32_e32 v54, 1, v52
	v_add_u32_e32 v53, 1, v51
	v_cndmask_b32_e64 v54, v54, v52, s[10:11]
	v_cndmask_b32_e64 v53, v51, v53, s[10:11]
	v_cmp_ge_i32_e64 s[14:15], v54, v11
	s_waitcnt lgkmcnt(0)
	v_cmp_lt_i32_e64 s[16:17], v50, v49
	v_cmp_lt_i32_e64 s[12:13], v53, v12
	s_or_b64 s[14:15], s[14:15], s[16:17]
	s_and_b64 s[12:13], s[12:13], s[14:15]
	s_xor_b64 s[14:15], s[12:13], -1
                                        ; implicit-def: $vgpr51
	s_and_saveexec_b64 s[16:17], s[14:15]
	s_xor_b64 s[14:15], exec, s[16:17]
; %bb.59:                               ;   in Loop: Header=BB6_2 Depth=1
	v_lshlrev_b32_e32 v51, 2, v54
	ds_read_b32 v51, v51 offset:4
; %bb.60:                               ;   in Loop: Header=BB6_2 Depth=1
	s_or_saveexec_b64 s[14:15], s[14:15]
	v_mov_b32_e32 v52, v50
	s_xor_b64 exec, exec, s[14:15]
	s_cbranch_execz .LBB6_62
; %bb.61:                               ;   in Loop: Header=BB6_2 Depth=1
	s_waitcnt lgkmcnt(0)
	v_lshlrev_b32_e32 v51, 2, v53
	ds_read_b32 v52, v51 offset:4
	v_mov_b32_e32 v51, v49
.LBB6_62:                               ;   in Loop: Header=BB6_2 Depth=1
	s_or_b64 exec, exec, s[14:15]
	v_add_u32_e32 v56, 1, v54
	v_add_u32_e32 v55, 1, v53
	v_cndmask_b32_e64 v54, v56, v54, s[12:13]
	v_cndmask_b32_e64 v53, v53, v55, s[12:13]
	v_cmp_ge_i32_e64 s[16:17], v54, v11
	s_waitcnt lgkmcnt(0)
	v_cmp_lt_i32_e64 s[18:19], v52, v51
	v_cmp_lt_i32_e64 s[14:15], v53, v12
	s_or_b64 s[16:17], s[16:17], s[18:19]
	s_and_b64 s[14:15], s[14:15], s[16:17]
	s_xor_b64 s[16:17], s[14:15], -1
                                        ; implicit-def: $vgpr55
	s_and_saveexec_b64 s[18:19], s[16:17]
	s_xor_b64 s[16:17], exec, s[18:19]
; %bb.63:                               ;   in Loop: Header=BB6_2 Depth=1
	v_lshlrev_b32_e32 v55, 2, v54
	ds_read_b32 v55, v55 offset:4
; %bb.64:                               ;   in Loop: Header=BB6_2 Depth=1
	s_or_saveexec_b64 s[16:17], s[16:17]
	v_mov_b32_e32 v56, v52
	s_xor_b64 exec, exec, s[16:17]
	s_cbranch_execz .LBB6_66
; %bb.65:                               ;   in Loop: Header=BB6_2 Depth=1
	s_waitcnt lgkmcnt(0)
	v_lshlrev_b32_e32 v55, 2, v53
	ds_read_b32 v56, v55 offset:4
	v_mov_b32_e32 v55, v51
.LBB6_66:                               ;   in Loop: Header=BB6_2 Depth=1
	s_or_b64 exec, exec, s[16:17]
	v_cndmask_b32_e64 v51, v51, v52, s[14:15]
	v_add_u32_e32 v52, 1, v53
	v_add_u32_e32 v57, 1, v54
	v_cndmask_b32_e64 v52, v53, v52, s[14:15]
	v_cndmask_b32_e64 v53, v57, v54, s[14:15]
	;; [unrolled: 1-line block ×3, first 2 shown]
	v_cmp_ge_i32_e64 s[12:13], v53, v11
	s_waitcnt lgkmcnt(0)
	v_cmp_lt_i32_e64 s[14:15], v56, v55
	v_cndmask_b32_e64 v47, v47, v48, s[10:11]
	v_cmp_lt_i32_e64 s[10:11], v52, v12
	s_or_b64 s[12:13], s[12:13], s[14:15]
	s_and_b64 s[10:11], s[10:11], s[12:13]
	v_cndmask_b32_e64 v48, v55, v56, s[10:11]
	; wave barrier
	ds_write2_b32 v40, v47, v49 offset1:1
	ds_write2_b32 v40, v51, v48 offset0:2 offset1:3
	v_mov_b32_e32 v49, v24
	s_waitcnt lgkmcnt(0)
	; wave barrier
	s_and_saveexec_b64 s[12:13], s[6:7]
	s_cbranch_execz .LBB6_70
; %bb.67:                               ;   in Loop: Header=BB6_2 Depth=1
	s_mov_b64 s[14:15], 0
	v_mov_b32_e32 v49, v24
	v_mov_b32_e32 v47, v25
.LBB6_68:                               ;   Parent Loop BB6_2 Depth=1
                                        ; =>  This Inner Loop Header: Depth=2
	v_sub_u32_e32 v48, v47, v49
	v_lshrrev_b32_e32 v48, 1, v48
	v_add_u32_e32 v48, v48, v49
	v_not_b32_e32 v51, v48
	v_lshl_add_u32 v50, v48, 2, v45
	v_lshl_add_u32 v51, v51, 2, v39
	ds_read_b32 v50, v50
	ds_read_b32 v51, v51
	v_add_u32_e32 v52, 1, v48
	s_waitcnt lgkmcnt(0)
	v_cmp_lt_i32_e64 s[10:11], v51, v50
	v_cndmask_b32_e64 v47, v47, v48, s[10:11]
	v_cndmask_b32_e64 v49, v52, v49, s[10:11]
	v_cmp_ge_i32_e64 s[10:11], v49, v47
	s_or_b64 s[14:15], s[10:11], s[14:15]
	s_andn2_b64 exec, exec, s[14:15]
	s_cbranch_execnz .LBB6_68
; %bb.69:                               ;   in Loop: Header=BB6_2 Depth=1
	s_or_b64 exec, exec, s[14:15]
.LBB6_70:                               ;   in Loop: Header=BB6_2 Depth=1
	s_or_b64 exec, exec, s[12:13]
	v_sub_u32_e32 v51, v38, v49
	v_lshl_add_u32 v50, v49, 2, v45
	v_lshlrev_b32_e32 v53, 2, v51
	ds_read_b32 v47, v50
	ds_read_b32 v48, v53
	v_add_u32_e32 v52, v49, v13
	v_cmp_le_i32_e64 s[12:13], v14, v52
	v_cmp_gt_i32_e64 s[10:11], v15, v51
                                        ; implicit-def: $vgpr49
	s_waitcnt lgkmcnt(0)
	v_cmp_lt_i32_e64 s[14:15], v48, v47
	s_or_b64 s[12:13], s[12:13], s[14:15]
	s_and_b64 s[10:11], s[10:11], s[12:13]
	s_xor_b64 s[12:13], s[10:11], -1
	s_and_saveexec_b64 s[14:15], s[12:13]
	s_xor_b64 s[12:13], exec, s[14:15]
; %bb.71:                               ;   in Loop: Header=BB6_2 Depth=1
	ds_read_b32 v49, v50 offset:4
                                        ; implicit-def: $vgpr53
; %bb.72:                               ;   in Loop: Header=BB6_2 Depth=1
	s_or_saveexec_b64 s[12:13], s[12:13]
	v_mov_b32_e32 v50, v48
	s_xor_b64 exec, exec, s[12:13]
	s_cbranch_execz .LBB6_74
; %bb.73:                               ;   in Loop: Header=BB6_2 Depth=1
	ds_read_b32 v50, v53 offset:4
	s_waitcnt lgkmcnt(1)
	v_mov_b32_e32 v49, v47
.LBB6_74:                               ;   in Loop: Header=BB6_2 Depth=1
	s_or_b64 exec, exec, s[12:13]
	v_add_u32_e32 v54, 1, v52
	v_add_u32_e32 v53, 1, v51
	v_cndmask_b32_e64 v54, v54, v52, s[10:11]
	v_cndmask_b32_e64 v53, v51, v53, s[10:11]
	v_cmp_ge_i32_e64 s[14:15], v54, v14
	s_waitcnt lgkmcnt(0)
	v_cmp_lt_i32_e64 s[16:17], v50, v49
	v_cmp_lt_i32_e64 s[12:13], v53, v15
	s_or_b64 s[14:15], s[14:15], s[16:17]
	s_and_b64 s[12:13], s[12:13], s[14:15]
	s_xor_b64 s[14:15], s[12:13], -1
                                        ; implicit-def: $vgpr51
	s_and_saveexec_b64 s[16:17], s[14:15]
	s_xor_b64 s[14:15], exec, s[16:17]
; %bb.75:                               ;   in Loop: Header=BB6_2 Depth=1
	v_lshlrev_b32_e32 v51, 2, v54
	ds_read_b32 v51, v51 offset:4
; %bb.76:                               ;   in Loop: Header=BB6_2 Depth=1
	s_or_saveexec_b64 s[14:15], s[14:15]
	v_mov_b32_e32 v52, v50
	s_xor_b64 exec, exec, s[14:15]
	s_cbranch_execz .LBB6_78
; %bb.77:                               ;   in Loop: Header=BB6_2 Depth=1
	s_waitcnt lgkmcnt(0)
	v_lshlrev_b32_e32 v51, 2, v53
	ds_read_b32 v52, v51 offset:4
	v_mov_b32_e32 v51, v49
.LBB6_78:                               ;   in Loop: Header=BB6_2 Depth=1
	s_or_b64 exec, exec, s[14:15]
	v_add_u32_e32 v56, 1, v54
	v_add_u32_e32 v55, 1, v53
	v_cndmask_b32_e64 v54, v56, v54, s[12:13]
	v_cndmask_b32_e64 v53, v53, v55, s[12:13]
	v_cmp_ge_i32_e64 s[16:17], v54, v14
	s_waitcnt lgkmcnt(0)
	v_cmp_lt_i32_e64 s[18:19], v52, v51
	v_cmp_lt_i32_e64 s[14:15], v53, v15
	s_or_b64 s[16:17], s[16:17], s[18:19]
	s_and_b64 s[14:15], s[14:15], s[16:17]
	s_xor_b64 s[16:17], s[14:15], -1
                                        ; implicit-def: $vgpr55
	s_and_saveexec_b64 s[18:19], s[16:17]
	s_xor_b64 s[16:17], exec, s[18:19]
; %bb.79:                               ;   in Loop: Header=BB6_2 Depth=1
	v_lshlrev_b32_e32 v55, 2, v54
	ds_read_b32 v55, v55 offset:4
; %bb.80:                               ;   in Loop: Header=BB6_2 Depth=1
	s_or_saveexec_b64 s[16:17], s[16:17]
	v_mov_b32_e32 v56, v52
	s_xor_b64 exec, exec, s[16:17]
	s_cbranch_execz .LBB6_82
; %bb.81:                               ;   in Loop: Header=BB6_2 Depth=1
	s_waitcnt lgkmcnt(0)
	v_lshlrev_b32_e32 v55, 2, v53
	ds_read_b32 v56, v55 offset:4
	v_mov_b32_e32 v55, v51
.LBB6_82:                               ;   in Loop: Header=BB6_2 Depth=1
	s_or_b64 exec, exec, s[16:17]
	v_cndmask_b32_e64 v51, v51, v52, s[14:15]
	v_add_u32_e32 v52, 1, v53
	v_add_u32_e32 v57, 1, v54
	v_cndmask_b32_e64 v52, v53, v52, s[14:15]
	v_cndmask_b32_e64 v53, v57, v54, s[14:15]
	;; [unrolled: 1-line block ×3, first 2 shown]
	v_cmp_ge_i32_e64 s[12:13], v53, v14
	s_waitcnt lgkmcnt(0)
	v_cmp_lt_i32_e64 s[14:15], v56, v55
	v_cndmask_b32_e64 v47, v47, v48, s[10:11]
	v_cmp_lt_i32_e64 s[10:11], v52, v15
	s_or_b64 s[12:13], s[12:13], s[14:15]
	s_and_b64 s[10:11], s[10:11], s[12:13]
	v_cndmask_b32_e64 v48, v55, v56, s[10:11]
	; wave barrier
	ds_write2_b32 v40, v47, v49 offset1:1
	ds_write2_b32 v40, v51, v48 offset0:2 offset1:3
	v_mov_b32_e32 v51, v27
	s_waitcnt lgkmcnt(0)
	; wave barrier
	s_and_saveexec_b64 s[12:13], s[8:9]
	s_cbranch_execz .LBB6_86
; %bb.83:                               ;   in Loop: Header=BB6_2 Depth=1
	s_mov_b64 s[14:15], 0
	v_mov_b32_e32 v51, v27
	v_mov_b32_e32 v47, v28
.LBB6_84:                               ;   Parent Loop BB6_2 Depth=1
                                        ; =>  This Inner Loop Header: Depth=2
	v_sub_u32_e32 v48, v47, v51
	v_lshrrev_b32_e32 v48, 1, v48
	v_add_u32_e32 v48, v48, v51
	v_not_b32_e32 v50, v48
	v_lshlrev_b32_e32 v49, 2, v48
	v_lshl_add_u32 v50, v50, 2, v46
	ds_read_b32 v49, v49
	ds_read_b32 v50, v50
	v_add_u32_e32 v52, 1, v48
	s_waitcnt lgkmcnt(0)
	v_cmp_lt_i32_e64 s[10:11], v50, v49
	v_cndmask_b32_e64 v47, v47, v48, s[10:11]
	v_cndmask_b32_e64 v51, v52, v51, s[10:11]
	v_cmp_ge_i32_e64 s[10:11], v51, v47
	s_or_b64 s[14:15], s[10:11], s[14:15]
	s_andn2_b64 exec, exec, s[14:15]
	s_cbranch_execnz .LBB6_84
; %bb.85:                               ;   in Loop: Header=BB6_2 Depth=1
	s_or_b64 exec, exec, s[14:15]
.LBB6_86:                               ;   in Loop: Header=BB6_2 Depth=1
	s_or_b64 exec, exec, s[12:13]
	v_sub_u32_e32 v52, v29, v51
	v_lshlrev_b32_e32 v50, 2, v51
	v_lshlrev_b32_e32 v53, 2, v52
	ds_read_b32 v47, v50
	ds_read_b32 v48, v53
	v_cmp_le_i32_e64 s[12:13], v26, v51
	v_cmp_gt_i32_e64 s[10:11], s20, v52
                                        ; implicit-def: $vgpr49
	s_waitcnt lgkmcnt(0)
	v_cmp_lt_i32_e64 s[14:15], v48, v47
	s_or_b64 s[12:13], s[12:13], s[14:15]
	s_and_b64 s[10:11], s[10:11], s[12:13]
	s_xor_b64 s[12:13], s[10:11], -1
	s_and_saveexec_b64 s[14:15], s[12:13]
	s_xor_b64 s[12:13], exec, s[14:15]
; %bb.87:                               ;   in Loop: Header=BB6_2 Depth=1
	ds_read_b32 v49, v50 offset:4
                                        ; implicit-def: $vgpr53
; %bb.88:                               ;   in Loop: Header=BB6_2 Depth=1
	s_or_saveexec_b64 s[12:13], s[12:13]
	v_mov_b32_e32 v50, v48
	s_xor_b64 exec, exec, s[12:13]
	s_cbranch_execz .LBB6_90
; %bb.89:                               ;   in Loop: Header=BB6_2 Depth=1
	ds_read_b32 v50, v53 offset:4
	s_waitcnt lgkmcnt(1)
	v_mov_b32_e32 v49, v47
.LBB6_90:                               ;   in Loop: Header=BB6_2 Depth=1
	s_or_b64 exec, exec, s[12:13]
	v_add_u32_e32 v54, 1, v51
	v_add_u32_e32 v53, 1, v52
	v_cndmask_b32_e64 v54, v54, v51, s[10:11]
	v_cndmask_b32_e64 v53, v52, v53, s[10:11]
	v_cmp_ge_i32_e64 s[14:15], v54, v26
	s_waitcnt lgkmcnt(0)
	v_cmp_lt_i32_e64 s[16:17], v50, v49
	v_cmp_gt_i32_e64 s[12:13], s20, v53
	s_or_b64 s[14:15], s[14:15], s[16:17]
	s_and_b64 s[12:13], s[12:13], s[14:15]
	s_xor_b64 s[14:15], s[12:13], -1
                                        ; implicit-def: $vgpr51
	s_and_saveexec_b64 s[16:17], s[14:15]
	s_xor_b64 s[14:15], exec, s[16:17]
; %bb.91:                               ;   in Loop: Header=BB6_2 Depth=1
	v_lshlrev_b32_e32 v51, 2, v54
	ds_read_b32 v51, v51 offset:4
; %bb.92:                               ;   in Loop: Header=BB6_2 Depth=1
	s_or_saveexec_b64 s[14:15], s[14:15]
	v_mov_b32_e32 v52, v50
	s_xor_b64 exec, exec, s[14:15]
	s_cbranch_execz .LBB6_94
; %bb.93:                               ;   in Loop: Header=BB6_2 Depth=1
	s_waitcnt lgkmcnt(0)
	v_lshlrev_b32_e32 v51, 2, v53
	ds_read_b32 v52, v51 offset:4
	v_mov_b32_e32 v51, v49
.LBB6_94:                               ;   in Loop: Header=BB6_2 Depth=1
	s_or_b64 exec, exec, s[14:15]
	v_add_u32_e32 v55, 1, v53
	v_add_u32_e32 v56, 1, v54
	v_cndmask_b32_e64 v53, v53, v55, s[12:13]
	v_cndmask_b32_e64 v55, v56, v54, s[12:13]
	v_cmp_ge_i32_e64 s[16:17], v55, v26
	s_waitcnt lgkmcnt(0)
	v_cmp_lt_i32_e64 s[18:19], v52, v51
	v_cmp_gt_i32_e64 s[14:15], s20, v53
	s_or_b64 s[16:17], s[16:17], s[18:19]
	s_and_b64 s[14:15], s[14:15], s[16:17]
	s_xor_b64 s[16:17], s[14:15], -1
                                        ; implicit-def: $vgpr54
                                        ; implicit-def: $vgpr56
	s_and_saveexec_b64 s[18:19], s[16:17]
	s_xor_b64 s[16:17], exec, s[18:19]
; %bb.95:                               ;   in Loop: Header=BB6_2 Depth=1
	v_lshlrev_b32_e32 v54, 2, v55
	ds_read_b32 v54, v54 offset:4
	v_add_u32_e32 v56, 1, v55
                                        ; implicit-def: $vgpr55
; %bb.96:                               ;   in Loop: Header=BB6_2 Depth=1
	s_or_saveexec_b64 s[16:17], s[16:17]
	v_mov_b32_e32 v57, v52
	s_xor_b64 exec, exec, s[16:17]
	s_cbranch_execz .LBB6_1
; %bb.97:                               ;   in Loop: Header=BB6_2 Depth=1
	s_waitcnt lgkmcnt(0)
	v_lshlrev_b32_e32 v54, 2, v53
	ds_read_b32 v57, v54 offset:4
	v_add_u32_e32 v53, 1, v53
	v_mov_b32_e32 v56, v55
	v_mov_b32_e32 v54, v51
	s_branch .LBB6_1
.LBB6_98:
	s_add_u32 s0, s22, s24
	s_addc_u32 s1, s23, s25
	v_lshlrev_b32_e32 v0, 2, v0
	global_store_dword v0, v48, s[0:1]
	global_store_dword v0, v49, s[0:1] offset:256
	global_store_dword v0, v47, s[0:1] offset:512
	;; [unrolled: 1-line block ×3, first 2 shown]
	s_endpgm
	.section	.rodata,"a",@progbits
	.p2align	6, 0x0
	.amdhsa_kernel _Z16sort_keys_kernelIiLj64ELj4EN10test_utils4lessELj10EEvPKT_PS2_T2_
		.amdhsa_group_segment_fixed_size 1028
		.amdhsa_private_segment_fixed_size 0
		.amdhsa_kernarg_size 20
		.amdhsa_user_sgpr_count 6
		.amdhsa_user_sgpr_private_segment_buffer 1
		.amdhsa_user_sgpr_dispatch_ptr 0
		.amdhsa_user_sgpr_queue_ptr 0
		.amdhsa_user_sgpr_kernarg_segment_ptr 1
		.amdhsa_user_sgpr_dispatch_id 0
		.amdhsa_user_sgpr_flat_scratch_init 0
		.amdhsa_user_sgpr_private_segment_size 0
		.amdhsa_uses_dynamic_stack 0
		.amdhsa_system_sgpr_private_segment_wavefront_offset 0
		.amdhsa_system_sgpr_workgroup_id_x 1
		.amdhsa_system_sgpr_workgroup_id_y 0
		.amdhsa_system_sgpr_workgroup_id_z 0
		.amdhsa_system_sgpr_workgroup_info 0
		.amdhsa_system_vgpr_workitem_id 0
		.amdhsa_next_free_vgpr 58
		.amdhsa_next_free_sgpr 28
		.amdhsa_reserve_vcc 1
		.amdhsa_reserve_flat_scratch 0
		.amdhsa_float_round_mode_32 0
		.amdhsa_float_round_mode_16_64 0
		.amdhsa_float_denorm_mode_32 3
		.amdhsa_float_denorm_mode_16_64 3
		.amdhsa_dx10_clamp 1
		.amdhsa_ieee_mode 1
		.amdhsa_fp16_overflow 0
		.amdhsa_exception_fp_ieee_invalid_op 0
		.amdhsa_exception_fp_denorm_src 0
		.amdhsa_exception_fp_ieee_div_zero 0
		.amdhsa_exception_fp_ieee_overflow 0
		.amdhsa_exception_fp_ieee_underflow 0
		.amdhsa_exception_fp_ieee_inexact 0
		.amdhsa_exception_int_div_zero 0
	.end_amdhsa_kernel
	.section	.text._Z16sort_keys_kernelIiLj64ELj4EN10test_utils4lessELj10EEvPKT_PS2_T2_,"axG",@progbits,_Z16sort_keys_kernelIiLj64ELj4EN10test_utils4lessELj10EEvPKT_PS2_T2_,comdat
.Lfunc_end6:
	.size	_Z16sort_keys_kernelIiLj64ELj4EN10test_utils4lessELj10EEvPKT_PS2_T2_, .Lfunc_end6-_Z16sort_keys_kernelIiLj64ELj4EN10test_utils4lessELj10EEvPKT_PS2_T2_
                                        ; -- End function
	.set _Z16sort_keys_kernelIiLj64ELj4EN10test_utils4lessELj10EEvPKT_PS2_T2_.num_vgpr, 58
	.set _Z16sort_keys_kernelIiLj64ELj4EN10test_utils4lessELj10EEvPKT_PS2_T2_.num_agpr, 0
	.set _Z16sort_keys_kernelIiLj64ELj4EN10test_utils4lessELj10EEvPKT_PS2_T2_.numbered_sgpr, 28
	.set _Z16sort_keys_kernelIiLj64ELj4EN10test_utils4lessELj10EEvPKT_PS2_T2_.num_named_barrier, 0
	.set _Z16sort_keys_kernelIiLj64ELj4EN10test_utils4lessELj10EEvPKT_PS2_T2_.private_seg_size, 0
	.set _Z16sort_keys_kernelIiLj64ELj4EN10test_utils4lessELj10EEvPKT_PS2_T2_.uses_vcc, 1
	.set _Z16sort_keys_kernelIiLj64ELj4EN10test_utils4lessELj10EEvPKT_PS2_T2_.uses_flat_scratch, 0
	.set _Z16sort_keys_kernelIiLj64ELj4EN10test_utils4lessELj10EEvPKT_PS2_T2_.has_dyn_sized_stack, 0
	.set _Z16sort_keys_kernelIiLj64ELj4EN10test_utils4lessELj10EEvPKT_PS2_T2_.has_recursion, 0
	.set _Z16sort_keys_kernelIiLj64ELj4EN10test_utils4lessELj10EEvPKT_PS2_T2_.has_indirect_call, 0
	.section	.AMDGPU.csdata,"",@progbits
; Kernel info:
; codeLenInByte = 4476
; TotalNumSgprs: 32
; NumVgprs: 58
; ScratchSize: 0
; MemoryBound: 0
; FloatMode: 240
; IeeeMode: 1
; LDSByteSize: 1028 bytes/workgroup (compile time only)
; SGPRBlocks: 3
; VGPRBlocks: 14
; NumSGPRsForWavesPerEU: 32
; NumVGPRsForWavesPerEU: 58
; Occupancy: 4
; WaveLimiterHint : 1
; COMPUTE_PGM_RSRC2:SCRATCH_EN: 0
; COMPUTE_PGM_RSRC2:USER_SGPR: 6
; COMPUTE_PGM_RSRC2:TRAP_HANDLER: 0
; COMPUTE_PGM_RSRC2:TGID_X_EN: 1
; COMPUTE_PGM_RSRC2:TGID_Y_EN: 0
; COMPUTE_PGM_RSRC2:TGID_Z_EN: 0
; COMPUTE_PGM_RSRC2:TIDIG_COMP_CNT: 0
	.section	.text._Z17sort_pairs_kernelIiLj64ELj4EN10test_utils4lessELj10EEvPKT_PS2_T2_,"axG",@progbits,_Z17sort_pairs_kernelIiLj64ELj4EN10test_utils4lessELj10EEvPKT_PS2_T2_,comdat
	.protected	_Z17sort_pairs_kernelIiLj64ELj4EN10test_utils4lessELj10EEvPKT_PS2_T2_ ; -- Begin function _Z17sort_pairs_kernelIiLj64ELj4EN10test_utils4lessELj10EEvPKT_PS2_T2_
	.globl	_Z17sort_pairs_kernelIiLj64ELj4EN10test_utils4lessELj10EEvPKT_PS2_T2_
	.p2align	8
	.type	_Z17sort_pairs_kernelIiLj64ELj4EN10test_utils4lessELj10EEvPKT_PS2_T2_,@function
_Z17sort_pairs_kernelIiLj64ELj4EN10test_utils4lessELj10EEvPKT_PS2_T2_: ; @_Z17sort_pairs_kernelIiLj64ELj4EN10test_utils4lessELj10EEvPKT_PS2_T2_
; %bb.0:
	s_load_dwordx4 s[36:39], s[4:5], 0x0
	s_lshl_b32 s40, s6, 8
	s_mov_b32 s41, 0
	s_lshl_b64 s[34:35], s[40:41], 2
	v_lshlrev_b32_e32 v29, 2, v0
	s_waitcnt lgkmcnt(0)
	s_add_u32 s0, s36, s34
	s_addc_u32 s1, s37, s35
	global_load_dword v52, v29, s[0:1]
	global_load_dword v54, v29, s[0:1] offset:256
	global_load_dword v53, v29, s[0:1] offset:512
	global_load_dword v51, v29, s[0:1] offset:768
	v_and_b32_e32 v1, 0xf8, v29
	v_and_b32_e32 v4, 0xf0, v29
	;; [unrolled: 1-line block ×5, first 2 shown]
	v_or_b32_e32 v2, 4, v1
	v_add_u32_e32 v3, 8, v1
	v_or_b32_e32 v5, 8, v4
	v_add_u32_e32 v6, 16, v4
	;; [unrolled: 2-line block ×5, first 2 shown]
	v_and_b32_e32 v31, 4, v29
	v_sub_u32_e32 v16, v3, v2
	v_and_b32_e32 v33, 12, v29
	v_sub_u32_e32 v18, v6, v5
	;; [unrolled: 2-line block ×5, first 2 shown]
	v_sub_u32_e32 v17, v31, v16
	v_sub_u32_e32 v19, v33, v18
	;; [unrolled: 1-line block ×5, first 2 shown]
	v_cmp_ge_i32_e32 vcc, v31, v16
	v_cmp_ge_i32_e64 s[0:1], v33, v18
	v_cmp_ge_i32_e64 s[2:3], v35, v20
	;; [unrolled: 1-line block ×4, first 2 shown]
	v_cndmask_b32_e32 v16, 0, v17, vcc
	v_sub_u32_e32 v17, v2, v1
	v_cndmask_b32_e64 v18, 0, v19, s[0:1]
	v_sub_u32_e32 v19, v5, v4
	v_cndmask_b32_e64 v20, 0, v21, s[2:3]
	;; [unrolled: 2-line block ×4, first 2 shown]
	v_sub_u32_e32 v25, v14, v13
	v_mov_b32_e32 v26, 0x80
	v_min_i32_e32 v17, v31, v17
	v_min_i32_e32 v19, v33, v19
	;; [unrolled: 1-line block ×5, first 2 shown]
	v_sub_u32_e64 v27, v29, v26 clamp
	v_min_i32_e32 v28, 0x80, v29
	v_add_u32_e32 v30, v2, v31
	v_lshlrev_b32_e32 v31, 2, v31
	v_add_u32_e32 v32, v5, v33
	v_lshlrev_b32_e32 v33, 2, v33
	;; [unrolled: 2-line block ×5, first 2 shown]
	v_lshlrev_b32_e32 v40, 4, v0
	v_cmp_lt_i32_e32 vcc, v16, v17
	v_cmp_lt_i32_e64 s[0:1], v18, v19
	v_cmp_lt_i32_e64 s[2:3], v20, v21
	;; [unrolled: 1-line block ×5, first 2 shown]
	v_add_u32_e32 v29, 0x80, v29
	v_lshl_add_u32 v31, v2, 2, v31
	v_lshl_add_u32 v33, v5, 2, v33
	;; [unrolled: 1-line block ×5, first 2 shown]
	s_movk_i32 s33, 0x100
	s_waitcnt vmcnt(3)
	v_add_u32_e32 v47, 1, v52
	s_waitcnt vmcnt(2)
	v_add_u32_e32 v49, 1, v54
	;; [unrolled: 2-line block ×4, first 2 shown]
	v_lshlrev_b32_e32 v41, 2, v1
	v_lshlrev_b32_e32 v42, 2, v4
	;; [unrolled: 1-line block ×5, first 2 shown]
	v_add_u32_e32 v46, 0x200, v40
	s_branch .LBB7_2
.LBB7_1:                                ;   in Loop: Header=BB7_2 Depth=1
	s_or_b64 exec, exec, s[16:17]
	v_cmp_ge_i32_e64 s[16:17], v63, v26
	s_waitcnt lgkmcnt(0)
	v_cmp_lt_i32_e64 s[18:19], v66, v64
	v_cndmask_b32_e64 v52, v52, v56, s[10:11]
	v_cndmask_b32_e64 v54, v51, v54, s[10:11]
	v_cmp_gt_i32_e64 s[10:11], s33, v61
	s_or_b64 s[16:17], s[16:17], s[18:19]
	v_cndmask_b32_e64 v56, v60, v59, s[12:13]
	s_and_b64 s[10:11], s[10:11], s[16:17]
	v_cndmask_b32_e64 v59, v63, v61, s[10:11]
	; wave barrier
	ds_write2_b32 v40, v47, v48 offset1:1
	ds_write2_b32 v40, v49, v50 offset0:2 offset1:3
	v_lshlrev_b32_e32 v47, 2, v54
	v_lshlrev_b32_e32 v48, 2, v56
	;; [unrolled: 1-line block ×3, first 2 shown]
	s_waitcnt lgkmcnt(0)
	; wave barrier
	v_lshlrev_b32_e32 v54, 2, v59
	ds_read_b32 v47, v47
	ds_read_b32 v49, v48
	;; [unrolled: 1-line block ×4, first 2 shown]
	s_add_i32 s41, s41, 1
	v_cndmask_b32_e64 v51, v64, v66, s[10:11]
	v_cndmask_b32_e64 v54, v53, v55, s[12:13]
	s_cmp_eq_u32 s41, 10
	v_cndmask_b32_e64 v53, v57, v58, s[14:15]
	s_cbranch_scc1 .LBB7_98
.LBB7_2:                                ; =>This Loop Header: Depth=1
                                        ;     Child Loop BB7_4 Depth 2
                                        ;     Child Loop BB7_20 Depth 2
	;; [unrolled: 1-line block ×6, first 2 shown]
	v_cmp_lt_i32_e64 s[10:11], v54, v52
	v_cmp_lt_i32_e64 s[12:13], v51, v53
	v_cndmask_b32_e64 v55, v52, v54, s[10:11]
	v_cndmask_b32_e64 v52, v54, v52, s[10:11]
	;; [unrolled: 1-line block ×4, first 2 shown]
	v_min_i32_e32 v51, v51, v53
	v_cmp_lt_i32_e64 s[14:15], v51, v52
	v_cndmask_b32_e64 v53, v56, v52, s[14:15]
	v_cndmask_b32_e64 v56, v52, v51, s[14:15]
	v_min_i32_e32 v51, v51, v52
	v_cmp_lt_i32_e64 s[16:17], v51, v55
	v_cmp_lt_i32_e64 s[18:19], v54, v53
	v_cndmask_b32_e64 v51, v55, v51, s[16:17]
	v_cndmask_b32_e64 v52, v56, v55, s[16:17]
	;; [unrolled: 1-line block ×4, first 2 shown]
	v_min_i32_e32 v53, v54, v53
	v_cmp_lt_i32_e64 s[20:21], v53, v52
	v_cndmask_b32_e64 v54, v56, v52, s[20:21]
	v_cndmask_b32_e64 v52, v52, v53, s[20:21]
	v_mov_b32_e32 v53, v16
	; wave barrier
	ds_write2_b32 v40, v51, v52 offset1:1
	ds_write2_b32 v40, v54, v55 offset0:2 offset1:3
	s_waitcnt lgkmcnt(0)
	; wave barrier
	s_and_saveexec_b64 s[24:25], vcc
	s_cbranch_execz .LBB7_6
; %bb.3:                                ;   in Loop: Header=BB7_2 Depth=1
	s_mov_b64 s[26:27], 0
	v_mov_b32_e32 v53, v16
	v_mov_b32_e32 v51, v17
.LBB7_4:                                ;   Parent Loop BB7_2 Depth=1
                                        ; =>  This Inner Loop Header: Depth=2
	v_sub_u32_e32 v52, v51, v53
	v_lshrrev_b32_e32 v52, 1, v52
	v_add_u32_e32 v52, v52, v53
	v_not_b32_e32 v55, v52
	v_lshl_add_u32 v54, v52, 2, v41
	v_lshl_add_u32 v55, v55, 2, v31
	ds_read_b32 v54, v54
	ds_read_b32 v55, v55
	v_add_u32_e32 v56, 1, v52
	s_waitcnt lgkmcnt(0)
	v_cmp_lt_i32_e64 s[22:23], v55, v54
	v_cndmask_b32_e64 v51, v51, v52, s[22:23]
	v_cndmask_b32_e64 v53, v56, v53, s[22:23]
	v_cmp_ge_i32_e64 s[22:23], v53, v51
	s_or_b64 s[26:27], s[22:23], s[26:27]
	s_andn2_b64 exec, exec, s[26:27]
	s_cbranch_execnz .LBB7_4
; %bb.5:                                ;   in Loop: Header=BB7_2 Depth=1
	s_or_b64 exec, exec, s[26:27]
.LBB7_6:                                ;   in Loop: Header=BB7_2 Depth=1
	s_or_b64 exec, exec, s[24:25]
	v_sub_u32_e32 v51, v30, v53
	v_lshl_add_u32 v56, v53, 2, v41
	v_lshlrev_b32_e32 v57, 2, v51
	ds_read_b32 v52, v56
	ds_read_b32 v54, v57
	v_add_u32_e32 v53, v53, v1
	v_cmp_le_i32_e64 s[24:25], v2, v53
	v_cmp_gt_i32_e64 s[22:23], v3, v51
                                        ; implicit-def: $vgpr55
	s_waitcnt lgkmcnt(0)
	v_cmp_lt_i32_e64 s[26:27], v54, v52
	s_or_b64 s[24:25], s[24:25], s[26:27]
	s_and_b64 s[22:23], s[22:23], s[24:25]
	s_xor_b64 s[24:25], s[22:23], -1
	s_and_saveexec_b64 s[26:27], s[24:25]
	s_xor_b64 s[24:25], exec, s[26:27]
; %bb.7:                                ;   in Loop: Header=BB7_2 Depth=1
	ds_read_b32 v55, v56 offset:4
                                        ; implicit-def: $vgpr57
; %bb.8:                                ;   in Loop: Header=BB7_2 Depth=1
	s_or_saveexec_b64 s[24:25], s[24:25]
	v_mov_b32_e32 v56, v54
	s_xor_b64 exec, exec, s[24:25]
	s_cbranch_execz .LBB7_10
; %bb.9:                                ;   in Loop: Header=BB7_2 Depth=1
	ds_read_b32 v56, v57 offset:4
	s_waitcnt lgkmcnt(1)
	v_mov_b32_e32 v55, v52
.LBB7_10:                               ;   in Loop: Header=BB7_2 Depth=1
	s_or_b64 exec, exec, s[24:25]
	v_add_u32_e32 v58, 1, v53
	v_add_u32_e32 v57, 1, v51
	v_cndmask_b32_e64 v58, v58, v53, s[22:23]
	v_cndmask_b32_e64 v57, v51, v57, s[22:23]
	v_cmp_ge_i32_e64 s[26:27], v58, v2
	s_waitcnt lgkmcnt(0)
	v_cmp_lt_i32_e64 s[28:29], v56, v55
	v_cmp_lt_i32_e64 s[24:25], v57, v3
	s_or_b64 s[26:27], s[26:27], s[28:29]
	s_and_b64 s[24:25], s[24:25], s[26:27]
	s_xor_b64 s[26:27], s[24:25], -1
                                        ; implicit-def: $vgpr59
	s_and_saveexec_b64 s[28:29], s[26:27]
	s_xor_b64 s[26:27], exec, s[28:29]
; %bb.11:                               ;   in Loop: Header=BB7_2 Depth=1
	v_lshlrev_b32_e32 v59, 2, v58
	ds_read_b32 v59, v59 offset:4
; %bb.12:                               ;   in Loop: Header=BB7_2 Depth=1
	s_or_saveexec_b64 s[26:27], s[26:27]
	v_mov_b32_e32 v61, v56
	s_xor_b64 exec, exec, s[26:27]
	s_cbranch_execz .LBB7_14
; %bb.13:                               ;   in Loop: Header=BB7_2 Depth=1
	s_waitcnt lgkmcnt(0)
	v_lshlrev_b32_e32 v59, 2, v57
	ds_read_b32 v61, v59 offset:4
	v_mov_b32_e32 v59, v55
.LBB7_14:                               ;   in Loop: Header=BB7_2 Depth=1
	s_or_b64 exec, exec, s[26:27]
	v_add_u32_e32 v63, 1, v58
	v_add_u32_e32 v60, 1, v57
	v_cndmask_b32_e64 v63, v63, v58, s[24:25]
	v_cndmask_b32_e64 v62, v57, v60, s[24:25]
	v_cmp_ge_i32_e64 s[28:29], v63, v2
	s_waitcnt lgkmcnt(0)
	v_cmp_lt_i32_e64 s[30:31], v61, v59
	v_cmp_lt_i32_e64 s[26:27], v62, v3
	s_or_b64 s[28:29], s[28:29], s[30:31]
	s_and_b64 s[26:27], s[26:27], s[28:29]
	s_xor_b64 s[28:29], s[26:27], -1
                                        ; implicit-def: $vgpr60
	s_and_saveexec_b64 s[30:31], s[28:29]
	s_xor_b64 s[28:29], exec, s[30:31]
; %bb.15:                               ;   in Loop: Header=BB7_2 Depth=1
	v_lshlrev_b32_e32 v60, 2, v63
	ds_read_b32 v60, v60 offset:4
; %bb.16:                               ;   in Loop: Header=BB7_2 Depth=1
	s_or_saveexec_b64 s[28:29], s[28:29]
	v_mov_b32_e32 v64, v61
	s_xor_b64 exec, exec, s[28:29]
	s_cbranch_execz .LBB7_18
; %bb.17:                               ;   in Loop: Header=BB7_2 Depth=1
	s_waitcnt lgkmcnt(0)
	v_lshlrev_b32_e32 v60, 2, v62
	ds_read_b32 v64, v60 offset:4
	v_mov_b32_e32 v60, v59
.LBB7_18:                               ;   in Loop: Header=BB7_2 Depth=1
	s_or_b64 exec, exec, s[28:29]
	v_add_u32_e32 v65, 1, v63
	v_cndmask_b32_e64 v59, v59, v61, s[26:27]
	v_add_u32_e32 v61, 1, v62
	v_cndmask_b32_e64 v65, v65, v63, s[26:27]
	v_cndmask_b32_e64 v51, v53, v51, s[22:23]
	;; [unrolled: 1-line block ×9, first 2 shown]
	v_cmp_ge_i32_e64 s[12:13], v65, v2
	s_waitcnt lgkmcnt(0)
	v_cmp_lt_i32_e64 s[14:15], v64, v60
	v_cndmask_b32_e64 v48, v53, v47, s[16:17]
	v_cndmask_b32_e64 v47, v47, v53, s[16:17]
	;; [unrolled: 1-line block ×4, first 2 shown]
	v_cmp_lt_i32_e64 s[10:11], v61, v3
	s_or_b64 s[12:13], s[12:13], s[14:15]
	v_cndmask_b32_e64 v62, v63, v62, s[26:27]
	v_cndmask_b32_e64 v55, v55, v56, s[24:25]
	;; [unrolled: 1-line block ×5, first 2 shown]
	s_and_b64 s[10:11], s[10:11], s[12:13]
	v_cndmask_b32_e64 v49, v65, v61, s[10:11]
	; wave barrier
	ds_write2_b32 v40, v48, v47 offset1:1
	ds_write2_b32 v40, v50, v53 offset0:2 offset1:3
	v_lshlrev_b32_e32 v47, 2, v51
	v_lshlrev_b32_e32 v48, 2, v56
	;; [unrolled: 1-line block ×3, first 2 shown]
	s_waitcnt lgkmcnt(0)
	; wave barrier
	v_lshlrev_b32_e32 v51, 2, v49
	ds_read_b32 v47, v47
	ds_read_b32 v48, v48
	;; [unrolled: 1-line block ×4, first 2 shown]
	v_cndmask_b32_e64 v52, v52, v54, s[22:23]
	v_mov_b32_e32 v53, v18
	v_cndmask_b32_e64 v54, v60, v64, s[10:11]
	s_waitcnt lgkmcnt(0)
	; wave barrier
	ds_write2_b32 v40, v52, v55 offset1:1
	ds_write2_b32 v40, v59, v54 offset0:2 offset1:3
	s_waitcnt lgkmcnt(0)
	; wave barrier
	s_and_saveexec_b64 s[12:13], s[0:1]
	s_cbranch_execz .LBB7_22
; %bb.19:                               ;   in Loop: Header=BB7_2 Depth=1
	s_mov_b64 s[14:15], 0
	v_mov_b32_e32 v53, v18
	v_mov_b32_e32 v51, v19
.LBB7_20:                               ;   Parent Loop BB7_2 Depth=1
                                        ; =>  This Inner Loop Header: Depth=2
	v_sub_u32_e32 v52, v51, v53
	v_lshrrev_b32_e32 v52, 1, v52
	v_add_u32_e32 v52, v52, v53
	v_not_b32_e32 v55, v52
	v_lshl_add_u32 v54, v52, 2, v42
	v_lshl_add_u32 v55, v55, 2, v33
	ds_read_b32 v54, v54
	ds_read_b32 v55, v55
	v_add_u32_e32 v56, 1, v52
	s_waitcnt lgkmcnt(0)
	v_cmp_lt_i32_e64 s[10:11], v55, v54
	v_cndmask_b32_e64 v51, v51, v52, s[10:11]
	v_cndmask_b32_e64 v53, v56, v53, s[10:11]
	v_cmp_ge_i32_e64 s[10:11], v53, v51
	s_or_b64 s[14:15], s[10:11], s[14:15]
	s_andn2_b64 exec, exec, s[14:15]
	s_cbranch_execnz .LBB7_20
; %bb.21:                               ;   in Loop: Header=BB7_2 Depth=1
	s_or_b64 exec, exec, s[14:15]
.LBB7_22:                               ;   in Loop: Header=BB7_2 Depth=1
	s_or_b64 exec, exec, s[12:13]
	v_sub_u32_e32 v51, v32, v53
	v_lshl_add_u32 v56, v53, 2, v42
	v_lshlrev_b32_e32 v57, 2, v51
	ds_read_b32 v52, v56
	ds_read_b32 v54, v57
	v_add_u32_e32 v53, v53, v4
	v_cmp_le_i32_e64 s[12:13], v5, v53
	v_cmp_gt_i32_e64 s[10:11], v6, v51
                                        ; implicit-def: $vgpr55
	s_waitcnt lgkmcnt(0)
	v_cmp_lt_i32_e64 s[14:15], v54, v52
	s_or_b64 s[12:13], s[12:13], s[14:15]
	s_and_b64 s[10:11], s[10:11], s[12:13]
	s_xor_b64 s[12:13], s[10:11], -1
	s_and_saveexec_b64 s[14:15], s[12:13]
	s_xor_b64 s[12:13], exec, s[14:15]
; %bb.23:                               ;   in Loop: Header=BB7_2 Depth=1
	ds_read_b32 v55, v56 offset:4
                                        ; implicit-def: $vgpr57
; %bb.24:                               ;   in Loop: Header=BB7_2 Depth=1
	s_or_saveexec_b64 s[12:13], s[12:13]
	v_mov_b32_e32 v56, v54
	s_xor_b64 exec, exec, s[12:13]
	s_cbranch_execz .LBB7_26
; %bb.25:                               ;   in Loop: Header=BB7_2 Depth=1
	ds_read_b32 v56, v57 offset:4
	s_waitcnt lgkmcnt(1)
	v_mov_b32_e32 v55, v52
.LBB7_26:                               ;   in Loop: Header=BB7_2 Depth=1
	s_or_b64 exec, exec, s[12:13]
	v_add_u32_e32 v58, 1, v53
	v_add_u32_e32 v57, 1, v51
	v_cndmask_b32_e64 v58, v58, v53, s[10:11]
	v_cndmask_b32_e64 v57, v51, v57, s[10:11]
	v_cmp_ge_i32_e64 s[14:15], v58, v5
	s_waitcnt lgkmcnt(0)
	v_cmp_lt_i32_e64 s[16:17], v56, v55
	v_cmp_lt_i32_e64 s[12:13], v57, v6
	s_or_b64 s[14:15], s[14:15], s[16:17]
	s_and_b64 s[12:13], s[12:13], s[14:15]
	s_xor_b64 s[14:15], s[12:13], -1
                                        ; implicit-def: $vgpr59
	s_and_saveexec_b64 s[16:17], s[14:15]
	s_xor_b64 s[14:15], exec, s[16:17]
; %bb.27:                               ;   in Loop: Header=BB7_2 Depth=1
	v_lshlrev_b32_e32 v59, 2, v58
	ds_read_b32 v59, v59 offset:4
; %bb.28:                               ;   in Loop: Header=BB7_2 Depth=1
	s_or_saveexec_b64 s[14:15], s[14:15]
	v_mov_b32_e32 v60, v56
	s_xor_b64 exec, exec, s[14:15]
	s_cbranch_execz .LBB7_30
; %bb.29:                               ;   in Loop: Header=BB7_2 Depth=1
	s_waitcnt lgkmcnt(0)
	v_lshlrev_b32_e32 v59, 2, v57
	ds_read_b32 v60, v59 offset:4
	v_mov_b32_e32 v59, v55
.LBB7_30:                               ;   in Loop: Header=BB7_2 Depth=1
	s_or_b64 exec, exec, s[14:15]
	v_add_u32_e32 v62, 1, v58
	v_add_u32_e32 v61, 1, v57
	v_cndmask_b32_e64 v62, v62, v58, s[12:13]
	v_cndmask_b32_e64 v61, v57, v61, s[12:13]
	v_cmp_ge_i32_e64 s[16:17], v62, v5
	s_waitcnt lgkmcnt(0)
	v_cmp_lt_i32_e64 s[18:19], v60, v59
	v_cmp_lt_i32_e64 s[14:15], v61, v6
	s_or_b64 s[16:17], s[16:17], s[18:19]
	s_and_b64 s[14:15], s[14:15], s[16:17]
	s_xor_b64 s[16:17], s[14:15], -1
                                        ; implicit-def: $vgpr63
	s_and_saveexec_b64 s[18:19], s[16:17]
	s_xor_b64 s[16:17], exec, s[18:19]
; %bb.31:                               ;   in Loop: Header=BB7_2 Depth=1
	v_lshlrev_b32_e32 v63, 2, v62
	ds_read_b32 v63, v63 offset:4
; %bb.32:                               ;   in Loop: Header=BB7_2 Depth=1
	s_or_saveexec_b64 s[16:17], s[16:17]
	v_mov_b32_e32 v64, v60
	s_xor_b64 exec, exec, s[16:17]
	s_cbranch_execz .LBB7_34
; %bb.33:                               ;   in Loop: Header=BB7_2 Depth=1
	s_waitcnt lgkmcnt(0)
	v_lshlrev_b32_e32 v63, 2, v61
	ds_read_b32 v64, v63 offset:4
	v_mov_b32_e32 v63, v59
.LBB7_34:                               ;   in Loop: Header=BB7_2 Depth=1
	s_or_b64 exec, exec, s[16:17]
	v_add_u32_e32 v65, 1, v62
	v_cndmask_b32_e64 v59, v59, v60, s[14:15]
	v_add_u32_e32 v60, 1, v61
	v_cndmask_b32_e64 v65, v65, v62, s[14:15]
	v_cndmask_b32_e64 v60, v61, v60, s[14:15]
	;; [unrolled: 1-line block ×5, first 2 shown]
	v_cmp_ge_i32_e64 s[12:13], v65, v5
	s_waitcnt lgkmcnt(0)
	v_cmp_lt_i32_e64 s[14:15], v64, v63
	v_cndmask_b32_e64 v52, v52, v54, s[10:11]
	v_cndmask_b32_e64 v51, v53, v51, s[10:11]
	v_cmp_lt_i32_e64 s[10:11], v60, v6
	s_or_b64 s[12:13], s[12:13], s[14:15]
	s_and_b64 s[10:11], s[10:11], s[12:13]
	v_cndmask_b32_e64 v54, v65, v60, s[10:11]
	; wave barrier
	ds_write2_b32 v40, v47, v48 offset1:1
	ds_write2_b32 v40, v49, v50 offset0:2 offset1:3
	v_lshlrev_b32_e32 v47, 2, v51
	v_lshlrev_b32_e32 v48, 2, v56
	;; [unrolled: 1-line block ×4, first 2 shown]
	s_waitcnt lgkmcnt(0)
	; wave barrier
	ds_read_b32 v47, v47
	ds_read_b32 v48, v48
	;; [unrolled: 1-line block ×4, first 2 shown]
	v_cndmask_b32_e64 v53, v63, v64, s[10:11]
	s_waitcnt lgkmcnt(0)
	; wave barrier
	ds_write2_b32 v40, v52, v55 offset1:1
	ds_write2_b32 v40, v59, v53 offset0:2 offset1:3
	v_mov_b32_e32 v53, v20
	s_waitcnt lgkmcnt(0)
	; wave barrier
	s_and_saveexec_b64 s[12:13], s[2:3]
	s_cbranch_execz .LBB7_38
; %bb.35:                               ;   in Loop: Header=BB7_2 Depth=1
	s_mov_b64 s[14:15], 0
	v_mov_b32_e32 v53, v20
	v_mov_b32_e32 v51, v21
.LBB7_36:                               ;   Parent Loop BB7_2 Depth=1
                                        ; =>  This Inner Loop Header: Depth=2
	v_sub_u32_e32 v52, v51, v53
	v_lshrrev_b32_e32 v52, 1, v52
	v_add_u32_e32 v52, v52, v53
	v_not_b32_e32 v55, v52
	v_lshl_add_u32 v54, v52, 2, v43
	v_lshl_add_u32 v55, v55, 2, v35
	ds_read_b32 v54, v54
	ds_read_b32 v55, v55
	v_add_u32_e32 v56, 1, v52
	s_waitcnt lgkmcnt(0)
	v_cmp_lt_i32_e64 s[10:11], v55, v54
	v_cndmask_b32_e64 v51, v51, v52, s[10:11]
	v_cndmask_b32_e64 v53, v56, v53, s[10:11]
	v_cmp_ge_i32_e64 s[10:11], v53, v51
	s_or_b64 s[14:15], s[10:11], s[14:15]
	s_andn2_b64 exec, exec, s[14:15]
	s_cbranch_execnz .LBB7_36
; %bb.37:                               ;   in Loop: Header=BB7_2 Depth=1
	s_or_b64 exec, exec, s[14:15]
.LBB7_38:                               ;   in Loop: Header=BB7_2 Depth=1
	s_or_b64 exec, exec, s[12:13]
	v_sub_u32_e32 v51, v34, v53
	v_lshl_add_u32 v56, v53, 2, v43
	v_lshlrev_b32_e32 v57, 2, v51
	ds_read_b32 v52, v56
	ds_read_b32 v54, v57
	v_add_u32_e32 v53, v53, v7
	v_cmp_le_i32_e64 s[12:13], v8, v53
	v_cmp_gt_i32_e64 s[10:11], v9, v51
                                        ; implicit-def: $vgpr55
	s_waitcnt lgkmcnt(0)
	v_cmp_lt_i32_e64 s[14:15], v54, v52
	s_or_b64 s[12:13], s[12:13], s[14:15]
	s_and_b64 s[10:11], s[10:11], s[12:13]
	s_xor_b64 s[12:13], s[10:11], -1
	s_and_saveexec_b64 s[14:15], s[12:13]
	s_xor_b64 s[12:13], exec, s[14:15]
; %bb.39:                               ;   in Loop: Header=BB7_2 Depth=1
	ds_read_b32 v55, v56 offset:4
                                        ; implicit-def: $vgpr57
; %bb.40:                               ;   in Loop: Header=BB7_2 Depth=1
	s_or_saveexec_b64 s[12:13], s[12:13]
	v_mov_b32_e32 v56, v54
	s_xor_b64 exec, exec, s[12:13]
	s_cbranch_execz .LBB7_42
; %bb.41:                               ;   in Loop: Header=BB7_2 Depth=1
	ds_read_b32 v56, v57 offset:4
	s_waitcnt lgkmcnt(1)
	v_mov_b32_e32 v55, v52
.LBB7_42:                               ;   in Loop: Header=BB7_2 Depth=1
	s_or_b64 exec, exec, s[12:13]
	v_add_u32_e32 v58, 1, v53
	v_add_u32_e32 v57, 1, v51
	v_cndmask_b32_e64 v58, v58, v53, s[10:11]
	v_cndmask_b32_e64 v57, v51, v57, s[10:11]
	v_cmp_ge_i32_e64 s[14:15], v58, v8
	s_waitcnt lgkmcnt(0)
	v_cmp_lt_i32_e64 s[16:17], v56, v55
	v_cmp_lt_i32_e64 s[12:13], v57, v9
	s_or_b64 s[14:15], s[14:15], s[16:17]
	s_and_b64 s[12:13], s[12:13], s[14:15]
	s_xor_b64 s[14:15], s[12:13], -1
                                        ; implicit-def: $vgpr59
	s_and_saveexec_b64 s[16:17], s[14:15]
	s_xor_b64 s[14:15], exec, s[16:17]
; %bb.43:                               ;   in Loop: Header=BB7_2 Depth=1
	v_lshlrev_b32_e32 v59, 2, v58
	ds_read_b32 v59, v59 offset:4
; %bb.44:                               ;   in Loop: Header=BB7_2 Depth=1
	s_or_saveexec_b64 s[14:15], s[14:15]
	v_mov_b32_e32 v60, v56
	s_xor_b64 exec, exec, s[14:15]
	s_cbranch_execz .LBB7_46
; %bb.45:                               ;   in Loop: Header=BB7_2 Depth=1
	s_waitcnt lgkmcnt(0)
	v_lshlrev_b32_e32 v59, 2, v57
	ds_read_b32 v60, v59 offset:4
	v_mov_b32_e32 v59, v55
.LBB7_46:                               ;   in Loop: Header=BB7_2 Depth=1
	s_or_b64 exec, exec, s[14:15]
	v_add_u32_e32 v62, 1, v58
	v_add_u32_e32 v61, 1, v57
	v_cndmask_b32_e64 v62, v62, v58, s[12:13]
	v_cndmask_b32_e64 v61, v57, v61, s[12:13]
	v_cmp_ge_i32_e64 s[16:17], v62, v8
	s_waitcnt lgkmcnt(0)
	v_cmp_lt_i32_e64 s[18:19], v60, v59
	v_cmp_lt_i32_e64 s[14:15], v61, v9
	s_or_b64 s[16:17], s[16:17], s[18:19]
	s_and_b64 s[14:15], s[14:15], s[16:17]
	s_xor_b64 s[16:17], s[14:15], -1
                                        ; implicit-def: $vgpr63
	s_and_saveexec_b64 s[18:19], s[16:17]
	s_xor_b64 s[16:17], exec, s[18:19]
; %bb.47:                               ;   in Loop: Header=BB7_2 Depth=1
	v_lshlrev_b32_e32 v63, 2, v62
	ds_read_b32 v63, v63 offset:4
; %bb.48:                               ;   in Loop: Header=BB7_2 Depth=1
	s_or_saveexec_b64 s[16:17], s[16:17]
	v_mov_b32_e32 v64, v60
	s_xor_b64 exec, exec, s[16:17]
	s_cbranch_execz .LBB7_50
; %bb.49:                               ;   in Loop: Header=BB7_2 Depth=1
	s_waitcnt lgkmcnt(0)
	v_lshlrev_b32_e32 v63, 2, v61
	ds_read_b32 v64, v63 offset:4
	v_mov_b32_e32 v63, v59
.LBB7_50:                               ;   in Loop: Header=BB7_2 Depth=1
	s_or_b64 exec, exec, s[16:17]
	v_add_u32_e32 v65, 1, v62
	v_cndmask_b32_e64 v59, v59, v60, s[14:15]
	v_add_u32_e32 v60, 1, v61
	v_cndmask_b32_e64 v65, v65, v62, s[14:15]
	v_cndmask_b32_e64 v60, v61, v60, s[14:15]
	;; [unrolled: 1-line block ×5, first 2 shown]
	v_cmp_ge_i32_e64 s[12:13], v65, v8
	s_waitcnt lgkmcnt(0)
	v_cmp_lt_i32_e64 s[14:15], v64, v63
	v_cndmask_b32_e64 v52, v52, v54, s[10:11]
	v_cndmask_b32_e64 v51, v53, v51, s[10:11]
	v_cmp_lt_i32_e64 s[10:11], v60, v9
	s_or_b64 s[12:13], s[12:13], s[14:15]
	s_and_b64 s[10:11], s[10:11], s[12:13]
	v_cndmask_b32_e64 v54, v65, v60, s[10:11]
	; wave barrier
	ds_write2_b32 v40, v47, v48 offset1:1
	ds_write2_b32 v40, v49, v50 offset0:2 offset1:3
	v_lshlrev_b32_e32 v47, 2, v51
	v_lshlrev_b32_e32 v48, 2, v56
	;; [unrolled: 1-line block ×4, first 2 shown]
	s_waitcnt lgkmcnt(0)
	; wave barrier
	ds_read_b32 v47, v47
	ds_read_b32 v48, v48
	;; [unrolled: 1-line block ×4, first 2 shown]
	v_cndmask_b32_e64 v53, v63, v64, s[10:11]
	s_waitcnt lgkmcnt(0)
	; wave barrier
	ds_write2_b32 v40, v52, v55 offset1:1
	ds_write2_b32 v40, v59, v53 offset0:2 offset1:3
	v_mov_b32_e32 v53, v22
	s_waitcnt lgkmcnt(0)
	; wave barrier
	s_and_saveexec_b64 s[12:13], s[4:5]
	s_cbranch_execz .LBB7_54
; %bb.51:                               ;   in Loop: Header=BB7_2 Depth=1
	s_mov_b64 s[14:15], 0
	v_mov_b32_e32 v53, v22
	v_mov_b32_e32 v51, v23
.LBB7_52:                               ;   Parent Loop BB7_2 Depth=1
                                        ; =>  This Inner Loop Header: Depth=2
	v_sub_u32_e32 v52, v51, v53
	v_lshrrev_b32_e32 v52, 1, v52
	v_add_u32_e32 v52, v52, v53
	v_not_b32_e32 v55, v52
	v_lshl_add_u32 v54, v52, 2, v44
	v_lshl_add_u32 v55, v55, 2, v37
	ds_read_b32 v54, v54
	ds_read_b32 v55, v55
	v_add_u32_e32 v56, 1, v52
	s_waitcnt lgkmcnt(0)
	v_cmp_lt_i32_e64 s[10:11], v55, v54
	v_cndmask_b32_e64 v51, v51, v52, s[10:11]
	v_cndmask_b32_e64 v53, v56, v53, s[10:11]
	v_cmp_ge_i32_e64 s[10:11], v53, v51
	s_or_b64 s[14:15], s[10:11], s[14:15]
	s_andn2_b64 exec, exec, s[14:15]
	s_cbranch_execnz .LBB7_52
; %bb.53:                               ;   in Loop: Header=BB7_2 Depth=1
	s_or_b64 exec, exec, s[14:15]
.LBB7_54:                               ;   in Loop: Header=BB7_2 Depth=1
	s_or_b64 exec, exec, s[12:13]
	v_sub_u32_e32 v51, v36, v53
	v_lshl_add_u32 v56, v53, 2, v44
	v_lshlrev_b32_e32 v57, 2, v51
	ds_read_b32 v52, v56
	ds_read_b32 v54, v57
	v_add_u32_e32 v53, v53, v10
	v_cmp_le_i32_e64 s[12:13], v11, v53
	v_cmp_gt_i32_e64 s[10:11], v12, v51
                                        ; implicit-def: $vgpr55
	s_waitcnt lgkmcnt(0)
	v_cmp_lt_i32_e64 s[14:15], v54, v52
	s_or_b64 s[12:13], s[12:13], s[14:15]
	s_and_b64 s[10:11], s[10:11], s[12:13]
	s_xor_b64 s[12:13], s[10:11], -1
	s_and_saveexec_b64 s[14:15], s[12:13]
	s_xor_b64 s[12:13], exec, s[14:15]
; %bb.55:                               ;   in Loop: Header=BB7_2 Depth=1
	ds_read_b32 v55, v56 offset:4
                                        ; implicit-def: $vgpr57
; %bb.56:                               ;   in Loop: Header=BB7_2 Depth=1
	s_or_saveexec_b64 s[12:13], s[12:13]
	v_mov_b32_e32 v56, v54
	s_xor_b64 exec, exec, s[12:13]
	s_cbranch_execz .LBB7_58
; %bb.57:                               ;   in Loop: Header=BB7_2 Depth=1
	ds_read_b32 v56, v57 offset:4
	s_waitcnt lgkmcnt(1)
	v_mov_b32_e32 v55, v52
.LBB7_58:                               ;   in Loop: Header=BB7_2 Depth=1
	s_or_b64 exec, exec, s[12:13]
	v_add_u32_e32 v58, 1, v53
	v_add_u32_e32 v57, 1, v51
	v_cndmask_b32_e64 v58, v58, v53, s[10:11]
	v_cndmask_b32_e64 v57, v51, v57, s[10:11]
	v_cmp_ge_i32_e64 s[14:15], v58, v11
	s_waitcnt lgkmcnt(0)
	v_cmp_lt_i32_e64 s[16:17], v56, v55
	v_cmp_lt_i32_e64 s[12:13], v57, v12
	s_or_b64 s[14:15], s[14:15], s[16:17]
	s_and_b64 s[12:13], s[12:13], s[14:15]
	s_xor_b64 s[14:15], s[12:13], -1
                                        ; implicit-def: $vgpr59
	s_and_saveexec_b64 s[16:17], s[14:15]
	s_xor_b64 s[14:15], exec, s[16:17]
; %bb.59:                               ;   in Loop: Header=BB7_2 Depth=1
	v_lshlrev_b32_e32 v59, 2, v58
	ds_read_b32 v59, v59 offset:4
; %bb.60:                               ;   in Loop: Header=BB7_2 Depth=1
	s_or_saveexec_b64 s[14:15], s[14:15]
	v_mov_b32_e32 v60, v56
	s_xor_b64 exec, exec, s[14:15]
	s_cbranch_execz .LBB7_62
; %bb.61:                               ;   in Loop: Header=BB7_2 Depth=1
	s_waitcnt lgkmcnt(0)
	v_lshlrev_b32_e32 v59, 2, v57
	ds_read_b32 v60, v59 offset:4
	v_mov_b32_e32 v59, v55
.LBB7_62:                               ;   in Loop: Header=BB7_2 Depth=1
	s_or_b64 exec, exec, s[14:15]
	v_add_u32_e32 v62, 1, v58
	v_add_u32_e32 v61, 1, v57
	v_cndmask_b32_e64 v62, v62, v58, s[12:13]
	v_cndmask_b32_e64 v61, v57, v61, s[12:13]
	v_cmp_ge_i32_e64 s[16:17], v62, v11
	s_waitcnt lgkmcnt(0)
	v_cmp_lt_i32_e64 s[18:19], v60, v59
	v_cmp_lt_i32_e64 s[14:15], v61, v12
	s_or_b64 s[16:17], s[16:17], s[18:19]
	s_and_b64 s[14:15], s[14:15], s[16:17]
	s_xor_b64 s[16:17], s[14:15], -1
                                        ; implicit-def: $vgpr63
	s_and_saveexec_b64 s[18:19], s[16:17]
	s_xor_b64 s[16:17], exec, s[18:19]
; %bb.63:                               ;   in Loop: Header=BB7_2 Depth=1
	v_lshlrev_b32_e32 v63, 2, v62
	ds_read_b32 v63, v63 offset:4
; %bb.64:                               ;   in Loop: Header=BB7_2 Depth=1
	s_or_saveexec_b64 s[16:17], s[16:17]
	v_mov_b32_e32 v64, v60
	s_xor_b64 exec, exec, s[16:17]
	s_cbranch_execz .LBB7_66
; %bb.65:                               ;   in Loop: Header=BB7_2 Depth=1
	s_waitcnt lgkmcnt(0)
	v_lshlrev_b32_e32 v63, 2, v61
	ds_read_b32 v64, v63 offset:4
	v_mov_b32_e32 v63, v59
.LBB7_66:                               ;   in Loop: Header=BB7_2 Depth=1
	s_or_b64 exec, exec, s[16:17]
	v_add_u32_e32 v65, 1, v62
	v_cndmask_b32_e64 v59, v59, v60, s[14:15]
	v_add_u32_e32 v60, 1, v61
	v_cndmask_b32_e64 v65, v65, v62, s[14:15]
	v_cndmask_b32_e64 v60, v61, v60, s[14:15]
	;; [unrolled: 1-line block ×5, first 2 shown]
	v_cmp_ge_i32_e64 s[12:13], v65, v11
	s_waitcnt lgkmcnt(0)
	v_cmp_lt_i32_e64 s[14:15], v64, v63
	v_cndmask_b32_e64 v52, v52, v54, s[10:11]
	v_cndmask_b32_e64 v51, v53, v51, s[10:11]
	v_cmp_lt_i32_e64 s[10:11], v60, v12
	s_or_b64 s[12:13], s[12:13], s[14:15]
	s_and_b64 s[10:11], s[10:11], s[12:13]
	v_cndmask_b32_e64 v54, v65, v60, s[10:11]
	; wave barrier
	ds_write2_b32 v40, v47, v48 offset1:1
	ds_write2_b32 v40, v49, v50 offset0:2 offset1:3
	v_lshlrev_b32_e32 v47, 2, v51
	v_lshlrev_b32_e32 v48, 2, v56
	;; [unrolled: 1-line block ×4, first 2 shown]
	s_waitcnt lgkmcnt(0)
	; wave barrier
	ds_read_b32 v47, v47
	ds_read_b32 v48, v48
	ds_read_b32 v49, v49
	ds_read_b32 v50, v50
	v_cndmask_b32_e64 v53, v63, v64, s[10:11]
	s_waitcnt lgkmcnt(0)
	; wave barrier
	ds_write2_b32 v40, v52, v55 offset1:1
	ds_write2_b32 v40, v59, v53 offset0:2 offset1:3
	v_mov_b32_e32 v53, v24
	s_waitcnt lgkmcnt(0)
	; wave barrier
	s_and_saveexec_b64 s[12:13], s[6:7]
	s_cbranch_execz .LBB7_70
; %bb.67:                               ;   in Loop: Header=BB7_2 Depth=1
	s_mov_b64 s[14:15], 0
	v_mov_b32_e32 v53, v24
	v_mov_b32_e32 v51, v25
.LBB7_68:                               ;   Parent Loop BB7_2 Depth=1
                                        ; =>  This Inner Loop Header: Depth=2
	v_sub_u32_e32 v52, v51, v53
	v_lshrrev_b32_e32 v52, 1, v52
	v_add_u32_e32 v52, v52, v53
	v_not_b32_e32 v55, v52
	v_lshl_add_u32 v54, v52, 2, v45
	v_lshl_add_u32 v55, v55, 2, v39
	ds_read_b32 v54, v54
	ds_read_b32 v55, v55
	v_add_u32_e32 v56, 1, v52
	s_waitcnt lgkmcnt(0)
	v_cmp_lt_i32_e64 s[10:11], v55, v54
	v_cndmask_b32_e64 v51, v51, v52, s[10:11]
	v_cndmask_b32_e64 v53, v56, v53, s[10:11]
	v_cmp_ge_i32_e64 s[10:11], v53, v51
	s_or_b64 s[14:15], s[10:11], s[14:15]
	s_andn2_b64 exec, exec, s[14:15]
	s_cbranch_execnz .LBB7_68
; %bb.69:                               ;   in Loop: Header=BB7_2 Depth=1
	s_or_b64 exec, exec, s[14:15]
.LBB7_70:                               ;   in Loop: Header=BB7_2 Depth=1
	s_or_b64 exec, exec, s[12:13]
	v_sub_u32_e32 v51, v38, v53
	v_lshl_add_u32 v56, v53, 2, v45
	v_lshlrev_b32_e32 v57, 2, v51
	ds_read_b32 v52, v56
	ds_read_b32 v54, v57
	v_add_u32_e32 v53, v53, v13
	v_cmp_le_i32_e64 s[12:13], v14, v53
	v_cmp_gt_i32_e64 s[10:11], v15, v51
                                        ; implicit-def: $vgpr55
	s_waitcnt lgkmcnt(0)
	v_cmp_lt_i32_e64 s[14:15], v54, v52
	s_or_b64 s[12:13], s[12:13], s[14:15]
	s_and_b64 s[10:11], s[10:11], s[12:13]
	s_xor_b64 s[12:13], s[10:11], -1
	s_and_saveexec_b64 s[14:15], s[12:13]
	s_xor_b64 s[12:13], exec, s[14:15]
; %bb.71:                               ;   in Loop: Header=BB7_2 Depth=1
	ds_read_b32 v55, v56 offset:4
                                        ; implicit-def: $vgpr57
; %bb.72:                               ;   in Loop: Header=BB7_2 Depth=1
	s_or_saveexec_b64 s[12:13], s[12:13]
	v_mov_b32_e32 v56, v54
	s_xor_b64 exec, exec, s[12:13]
	s_cbranch_execz .LBB7_74
; %bb.73:                               ;   in Loop: Header=BB7_2 Depth=1
	ds_read_b32 v56, v57 offset:4
	s_waitcnt lgkmcnt(1)
	v_mov_b32_e32 v55, v52
.LBB7_74:                               ;   in Loop: Header=BB7_2 Depth=1
	s_or_b64 exec, exec, s[12:13]
	v_add_u32_e32 v58, 1, v53
	v_add_u32_e32 v57, 1, v51
	v_cndmask_b32_e64 v58, v58, v53, s[10:11]
	v_cndmask_b32_e64 v57, v51, v57, s[10:11]
	v_cmp_ge_i32_e64 s[14:15], v58, v14
	s_waitcnt lgkmcnt(0)
	v_cmp_lt_i32_e64 s[16:17], v56, v55
	v_cmp_lt_i32_e64 s[12:13], v57, v15
	s_or_b64 s[14:15], s[14:15], s[16:17]
	s_and_b64 s[12:13], s[12:13], s[14:15]
	s_xor_b64 s[14:15], s[12:13], -1
                                        ; implicit-def: $vgpr59
	s_and_saveexec_b64 s[16:17], s[14:15]
	s_xor_b64 s[14:15], exec, s[16:17]
; %bb.75:                               ;   in Loop: Header=BB7_2 Depth=1
	v_lshlrev_b32_e32 v59, 2, v58
	ds_read_b32 v59, v59 offset:4
; %bb.76:                               ;   in Loop: Header=BB7_2 Depth=1
	s_or_saveexec_b64 s[14:15], s[14:15]
	v_mov_b32_e32 v60, v56
	s_xor_b64 exec, exec, s[14:15]
	s_cbranch_execz .LBB7_78
; %bb.77:                               ;   in Loop: Header=BB7_2 Depth=1
	s_waitcnt lgkmcnt(0)
	v_lshlrev_b32_e32 v59, 2, v57
	ds_read_b32 v60, v59 offset:4
	v_mov_b32_e32 v59, v55
.LBB7_78:                               ;   in Loop: Header=BB7_2 Depth=1
	s_or_b64 exec, exec, s[14:15]
	v_add_u32_e32 v62, 1, v58
	v_add_u32_e32 v61, 1, v57
	v_cndmask_b32_e64 v62, v62, v58, s[12:13]
	v_cndmask_b32_e64 v61, v57, v61, s[12:13]
	v_cmp_ge_i32_e64 s[16:17], v62, v14
	s_waitcnt lgkmcnt(0)
	v_cmp_lt_i32_e64 s[18:19], v60, v59
	v_cmp_lt_i32_e64 s[14:15], v61, v15
	s_or_b64 s[16:17], s[16:17], s[18:19]
	s_and_b64 s[14:15], s[14:15], s[16:17]
	s_xor_b64 s[16:17], s[14:15], -1
                                        ; implicit-def: $vgpr63
	s_and_saveexec_b64 s[18:19], s[16:17]
	s_xor_b64 s[16:17], exec, s[18:19]
; %bb.79:                               ;   in Loop: Header=BB7_2 Depth=1
	v_lshlrev_b32_e32 v63, 2, v62
	ds_read_b32 v63, v63 offset:4
; %bb.80:                               ;   in Loop: Header=BB7_2 Depth=1
	s_or_saveexec_b64 s[16:17], s[16:17]
	v_mov_b32_e32 v64, v60
	s_xor_b64 exec, exec, s[16:17]
	s_cbranch_execz .LBB7_82
; %bb.81:                               ;   in Loop: Header=BB7_2 Depth=1
	s_waitcnt lgkmcnt(0)
	v_lshlrev_b32_e32 v63, 2, v61
	ds_read_b32 v64, v63 offset:4
	v_mov_b32_e32 v63, v59
.LBB7_82:                               ;   in Loop: Header=BB7_2 Depth=1
	s_or_b64 exec, exec, s[16:17]
	v_add_u32_e32 v65, 1, v62
	v_cndmask_b32_e64 v59, v59, v60, s[14:15]
	v_add_u32_e32 v60, 1, v61
	v_cndmask_b32_e64 v65, v65, v62, s[14:15]
	v_cndmask_b32_e64 v60, v61, v60, s[14:15]
	;; [unrolled: 1-line block ×5, first 2 shown]
	v_cmp_ge_i32_e64 s[12:13], v65, v14
	s_waitcnt lgkmcnt(0)
	v_cmp_lt_i32_e64 s[14:15], v64, v63
	v_cndmask_b32_e64 v52, v52, v54, s[10:11]
	v_cndmask_b32_e64 v51, v53, v51, s[10:11]
	v_cmp_lt_i32_e64 s[10:11], v60, v15
	s_or_b64 s[12:13], s[12:13], s[14:15]
	s_and_b64 s[10:11], s[10:11], s[12:13]
	v_cndmask_b32_e64 v54, v65, v60, s[10:11]
	; wave barrier
	ds_write2_b32 v40, v47, v48 offset1:1
	ds_write2_b32 v40, v49, v50 offset0:2 offset1:3
	v_lshlrev_b32_e32 v47, 2, v51
	v_lshlrev_b32_e32 v48, 2, v56
	;; [unrolled: 1-line block ×4, first 2 shown]
	s_waitcnt lgkmcnt(0)
	; wave barrier
	ds_read_b32 v47, v47
	ds_read_b32 v48, v48
	;; [unrolled: 1-line block ×4, first 2 shown]
	v_mov_b32_e32 v51, v27
	v_cndmask_b32_e64 v53, v63, v64, s[10:11]
	s_waitcnt lgkmcnt(0)
	; wave barrier
	ds_write2_b32 v40, v52, v55 offset1:1
	ds_write2_b32 v40, v59, v53 offset0:2 offset1:3
	s_waitcnt lgkmcnt(0)
	; wave barrier
	s_and_saveexec_b64 s[12:13], s[8:9]
	s_cbranch_execz .LBB7_86
; %bb.83:                               ;   in Loop: Header=BB7_2 Depth=1
	s_mov_b64 s[14:15], 0
	v_mov_b32_e32 v51, v27
	v_mov_b32_e32 v52, v28
.LBB7_84:                               ;   Parent Loop BB7_2 Depth=1
                                        ; =>  This Inner Loop Header: Depth=2
	v_sub_u32_e32 v53, v52, v51
	v_lshrrev_b32_e32 v53, 1, v53
	v_add_u32_e32 v53, v53, v51
	v_not_b32_e32 v55, v53
	v_lshlrev_b32_e32 v54, 2, v53
	v_lshl_add_u32 v55, v55, 2, v46
	ds_read_b32 v54, v54
	ds_read_b32 v55, v55
	v_add_u32_e32 v56, 1, v53
	s_waitcnt lgkmcnt(0)
	v_cmp_lt_i32_e64 s[10:11], v55, v54
	v_cndmask_b32_e64 v52, v52, v53, s[10:11]
	v_cndmask_b32_e64 v51, v56, v51, s[10:11]
	v_cmp_ge_i32_e64 s[10:11], v51, v52
	s_or_b64 s[14:15], s[10:11], s[14:15]
	s_andn2_b64 exec, exec, s[14:15]
	s_cbranch_execnz .LBB7_84
; %bb.85:                               ;   in Loop: Header=BB7_2 Depth=1
	s_or_b64 exec, exec, s[14:15]
.LBB7_86:                               ;   in Loop: Header=BB7_2 Depth=1
	s_or_b64 exec, exec, s[12:13]
	v_sub_u32_e32 v54, v29, v51
	v_lshlrev_b32_e32 v55, 2, v51
	v_lshlrev_b32_e32 v57, 2, v54
	ds_read_b32 v52, v55
	ds_read_b32 v56, v57
	v_cmp_le_i32_e64 s[12:13], v26, v51
	v_cmp_gt_i32_e64 s[10:11], s33, v54
                                        ; implicit-def: $vgpr53
	s_waitcnt lgkmcnt(0)
	v_cmp_lt_i32_e64 s[14:15], v56, v52
	s_or_b64 s[12:13], s[12:13], s[14:15]
	s_and_b64 s[10:11], s[10:11], s[12:13]
	s_xor_b64 s[12:13], s[10:11], -1
	s_and_saveexec_b64 s[14:15], s[12:13]
	s_xor_b64 s[12:13], exec, s[14:15]
; %bb.87:                               ;   in Loop: Header=BB7_2 Depth=1
	ds_read_b32 v53, v55 offset:4
                                        ; implicit-def: $vgpr57
; %bb.88:                               ;   in Loop: Header=BB7_2 Depth=1
	s_or_saveexec_b64 s[12:13], s[12:13]
	v_mov_b32_e32 v55, v56
	s_xor_b64 exec, exec, s[12:13]
	s_cbranch_execz .LBB7_90
; %bb.89:                               ;   in Loop: Header=BB7_2 Depth=1
	ds_read_b32 v55, v57 offset:4
	s_waitcnt lgkmcnt(1)
	v_mov_b32_e32 v53, v52
.LBB7_90:                               ;   in Loop: Header=BB7_2 Depth=1
	s_or_b64 exec, exec, s[12:13]
	v_add_u32_e32 v58, 1, v51
	v_add_u32_e32 v57, 1, v54
	v_cndmask_b32_e64 v60, v58, v51, s[10:11]
	v_cndmask_b32_e64 v59, v54, v57, s[10:11]
	v_cmp_ge_i32_e64 s[14:15], v60, v26
	s_waitcnt lgkmcnt(0)
	v_cmp_lt_i32_e64 s[16:17], v55, v53
	v_cmp_gt_i32_e64 s[12:13], s33, v59
	s_or_b64 s[14:15], s[14:15], s[16:17]
	s_and_b64 s[12:13], s[12:13], s[14:15]
	s_xor_b64 s[14:15], s[12:13], -1
                                        ; implicit-def: $vgpr57
	s_and_saveexec_b64 s[16:17], s[14:15]
	s_xor_b64 s[14:15], exec, s[16:17]
; %bb.91:                               ;   in Loop: Header=BB7_2 Depth=1
	v_lshlrev_b32_e32 v57, 2, v60
	ds_read_b32 v57, v57 offset:4
; %bb.92:                               ;   in Loop: Header=BB7_2 Depth=1
	s_or_saveexec_b64 s[14:15], s[14:15]
	v_mov_b32_e32 v58, v55
	s_xor_b64 exec, exec, s[14:15]
	s_cbranch_execz .LBB7_94
; %bb.93:                               ;   in Loop: Header=BB7_2 Depth=1
	s_waitcnt lgkmcnt(0)
	v_lshlrev_b32_e32 v57, 2, v59
	ds_read_b32 v58, v57 offset:4
	v_mov_b32_e32 v57, v53
.LBB7_94:                               ;   in Loop: Header=BB7_2 Depth=1
	s_or_b64 exec, exec, s[14:15]
	v_add_u32_e32 v62, 1, v60
	v_add_u32_e32 v61, 1, v59
	v_cndmask_b32_e64 v65, v62, v60, s[12:13]
	v_cndmask_b32_e64 v61, v59, v61, s[12:13]
	v_cmp_ge_i32_e64 s[16:17], v65, v26
	s_waitcnt lgkmcnt(0)
	v_cmp_lt_i32_e64 s[18:19], v58, v57
	v_cmp_gt_i32_e64 s[14:15], s33, v61
	s_or_b64 s[16:17], s[16:17], s[18:19]
	s_and_b64 s[14:15], s[14:15], s[16:17]
	s_xor_b64 s[16:17], s[14:15], -1
                                        ; implicit-def: $vgpr64
                                        ; implicit-def: $vgpr63
	s_and_saveexec_b64 s[18:19], s[16:17]
	s_xor_b64 s[16:17], exec, s[18:19]
; %bb.95:                               ;   in Loop: Header=BB7_2 Depth=1
	v_lshlrev_b32_e32 v62, 2, v65
	ds_read_b32 v64, v62 offset:4
	v_add_u32_e32 v63, 1, v65
; %bb.96:                               ;   in Loop: Header=BB7_2 Depth=1
	s_or_saveexec_b64 s[16:17], s[16:17]
	v_mov_b32_e32 v62, v65
	v_mov_b32_e32 v66, v58
	s_xor_b64 exec, exec, s[16:17]
	s_cbranch_execz .LBB7_1
; %bb.97:                               ;   in Loop: Header=BB7_2 Depth=1
	v_lshlrev_b32_e32 v62, 2, v61
	ds_read_b32 v66, v62 offset:4
	s_waitcnt lgkmcnt(1)
	v_add_u32_e32 v64, 1, v61
	v_mov_b32_e32 v62, v61
	v_mov_b32_e32 v63, v65
	;; [unrolled: 1-line block ×4, first 2 shown]
	s_branch .LBB7_1
.LBB7_98:
	s_add_u32 s0, s38, s34
	s_waitcnt lgkmcnt(3)
	v_add_u32_e32 v1, v52, v47
	s_addc_u32 s1, s39, s35
	v_lshlrev_b32_e32 v0, 2, v0
	s_waitcnt lgkmcnt(2)
	v_add_u32_e32 v2, v54, v49
	s_waitcnt lgkmcnt(1)
	v_add_u32_e32 v3, v53, v48
	;; [unrolled: 2-line block ×3, first 2 shown]
	global_store_dword v0, v1, s[0:1]
	global_store_dword v0, v2, s[0:1] offset:256
	global_store_dword v0, v3, s[0:1] offset:512
	;; [unrolled: 1-line block ×3, first 2 shown]
	s_endpgm
	.section	.rodata,"a",@progbits
	.p2align	6, 0x0
	.amdhsa_kernel _Z17sort_pairs_kernelIiLj64ELj4EN10test_utils4lessELj10EEvPKT_PS2_T2_
		.amdhsa_group_segment_fixed_size 1028
		.amdhsa_private_segment_fixed_size 0
		.amdhsa_kernarg_size 20
		.amdhsa_user_sgpr_count 6
		.amdhsa_user_sgpr_private_segment_buffer 1
		.amdhsa_user_sgpr_dispatch_ptr 0
		.amdhsa_user_sgpr_queue_ptr 0
		.amdhsa_user_sgpr_kernarg_segment_ptr 1
		.amdhsa_user_sgpr_dispatch_id 0
		.amdhsa_user_sgpr_flat_scratch_init 0
		.amdhsa_user_sgpr_private_segment_size 0
		.amdhsa_uses_dynamic_stack 0
		.amdhsa_system_sgpr_private_segment_wavefront_offset 0
		.amdhsa_system_sgpr_workgroup_id_x 1
		.amdhsa_system_sgpr_workgroup_id_y 0
		.amdhsa_system_sgpr_workgroup_id_z 0
		.amdhsa_system_sgpr_workgroup_info 0
		.amdhsa_system_vgpr_workitem_id 0
		.amdhsa_next_free_vgpr 67
		.amdhsa_next_free_sgpr 42
		.amdhsa_reserve_vcc 1
		.amdhsa_reserve_flat_scratch 0
		.amdhsa_float_round_mode_32 0
		.amdhsa_float_round_mode_16_64 0
		.amdhsa_float_denorm_mode_32 3
		.amdhsa_float_denorm_mode_16_64 3
		.amdhsa_dx10_clamp 1
		.amdhsa_ieee_mode 1
		.amdhsa_fp16_overflow 0
		.amdhsa_exception_fp_ieee_invalid_op 0
		.amdhsa_exception_fp_denorm_src 0
		.amdhsa_exception_fp_ieee_div_zero 0
		.amdhsa_exception_fp_ieee_overflow 0
		.amdhsa_exception_fp_ieee_underflow 0
		.amdhsa_exception_fp_ieee_inexact 0
		.amdhsa_exception_int_div_zero 0
	.end_amdhsa_kernel
	.section	.text._Z17sort_pairs_kernelIiLj64ELj4EN10test_utils4lessELj10EEvPKT_PS2_T2_,"axG",@progbits,_Z17sort_pairs_kernelIiLj64ELj4EN10test_utils4lessELj10EEvPKT_PS2_T2_,comdat
.Lfunc_end7:
	.size	_Z17sort_pairs_kernelIiLj64ELj4EN10test_utils4lessELj10EEvPKT_PS2_T2_, .Lfunc_end7-_Z17sort_pairs_kernelIiLj64ELj4EN10test_utils4lessELj10EEvPKT_PS2_T2_
                                        ; -- End function
	.set _Z17sort_pairs_kernelIiLj64ELj4EN10test_utils4lessELj10EEvPKT_PS2_T2_.num_vgpr, 67
	.set _Z17sort_pairs_kernelIiLj64ELj4EN10test_utils4lessELj10EEvPKT_PS2_T2_.num_agpr, 0
	.set _Z17sort_pairs_kernelIiLj64ELj4EN10test_utils4lessELj10EEvPKT_PS2_T2_.numbered_sgpr, 42
	.set _Z17sort_pairs_kernelIiLj64ELj4EN10test_utils4lessELj10EEvPKT_PS2_T2_.num_named_barrier, 0
	.set _Z17sort_pairs_kernelIiLj64ELj4EN10test_utils4lessELj10EEvPKT_PS2_T2_.private_seg_size, 0
	.set _Z17sort_pairs_kernelIiLj64ELj4EN10test_utils4lessELj10EEvPKT_PS2_T2_.uses_vcc, 1
	.set _Z17sort_pairs_kernelIiLj64ELj4EN10test_utils4lessELj10EEvPKT_PS2_T2_.uses_flat_scratch, 0
	.set _Z17sort_pairs_kernelIiLj64ELj4EN10test_utils4lessELj10EEvPKT_PS2_T2_.has_dyn_sized_stack, 0
	.set _Z17sort_pairs_kernelIiLj64ELj4EN10test_utils4lessELj10EEvPKT_PS2_T2_.has_recursion, 0
	.set _Z17sort_pairs_kernelIiLj64ELj4EN10test_utils4lessELj10EEvPKT_PS2_T2_.has_indirect_call, 0
	.section	.AMDGPU.csdata,"",@progbits
; Kernel info:
; codeLenInByte = 5224
; TotalNumSgprs: 46
; NumVgprs: 67
; ScratchSize: 0
; MemoryBound: 0
; FloatMode: 240
; IeeeMode: 1
; LDSByteSize: 1028 bytes/workgroup (compile time only)
; SGPRBlocks: 5
; VGPRBlocks: 16
; NumSGPRsForWavesPerEU: 46
; NumVGPRsForWavesPerEU: 67
; Occupancy: 3
; WaveLimiterHint : 1
; COMPUTE_PGM_RSRC2:SCRATCH_EN: 0
; COMPUTE_PGM_RSRC2:USER_SGPR: 6
; COMPUTE_PGM_RSRC2:TRAP_HANDLER: 0
; COMPUTE_PGM_RSRC2:TGID_X_EN: 1
; COMPUTE_PGM_RSRC2:TGID_Y_EN: 0
; COMPUTE_PGM_RSRC2:TGID_Z_EN: 0
; COMPUTE_PGM_RSRC2:TIDIG_COMP_CNT: 0
	.section	.text._Z16sort_keys_kernelIiLj64ELj8EN10test_utils4lessELj10EEvPKT_PS2_T2_,"axG",@progbits,_Z16sort_keys_kernelIiLj64ELj8EN10test_utils4lessELj10EEvPKT_PS2_T2_,comdat
	.protected	_Z16sort_keys_kernelIiLj64ELj8EN10test_utils4lessELj10EEvPKT_PS2_T2_ ; -- Begin function _Z16sort_keys_kernelIiLj64ELj8EN10test_utils4lessELj10EEvPKT_PS2_T2_
	.globl	_Z16sort_keys_kernelIiLj64ELj8EN10test_utils4lessELj10EEvPKT_PS2_T2_
	.p2align	8
	.type	_Z16sort_keys_kernelIiLj64ELj8EN10test_utils4lessELj10EEvPKT_PS2_T2_,@function
_Z16sort_keys_kernelIiLj64ELj8EN10test_utils4lessELj10EEvPKT_PS2_T2_: ; @_Z16sort_keys_kernelIiLj64ELj8EN10test_utils4lessELj10EEvPKT_PS2_T2_
; %bb.0:
	s_load_dwordx4 s[28:31], s[4:5], 0x0
	s_lshl_b32 s34, s6, 9
	s_mov_b32 s35, 0
	s_lshl_b64 s[36:37], s[34:35], 2
	v_lshlrev_b32_e32 v4, 2, v0
	s_waitcnt lgkmcnt(0)
	s_add_u32 s0, s28, s36
	s_addc_u32 s1, s29, s37
	global_load_dword v57, v4, s[0:1]
	global_load_dword v58, v4, s[0:1] offset:256
	global_load_dword v50, v4, s[0:1] offset:512
	;; [unrolled: 1-line block ×7, first 2 shown]
	v_lshlrev_b32_e32 v29, 3, v0
	v_and_b32_e32 v1, 0x1f0, v29
	v_and_b32_e32 v4, 0x1e0, v29
	;; [unrolled: 1-line block ×5, first 2 shown]
	v_or_b32_e32 v2, 8, v1
	v_add_u32_e32 v3, 16, v1
	v_or_b32_e32 v5, 16, v4
	v_add_u32_e32 v6, 32, v4
	v_or_b32_e32 v8, 32, v7
	v_add_u32_e32 v9, 64, v7
	v_or_b32_e32 v11, 64, v10
	v_add_u32_e32 v12, 0x80, v10
	v_or_b32_e32 v14, 0x80, v13
	v_add_u32_e32 v15, 0x100, v13
	v_and_b32_e32 v31, 8, v29
	v_sub_u32_e32 v16, v3, v2
	v_and_b32_e32 v33, 24, v29
	v_sub_u32_e32 v18, v6, v5
	;; [unrolled: 2-line block ×5, first 2 shown]
	v_sub_u32_e32 v17, v31, v16
	v_sub_u32_e32 v19, v33, v18
	v_sub_u32_e32 v21, v35, v20
	v_sub_u32_e32 v23, v37, v22
	v_sub_u32_e32 v25, v39, v24
	v_cmp_ge_i32_e32 vcc, v31, v16
	v_cmp_ge_i32_e64 s[0:1], v33, v18
	v_cmp_ge_i32_e64 s[2:3], v35, v20
	;; [unrolled: 1-line block ×4, first 2 shown]
	v_cndmask_b32_e32 v16, 0, v17, vcc
	v_sub_u32_e32 v17, v2, v1
	v_cndmask_b32_e64 v18, 0, v19, s[0:1]
	v_sub_u32_e32 v19, v5, v4
	v_cndmask_b32_e64 v20, 0, v21, s[2:3]
	;; [unrolled: 2-line block ×4, first 2 shown]
	v_sub_u32_e32 v25, v14, v13
	v_mov_b32_e32 v26, 0x100
	v_min_i32_e32 v17, v31, v17
	v_min_i32_e32 v19, v33, v19
	;; [unrolled: 1-line block ×5, first 2 shown]
	v_sub_u32_e64 v27, v29, v26 clamp
	v_min_i32_e32 v28, 0x100, v29
	v_add_u32_e32 v30, v2, v31
	v_lshlrev_b32_e32 v31, 2, v31
	v_add_u32_e32 v32, v5, v33
	v_lshlrev_b32_e32 v33, 2, v33
	v_add_u32_e32 v34, v8, v35
	v_lshlrev_b32_e32 v35, 2, v35
	v_add_u32_e32 v36, v11, v37
	v_lshlrev_b32_e32 v37, 2, v37
	v_add_u32_e32 v38, v14, v39
	v_lshlrev_b32_e32 v39, 2, v39
	v_lshlrev_b32_e32 v40, 5, v0
	v_cmp_lt_i32_e32 vcc, v16, v17
	v_cmp_lt_i32_e64 s[0:1], v18, v19
	v_cmp_lt_i32_e64 s[2:3], v20, v21
	;; [unrolled: 1-line block ×5, first 2 shown]
	v_add_u32_e32 v29, 0x100, v29
	v_lshl_add_u32 v31, v2, 2, v31
	v_lshl_add_u32 v33, v5, 2, v33
	v_lshl_add_u32 v35, v8, 2, v35
	v_lshl_add_u32 v37, v11, 2, v37
	v_lshl_add_u32 v39, v14, 2, v39
	s_movk_i32 s28, 0x200
	v_lshlrev_b32_e32 v41, 2, v1
	v_lshlrev_b32_e32 v42, 2, v4
	;; [unrolled: 1-line block ×5, first 2 shown]
	v_add_u32_e32 v46, 0x400, v40
	s_branch .LBB8_2
.LBB8_1:                                ;   in Loop: Header=BB8_2 Depth=1
	s_or_b64 exec, exec, s[24:25]
	v_cndmask_b32_e64 v58, v49, v50, s[12:13]
	v_cndmask_b32_e64 v50, v51, v52, s[14:15]
	v_cmp_ge_i32_e64 s[12:13], v65, v26
	s_waitcnt lgkmcnt(0)
	v_cmp_lt_i32_e64 s[14:15], v66, v64
	v_cndmask_b32_e64 v57, v47, v48, s[10:11]
	v_cmp_gt_i32_e64 s[10:11], s28, v63
	s_or_b64 s[12:13], s[12:13], s[14:15]
	s_and_b64 s[10:11], s[10:11], s[12:13]
	s_add_i32 s35, s35, 1
	v_cndmask_b32_e64 v51, v53, v54, s[16:17]
	v_cndmask_b32_e64 v48, v55, v56, s[18:19]
	;; [unrolled: 1-line block ×4, first 2 shown]
	s_cmp_eq_u32 s35, 10
	v_cndmask_b32_e64 v52, v64, v66, s[10:11]
	s_cbranch_scc1 .LBB8_194
.LBB8_2:                                ; =>This Loop Header: Depth=1
                                        ;     Child Loop BB8_4 Depth 2
                                        ;     Child Loop BB8_36 Depth 2
	;; [unrolled: 1-line block ×6, first 2 shown]
	s_waitcnt vmcnt(6)
	v_cmp_lt_i32_e64 s[10:11], v58, v57
	v_cndmask_b32_e64 v53, v57, v58, s[10:11]
	v_cndmask_b32_e64 v54, v58, v57, s[10:11]
	s_waitcnt vmcnt(4)
	v_cmp_lt_i32_e64 s[10:11], v51, v50
	v_min_i32_e32 v55, v58, v57
	v_max_i32_e32 v56, v58, v57
	v_cndmask_b32_e64 v57, v51, v50, s[10:11]
	v_cndmask_b32_e64 v58, v50, v51, s[10:11]
	s_waitcnt vmcnt(2)
	v_cmp_lt_i32_e64 s[10:11], v49, v48
	v_max_i32_e32 v59, v51, v50
	v_min_i32_e32 v50, v51, v50
	v_cndmask_b32_e64 v51, v49, v48, s[10:11]
	v_cndmask_b32_e64 v60, v48, v49, s[10:11]
	s_waitcnt vmcnt(0)
	v_cmp_lt_i32_e64 s[10:11], v52, v47
	v_max_i32_e32 v61, v49, v48
	v_min_i32_e32 v48, v49, v48
	v_cndmask_b32_e64 v49, v52, v47, s[10:11]
	v_cndmask_b32_e64 v62, v47, v52, s[10:11]
	v_cmp_lt_i32_e64 s[10:11], v50, v56
	v_max_i32_e32 v63, v52, v47
	v_min_i32_e32 v47, v52, v47
	v_cndmask_b32_e64 v52, v58, v56, s[10:11]
	v_cndmask_b32_e64 v54, v54, v50, s[10:11]
	v_cmp_lt_i32_e64 s[10:11], v48, v59
	v_cndmask_b32_e64 v60, v60, v59, s[10:11]
	v_cndmask_b32_e64 v57, v57, v48, s[10:11]
	v_cmp_lt_i32_e64 s[10:11], v47, v61
	v_max_i32_e32 v58, v50, v56
	v_min_i32_e32 v56, v50, v56
	v_max_i32_e32 v64, v48, v59
	v_min_i32_e32 v48, v48, v59
	v_cndmask_b32_e64 v59, v62, v61, s[10:11]
	v_cndmask_b32_e64 v51, v51, v47, s[10:11]
	v_cmp_lt_i32_e64 s[10:11], v50, v55
	v_max_i32_e32 v62, v47, v61
	v_min_i32_e32 v47, v47, v61
	v_cndmask_b32_e64 v50, v53, v56, s[10:11]
	v_cndmask_b32_e64 v53, v54, v55, s[10:11]
	;; [unrolled: 1-line block ×4, first 2 shown]
	v_cmp_lt_i32_e64 s[10:11], v48, v58
	v_cndmask_b32_e64 v56, v57, v58, s[10:11]
	v_cndmask_b32_e64 v52, v52, v48, s[10:11]
	v_cmp_lt_i32_e64 s[10:11], v47, v64
	v_max_i32_e32 v57, v48, v58
	v_min_i32_e32 v48, v48, v58
	v_cndmask_b32_e64 v51, v51, v64, s[10:11]
	v_cndmask_b32_e64 v58, v60, v47, s[10:11]
	v_cmp_gt_i32_e64 s[10:11], v61, v63
	v_max_i32_e32 v60, v47, v64
	v_min_i32_e32 v47, v47, v64
	v_cndmask_b32_e64 v49, v49, v62, s[10:11]
	v_cndmask_b32_e64 v59, v59, v63, s[10:11]
	;; [unrolled: 1-line block ×4, first 2 shown]
	v_cmp_lt_i32_e64 s[10:11], v48, v55
	v_cndmask_b32_e64 v52, v52, v55, s[10:11]
	v_cndmask_b32_e64 v53, v53, v48, s[10:11]
	v_cmp_lt_i32_e64 s[10:11], v47, v57
	v_max_i32_e32 v63, v48, v55
	v_min_i32_e32 v48, v48, v55
	v_cndmask_b32_e64 v55, v58, v57, s[10:11]
	v_cndmask_b32_e64 v56, v56, v47, s[10:11]
	v_cmp_lt_i32_e64 s[10:11], v62, v60
	v_max_i32_e32 v58, v47, v57
	v_min_i32_e32 v47, v47, v57
	v_cndmask_b32_e64 v57, v59, v60, s[10:11]
	v_cndmask_b32_e64 v51, v51, v62, s[10:11]
	v_cmp_lt_i32_e64 s[10:11], v48, v54
	v_max_i32_e32 v59, v62, v60
	v_min_i32_e32 v60, v62, v60
	v_cndmask_b32_e64 v50, v50, v48, s[10:11]
	v_cndmask_b32_e64 v53, v53, v54, s[10:11]
	v_cmp_lt_i32_e64 s[10:11], v47, v63
	v_min_i32_e32 v62, v48, v54
	v_max_i32_e32 v48, v48, v54
	v_cndmask_b32_e64 v54, v56, v63, s[10:11]
	v_cndmask_b32_e64 v52, v52, v47, s[10:11]
	v_cmp_lt_i32_e64 s[10:11], v60, v58
	v_max_i32_e32 v56, v47, v63
	v_min_i32_e32 v47, v47, v63
	v_cndmask_b32_e64 v51, v51, v58, s[10:11]
	v_cndmask_b32_e64 v55, v55, v60, s[10:11]
	v_cmp_lt_i32_e64 s[10:11], v61, v59
	v_max_i32_e32 v63, v60, v58
	v_min_i32_e32 v58, v60, v58
	;; [unrolled: 5-line block ×3, first 2 shown]
	v_cndmask_b32_e64 v53, v53, v47, s[10:11]
	v_cndmask_b32_e64 v52, v52, v48, s[10:11]
	v_cmp_lt_i32_e64 s[10:11], v58, v56
	v_cndmask_b32_e64 v55, v55, v56, s[10:11]
	v_cndmask_b32_e64 v54, v54, v58, s[10:11]
	v_cmp_lt_i32_e64 s[10:11], v59, v63
	v_max_i32_e32 v61, v47, v48
	v_min_i32_e32 v48, v47, v48
	v_max_i32_e32 v64, v58, v56
	v_min_i32_e32 v56, v58, v56
	v_cndmask_b32_e64 v57, v57, v63, s[10:11]
	v_cndmask_b32_e64 v51, v51, v59, s[10:11]
	v_cmp_lt_i32_e64 s[10:11], v47, v62
	v_max_i32_e32 v58, v59, v63
	v_min_i32_e32 v59, v59, v63
	v_cndmask_b32_e64 v47, v50, v48, s[10:11]
	v_cndmask_b32_e64 v50, v53, v62, s[10:11]
	;; [unrolled: 1-line block ×3, first 2 shown]
	v_cmp_lt_i32_e64 s[10:11], v56, v61
	v_cndmask_b32_e64 v52, v52, v56, s[10:11]
	v_cndmask_b32_e64 v53, v54, v61, s[10:11]
	v_cmp_lt_i32_e64 s[10:11], v59, v64
	v_max_i32_e32 v54, v56, v61
	v_min_i32_e32 v56, v56, v61
	v_cndmask_b32_e64 v51, v51, v64, s[10:11]
	v_cndmask_b32_e64 v55, v55, v59, s[10:11]
	v_cmp_gt_i32_e64 s[10:11], v63, v60
	v_max_i32_e32 v61, v59, v64
	v_min_i32_e32 v59, v59, v64
	v_cndmask_b32_e64 v49, v49, v58, s[10:11]
	v_cndmask_b32_e64 v57, v57, v60, s[10:11]
	;; [unrolled: 1-line block ×3, first 2 shown]
	v_cmp_lt_i32_e64 s[10:11], v56, v48
	v_cndmask_b32_e64 v48, v52, v48, s[10:11]
	v_cndmask_b32_e64 v50, v50, v56, s[10:11]
	v_cmp_lt_i32_e64 s[10:11], v59, v54
	v_cndmask_b32_e64 v52, v55, v54, s[10:11]
	v_cndmask_b32_e64 v53, v53, v59, s[10:11]
	;; [unrolled: 3-line block ×3, first 2 shown]
	; wave barrier
	ds_write2_b32 v40, v47, v50 offset1:1
	ds_write2_b32 v40, v48, v53 offset0:2 offset1:3
	ds_write2_b32 v40, v52, v51 offset0:4 offset1:5
	;; [unrolled: 1-line block ×3, first 2 shown]
	v_mov_b32_e32 v49, v16
	s_waitcnt lgkmcnt(0)
	; wave barrier
	s_and_saveexec_b64 s[12:13], vcc
	s_cbranch_execz .LBB8_6
; %bb.3:                                ;   in Loop: Header=BB8_2 Depth=1
	s_mov_b64 s[14:15], 0
	v_mov_b32_e32 v49, v16
	v_mov_b32_e32 v47, v17
.LBB8_4:                                ;   Parent Loop BB8_2 Depth=1
                                        ; =>  This Inner Loop Header: Depth=2
	v_sub_u32_e32 v48, v47, v49
	v_lshrrev_b32_e32 v48, 1, v48
	v_add_u32_e32 v48, v48, v49
	v_not_b32_e32 v51, v48
	v_lshl_add_u32 v50, v48, 2, v41
	v_lshl_add_u32 v51, v51, 2, v31
	ds_read_b32 v50, v50
	ds_read_b32 v51, v51
	v_add_u32_e32 v52, 1, v48
	s_waitcnt lgkmcnt(0)
	v_cmp_lt_i32_e64 s[10:11], v51, v50
	v_cndmask_b32_e64 v47, v47, v48, s[10:11]
	v_cndmask_b32_e64 v49, v52, v49, s[10:11]
	v_cmp_ge_i32_e64 s[10:11], v49, v47
	s_or_b64 s[14:15], s[10:11], s[14:15]
	s_andn2_b64 exec, exec, s[14:15]
	s_cbranch_execnz .LBB8_4
; %bb.5:                                ;   in Loop: Header=BB8_2 Depth=1
	s_or_b64 exec, exec, s[14:15]
.LBB8_6:                                ;   in Loop: Header=BB8_2 Depth=1
	s_or_b64 exec, exec, s[12:13]
	v_sub_u32_e32 v51, v30, v49
	v_lshl_add_u32 v50, v49, 2, v41
	v_lshlrev_b32_e32 v53, 2, v51
	ds_read_b32 v47, v50
	ds_read_b32 v48, v53
	v_add_u32_e32 v52, v49, v1
	v_cmp_le_i32_e64 s[12:13], v2, v52
	v_cmp_gt_i32_e64 s[10:11], v3, v51
                                        ; implicit-def: $vgpr49
	s_waitcnt lgkmcnt(0)
	v_cmp_lt_i32_e64 s[14:15], v48, v47
	s_or_b64 s[12:13], s[12:13], s[14:15]
	s_and_b64 s[10:11], s[10:11], s[12:13]
	s_xor_b64 s[12:13], s[10:11], -1
	s_and_saveexec_b64 s[14:15], s[12:13]
	s_xor_b64 s[12:13], exec, s[14:15]
; %bb.7:                                ;   in Loop: Header=BB8_2 Depth=1
	ds_read_b32 v49, v50 offset:4
                                        ; implicit-def: $vgpr53
; %bb.8:                                ;   in Loop: Header=BB8_2 Depth=1
	s_or_saveexec_b64 s[12:13], s[12:13]
	v_mov_b32_e32 v50, v48
	s_xor_b64 exec, exec, s[12:13]
	s_cbranch_execz .LBB8_10
; %bb.9:                                ;   in Loop: Header=BB8_2 Depth=1
	ds_read_b32 v50, v53 offset:4
	s_waitcnt lgkmcnt(1)
	v_mov_b32_e32 v49, v47
.LBB8_10:                               ;   in Loop: Header=BB8_2 Depth=1
	s_or_b64 exec, exec, s[12:13]
	v_add_u32_e32 v54, 1, v52
	v_add_u32_e32 v53, 1, v51
	v_cndmask_b32_e64 v54, v54, v52, s[10:11]
	v_cndmask_b32_e64 v53, v51, v53, s[10:11]
	v_cmp_ge_i32_e64 s[14:15], v54, v2
	s_waitcnt lgkmcnt(0)
	v_cmp_lt_i32_e64 s[16:17], v50, v49
	v_cmp_lt_i32_e64 s[12:13], v53, v3
	s_or_b64 s[14:15], s[14:15], s[16:17]
	s_and_b64 s[12:13], s[12:13], s[14:15]
	s_xor_b64 s[14:15], s[12:13], -1
                                        ; implicit-def: $vgpr51
	s_and_saveexec_b64 s[16:17], s[14:15]
	s_xor_b64 s[14:15], exec, s[16:17]
; %bb.11:                               ;   in Loop: Header=BB8_2 Depth=1
	v_lshlrev_b32_e32 v51, 2, v54
	ds_read_b32 v51, v51 offset:4
; %bb.12:                               ;   in Loop: Header=BB8_2 Depth=1
	s_or_saveexec_b64 s[14:15], s[14:15]
	v_mov_b32_e32 v52, v50
	s_xor_b64 exec, exec, s[14:15]
	s_cbranch_execz .LBB8_14
; %bb.13:                               ;   in Loop: Header=BB8_2 Depth=1
	s_waitcnt lgkmcnt(0)
	v_lshlrev_b32_e32 v51, 2, v53
	ds_read_b32 v52, v51 offset:4
	v_mov_b32_e32 v51, v49
.LBB8_14:                               ;   in Loop: Header=BB8_2 Depth=1
	s_or_b64 exec, exec, s[14:15]
	v_add_u32_e32 v56, 1, v54
	v_add_u32_e32 v55, 1, v53
	v_cndmask_b32_e64 v56, v56, v54, s[12:13]
	v_cndmask_b32_e64 v55, v53, v55, s[12:13]
	v_cmp_ge_i32_e64 s[16:17], v56, v2
	s_waitcnt lgkmcnt(0)
	v_cmp_lt_i32_e64 s[18:19], v52, v51
	v_cmp_lt_i32_e64 s[14:15], v55, v3
	s_or_b64 s[16:17], s[16:17], s[18:19]
	s_and_b64 s[14:15], s[14:15], s[16:17]
	s_xor_b64 s[16:17], s[14:15], -1
                                        ; implicit-def: $vgpr53
	s_and_saveexec_b64 s[18:19], s[16:17]
	s_xor_b64 s[16:17], exec, s[18:19]
; %bb.15:                               ;   in Loop: Header=BB8_2 Depth=1
	v_lshlrev_b32_e32 v53, 2, v56
	ds_read_b32 v53, v53 offset:4
; %bb.16:                               ;   in Loop: Header=BB8_2 Depth=1
	s_or_saveexec_b64 s[16:17], s[16:17]
	v_mov_b32_e32 v54, v52
	s_xor_b64 exec, exec, s[16:17]
	s_cbranch_execz .LBB8_18
; %bb.17:                               ;   in Loop: Header=BB8_2 Depth=1
	s_waitcnt lgkmcnt(0)
	v_lshlrev_b32_e32 v53, 2, v55
	ds_read_b32 v54, v53 offset:4
	v_mov_b32_e32 v53, v51
.LBB8_18:                               ;   in Loop: Header=BB8_2 Depth=1
	s_or_b64 exec, exec, s[16:17]
	v_add_u32_e32 v58, 1, v56
	v_add_u32_e32 v57, 1, v55
	v_cndmask_b32_e64 v58, v58, v56, s[14:15]
	v_cndmask_b32_e64 v57, v55, v57, s[14:15]
	v_cmp_ge_i32_e64 s[18:19], v58, v2
	s_waitcnt lgkmcnt(0)
	v_cmp_lt_i32_e64 s[20:21], v54, v53
	v_cmp_lt_i32_e64 s[16:17], v57, v3
	s_or_b64 s[18:19], s[18:19], s[20:21]
	s_and_b64 s[16:17], s[16:17], s[18:19]
	s_xor_b64 s[18:19], s[16:17], -1
                                        ; implicit-def: $vgpr55
	s_and_saveexec_b64 s[20:21], s[18:19]
	s_xor_b64 s[18:19], exec, s[20:21]
; %bb.19:                               ;   in Loop: Header=BB8_2 Depth=1
	v_lshlrev_b32_e32 v55, 2, v58
	ds_read_b32 v55, v55 offset:4
; %bb.20:                               ;   in Loop: Header=BB8_2 Depth=1
	s_or_saveexec_b64 s[18:19], s[18:19]
	v_mov_b32_e32 v56, v54
	s_xor_b64 exec, exec, s[18:19]
	s_cbranch_execz .LBB8_22
; %bb.21:                               ;   in Loop: Header=BB8_2 Depth=1
	s_waitcnt lgkmcnt(0)
	v_lshlrev_b32_e32 v55, 2, v57
	ds_read_b32 v56, v55 offset:4
	v_mov_b32_e32 v55, v53
.LBB8_22:                               ;   in Loop: Header=BB8_2 Depth=1
	s_or_b64 exec, exec, s[18:19]
	v_add_u32_e32 v60, 1, v58
	v_add_u32_e32 v59, 1, v57
	v_cndmask_b32_e64 v60, v60, v58, s[16:17]
	v_cndmask_b32_e64 v59, v57, v59, s[16:17]
	v_cmp_ge_i32_e64 s[20:21], v60, v2
	s_waitcnt lgkmcnt(0)
	v_cmp_lt_i32_e64 s[22:23], v56, v55
	v_cmp_lt_i32_e64 s[18:19], v59, v3
	s_or_b64 s[20:21], s[20:21], s[22:23]
	s_and_b64 s[18:19], s[18:19], s[20:21]
	s_xor_b64 s[20:21], s[18:19], -1
                                        ; implicit-def: $vgpr57
	s_and_saveexec_b64 s[22:23], s[20:21]
	s_xor_b64 s[20:21], exec, s[22:23]
; %bb.23:                               ;   in Loop: Header=BB8_2 Depth=1
	v_lshlrev_b32_e32 v57, 2, v60
	ds_read_b32 v57, v57 offset:4
; %bb.24:                               ;   in Loop: Header=BB8_2 Depth=1
	s_or_saveexec_b64 s[20:21], s[20:21]
	v_mov_b32_e32 v58, v56
	s_xor_b64 exec, exec, s[20:21]
	s_cbranch_execz .LBB8_26
; %bb.25:                               ;   in Loop: Header=BB8_2 Depth=1
	s_waitcnt lgkmcnt(0)
	v_lshlrev_b32_e32 v57, 2, v59
	ds_read_b32 v58, v57 offset:4
	v_mov_b32_e32 v57, v55
.LBB8_26:                               ;   in Loop: Header=BB8_2 Depth=1
	s_or_b64 exec, exec, s[20:21]
	v_add_u32_e32 v62, 1, v60
	v_add_u32_e32 v61, 1, v59
	v_cndmask_b32_e64 v62, v62, v60, s[18:19]
	v_cndmask_b32_e64 v61, v59, v61, s[18:19]
	v_cmp_ge_i32_e64 s[22:23], v62, v2
	s_waitcnt lgkmcnt(0)
	v_cmp_lt_i32_e64 s[24:25], v58, v57
	v_cmp_lt_i32_e64 s[20:21], v61, v3
	s_or_b64 s[22:23], s[22:23], s[24:25]
	s_and_b64 s[20:21], s[20:21], s[22:23]
	s_xor_b64 s[22:23], s[20:21], -1
                                        ; implicit-def: $vgpr59
	s_and_saveexec_b64 s[24:25], s[22:23]
	s_xor_b64 s[22:23], exec, s[24:25]
; %bb.27:                               ;   in Loop: Header=BB8_2 Depth=1
	v_lshlrev_b32_e32 v59, 2, v62
	ds_read_b32 v59, v59 offset:4
; %bb.28:                               ;   in Loop: Header=BB8_2 Depth=1
	s_or_saveexec_b64 s[22:23], s[22:23]
	v_mov_b32_e32 v60, v58
	s_xor_b64 exec, exec, s[22:23]
	s_cbranch_execz .LBB8_30
; %bb.29:                               ;   in Loop: Header=BB8_2 Depth=1
	s_waitcnt lgkmcnt(0)
	v_lshlrev_b32_e32 v59, 2, v61
	ds_read_b32 v60, v59 offset:4
	v_mov_b32_e32 v59, v57
.LBB8_30:                               ;   in Loop: Header=BB8_2 Depth=1
	s_or_b64 exec, exec, s[22:23]
	v_add_u32_e32 v64, 1, v62
	v_add_u32_e32 v63, 1, v61
	v_cndmask_b32_e64 v62, v64, v62, s[20:21]
	v_cndmask_b32_e64 v61, v61, v63, s[20:21]
	v_cmp_ge_i32_e64 s[24:25], v62, v2
	s_waitcnt lgkmcnt(0)
	v_cmp_lt_i32_e64 s[26:27], v60, v59
	v_cmp_lt_i32_e64 s[22:23], v61, v3
	s_or_b64 s[24:25], s[24:25], s[26:27]
	s_and_b64 s[22:23], s[22:23], s[24:25]
	s_xor_b64 s[24:25], s[22:23], -1
                                        ; implicit-def: $vgpr63
	s_and_saveexec_b64 s[26:27], s[24:25]
	s_xor_b64 s[24:25], exec, s[26:27]
; %bb.31:                               ;   in Loop: Header=BB8_2 Depth=1
	v_lshlrev_b32_e32 v63, 2, v62
	ds_read_b32 v63, v63 offset:4
; %bb.32:                               ;   in Loop: Header=BB8_2 Depth=1
	s_or_saveexec_b64 s[24:25], s[24:25]
	v_mov_b32_e32 v64, v60
	s_xor_b64 exec, exec, s[24:25]
	s_cbranch_execz .LBB8_34
; %bb.33:                               ;   in Loop: Header=BB8_2 Depth=1
	s_waitcnt lgkmcnt(0)
	v_lshlrev_b32_e32 v63, 2, v61
	ds_read_b32 v64, v63 offset:4
	v_mov_b32_e32 v63, v59
.LBB8_34:                               ;   in Loop: Header=BB8_2 Depth=1
	s_or_b64 exec, exec, s[24:25]
	v_cndmask_b32_e64 v59, v59, v60, s[22:23]
	v_add_u32_e32 v60, 1, v61
	v_add_u32_e32 v65, 1, v62
	v_cndmask_b32_e64 v60, v61, v60, s[22:23]
	v_cndmask_b32_e64 v61, v65, v62, s[22:23]
	;; [unrolled: 1-line block ×4, first 2 shown]
	v_cmp_ge_i32_e64 s[12:13], v61, v2
	s_waitcnt lgkmcnt(0)
	v_cmp_lt_i32_e64 s[14:15], v64, v63
	v_cndmask_b32_e64 v47, v47, v48, s[10:11]
	v_cmp_lt_i32_e64 s[10:11], v60, v3
	s_or_b64 s[12:13], s[12:13], s[14:15]
	s_and_b64 s[10:11], s[10:11], s[12:13]
	v_cndmask_b32_e64 v57, v57, v58, s[20:21]
	v_cndmask_b32_e64 v55, v55, v56, s[18:19]
	;; [unrolled: 1-line block ×4, first 2 shown]
	; wave barrier
	ds_write2_b32 v40, v47, v49 offset1:1
	ds_write2_b32 v40, v51, v53 offset0:2 offset1:3
	ds_write2_b32 v40, v55, v57 offset0:4 offset1:5
	;; [unrolled: 1-line block ×3, first 2 shown]
	v_mov_b32_e32 v49, v18
	s_waitcnt lgkmcnt(0)
	; wave barrier
	s_and_saveexec_b64 s[12:13], s[0:1]
	s_cbranch_execz .LBB8_38
; %bb.35:                               ;   in Loop: Header=BB8_2 Depth=1
	s_mov_b64 s[14:15], 0
	v_mov_b32_e32 v49, v18
	v_mov_b32_e32 v47, v19
.LBB8_36:                               ;   Parent Loop BB8_2 Depth=1
                                        ; =>  This Inner Loop Header: Depth=2
	v_sub_u32_e32 v48, v47, v49
	v_lshrrev_b32_e32 v48, 1, v48
	v_add_u32_e32 v48, v48, v49
	v_not_b32_e32 v51, v48
	v_lshl_add_u32 v50, v48, 2, v42
	v_lshl_add_u32 v51, v51, 2, v33
	ds_read_b32 v50, v50
	ds_read_b32 v51, v51
	v_add_u32_e32 v52, 1, v48
	s_waitcnt lgkmcnt(0)
	v_cmp_lt_i32_e64 s[10:11], v51, v50
	v_cndmask_b32_e64 v47, v47, v48, s[10:11]
	v_cndmask_b32_e64 v49, v52, v49, s[10:11]
	v_cmp_ge_i32_e64 s[10:11], v49, v47
	s_or_b64 s[14:15], s[10:11], s[14:15]
	s_andn2_b64 exec, exec, s[14:15]
	s_cbranch_execnz .LBB8_36
; %bb.37:                               ;   in Loop: Header=BB8_2 Depth=1
	s_or_b64 exec, exec, s[14:15]
.LBB8_38:                               ;   in Loop: Header=BB8_2 Depth=1
	s_or_b64 exec, exec, s[12:13]
	v_sub_u32_e32 v51, v32, v49
	v_lshl_add_u32 v50, v49, 2, v42
	v_lshlrev_b32_e32 v53, 2, v51
	ds_read_b32 v47, v50
	ds_read_b32 v48, v53
	v_add_u32_e32 v52, v49, v4
	v_cmp_le_i32_e64 s[12:13], v5, v52
	v_cmp_gt_i32_e64 s[10:11], v6, v51
                                        ; implicit-def: $vgpr49
	s_waitcnt lgkmcnt(0)
	v_cmp_lt_i32_e64 s[14:15], v48, v47
	s_or_b64 s[12:13], s[12:13], s[14:15]
	s_and_b64 s[10:11], s[10:11], s[12:13]
	s_xor_b64 s[12:13], s[10:11], -1
	s_and_saveexec_b64 s[14:15], s[12:13]
	s_xor_b64 s[12:13], exec, s[14:15]
; %bb.39:                               ;   in Loop: Header=BB8_2 Depth=1
	ds_read_b32 v49, v50 offset:4
                                        ; implicit-def: $vgpr53
; %bb.40:                               ;   in Loop: Header=BB8_2 Depth=1
	s_or_saveexec_b64 s[12:13], s[12:13]
	v_mov_b32_e32 v50, v48
	s_xor_b64 exec, exec, s[12:13]
	s_cbranch_execz .LBB8_42
; %bb.41:                               ;   in Loop: Header=BB8_2 Depth=1
	ds_read_b32 v50, v53 offset:4
	s_waitcnt lgkmcnt(1)
	v_mov_b32_e32 v49, v47
.LBB8_42:                               ;   in Loop: Header=BB8_2 Depth=1
	s_or_b64 exec, exec, s[12:13]
	v_add_u32_e32 v54, 1, v52
	v_add_u32_e32 v53, 1, v51
	v_cndmask_b32_e64 v54, v54, v52, s[10:11]
	v_cndmask_b32_e64 v53, v51, v53, s[10:11]
	v_cmp_ge_i32_e64 s[14:15], v54, v5
	s_waitcnt lgkmcnt(0)
	v_cmp_lt_i32_e64 s[16:17], v50, v49
	v_cmp_lt_i32_e64 s[12:13], v53, v6
	s_or_b64 s[14:15], s[14:15], s[16:17]
	s_and_b64 s[12:13], s[12:13], s[14:15]
	s_xor_b64 s[14:15], s[12:13], -1
                                        ; implicit-def: $vgpr51
	s_and_saveexec_b64 s[16:17], s[14:15]
	s_xor_b64 s[14:15], exec, s[16:17]
; %bb.43:                               ;   in Loop: Header=BB8_2 Depth=1
	v_lshlrev_b32_e32 v51, 2, v54
	ds_read_b32 v51, v51 offset:4
; %bb.44:                               ;   in Loop: Header=BB8_2 Depth=1
	s_or_saveexec_b64 s[14:15], s[14:15]
	v_mov_b32_e32 v52, v50
	s_xor_b64 exec, exec, s[14:15]
	s_cbranch_execz .LBB8_46
; %bb.45:                               ;   in Loop: Header=BB8_2 Depth=1
	s_waitcnt lgkmcnt(0)
	v_lshlrev_b32_e32 v51, 2, v53
	ds_read_b32 v52, v51 offset:4
	v_mov_b32_e32 v51, v49
.LBB8_46:                               ;   in Loop: Header=BB8_2 Depth=1
	s_or_b64 exec, exec, s[14:15]
	v_add_u32_e32 v56, 1, v54
	v_add_u32_e32 v55, 1, v53
	v_cndmask_b32_e64 v56, v56, v54, s[12:13]
	v_cndmask_b32_e64 v55, v53, v55, s[12:13]
	v_cmp_ge_i32_e64 s[16:17], v56, v5
	s_waitcnt lgkmcnt(0)
	v_cmp_lt_i32_e64 s[18:19], v52, v51
	v_cmp_lt_i32_e64 s[14:15], v55, v6
	s_or_b64 s[16:17], s[16:17], s[18:19]
	s_and_b64 s[14:15], s[14:15], s[16:17]
	s_xor_b64 s[16:17], s[14:15], -1
                                        ; implicit-def: $vgpr53
	s_and_saveexec_b64 s[18:19], s[16:17]
	s_xor_b64 s[16:17], exec, s[18:19]
; %bb.47:                               ;   in Loop: Header=BB8_2 Depth=1
	v_lshlrev_b32_e32 v53, 2, v56
	ds_read_b32 v53, v53 offset:4
; %bb.48:                               ;   in Loop: Header=BB8_2 Depth=1
	s_or_saveexec_b64 s[16:17], s[16:17]
	v_mov_b32_e32 v54, v52
	s_xor_b64 exec, exec, s[16:17]
	s_cbranch_execz .LBB8_50
; %bb.49:                               ;   in Loop: Header=BB8_2 Depth=1
	s_waitcnt lgkmcnt(0)
	v_lshlrev_b32_e32 v53, 2, v55
	ds_read_b32 v54, v53 offset:4
	v_mov_b32_e32 v53, v51
.LBB8_50:                               ;   in Loop: Header=BB8_2 Depth=1
	s_or_b64 exec, exec, s[16:17]
	v_add_u32_e32 v58, 1, v56
	v_add_u32_e32 v57, 1, v55
	v_cndmask_b32_e64 v58, v58, v56, s[14:15]
	v_cndmask_b32_e64 v57, v55, v57, s[14:15]
	v_cmp_ge_i32_e64 s[18:19], v58, v5
	s_waitcnt lgkmcnt(0)
	v_cmp_lt_i32_e64 s[20:21], v54, v53
	v_cmp_lt_i32_e64 s[16:17], v57, v6
	s_or_b64 s[18:19], s[18:19], s[20:21]
	s_and_b64 s[16:17], s[16:17], s[18:19]
	s_xor_b64 s[18:19], s[16:17], -1
                                        ; implicit-def: $vgpr55
	s_and_saveexec_b64 s[20:21], s[18:19]
	s_xor_b64 s[18:19], exec, s[20:21]
; %bb.51:                               ;   in Loop: Header=BB8_2 Depth=1
	v_lshlrev_b32_e32 v55, 2, v58
	ds_read_b32 v55, v55 offset:4
; %bb.52:                               ;   in Loop: Header=BB8_2 Depth=1
	s_or_saveexec_b64 s[18:19], s[18:19]
	v_mov_b32_e32 v56, v54
	s_xor_b64 exec, exec, s[18:19]
	s_cbranch_execz .LBB8_54
; %bb.53:                               ;   in Loop: Header=BB8_2 Depth=1
	s_waitcnt lgkmcnt(0)
	v_lshlrev_b32_e32 v55, 2, v57
	ds_read_b32 v56, v55 offset:4
	v_mov_b32_e32 v55, v53
.LBB8_54:                               ;   in Loop: Header=BB8_2 Depth=1
	s_or_b64 exec, exec, s[18:19]
	v_add_u32_e32 v60, 1, v58
	v_add_u32_e32 v59, 1, v57
	v_cndmask_b32_e64 v60, v60, v58, s[16:17]
	v_cndmask_b32_e64 v59, v57, v59, s[16:17]
	v_cmp_ge_i32_e64 s[20:21], v60, v5
	s_waitcnt lgkmcnt(0)
	v_cmp_lt_i32_e64 s[22:23], v56, v55
	v_cmp_lt_i32_e64 s[18:19], v59, v6
	s_or_b64 s[20:21], s[20:21], s[22:23]
	s_and_b64 s[18:19], s[18:19], s[20:21]
	s_xor_b64 s[20:21], s[18:19], -1
                                        ; implicit-def: $vgpr57
	s_and_saveexec_b64 s[22:23], s[20:21]
	s_xor_b64 s[20:21], exec, s[22:23]
; %bb.55:                               ;   in Loop: Header=BB8_2 Depth=1
	v_lshlrev_b32_e32 v57, 2, v60
	ds_read_b32 v57, v57 offset:4
; %bb.56:                               ;   in Loop: Header=BB8_2 Depth=1
	s_or_saveexec_b64 s[20:21], s[20:21]
	v_mov_b32_e32 v58, v56
	s_xor_b64 exec, exec, s[20:21]
	s_cbranch_execz .LBB8_58
; %bb.57:                               ;   in Loop: Header=BB8_2 Depth=1
	s_waitcnt lgkmcnt(0)
	v_lshlrev_b32_e32 v57, 2, v59
	ds_read_b32 v58, v57 offset:4
	v_mov_b32_e32 v57, v55
.LBB8_58:                               ;   in Loop: Header=BB8_2 Depth=1
	s_or_b64 exec, exec, s[20:21]
	v_add_u32_e32 v62, 1, v60
	v_add_u32_e32 v61, 1, v59
	v_cndmask_b32_e64 v62, v62, v60, s[18:19]
	v_cndmask_b32_e64 v61, v59, v61, s[18:19]
	v_cmp_ge_i32_e64 s[22:23], v62, v5
	s_waitcnt lgkmcnt(0)
	v_cmp_lt_i32_e64 s[24:25], v58, v57
	v_cmp_lt_i32_e64 s[20:21], v61, v6
	s_or_b64 s[22:23], s[22:23], s[24:25]
	s_and_b64 s[20:21], s[20:21], s[22:23]
	s_xor_b64 s[22:23], s[20:21], -1
                                        ; implicit-def: $vgpr59
	s_and_saveexec_b64 s[24:25], s[22:23]
	s_xor_b64 s[22:23], exec, s[24:25]
; %bb.59:                               ;   in Loop: Header=BB8_2 Depth=1
	v_lshlrev_b32_e32 v59, 2, v62
	ds_read_b32 v59, v59 offset:4
; %bb.60:                               ;   in Loop: Header=BB8_2 Depth=1
	s_or_saveexec_b64 s[22:23], s[22:23]
	v_mov_b32_e32 v60, v58
	s_xor_b64 exec, exec, s[22:23]
	s_cbranch_execz .LBB8_62
; %bb.61:                               ;   in Loop: Header=BB8_2 Depth=1
	s_waitcnt lgkmcnt(0)
	v_lshlrev_b32_e32 v59, 2, v61
	ds_read_b32 v60, v59 offset:4
	v_mov_b32_e32 v59, v57
.LBB8_62:                               ;   in Loop: Header=BB8_2 Depth=1
	s_or_b64 exec, exec, s[22:23]
	v_add_u32_e32 v64, 1, v62
	v_add_u32_e32 v63, 1, v61
	v_cndmask_b32_e64 v62, v64, v62, s[20:21]
	v_cndmask_b32_e64 v61, v61, v63, s[20:21]
	v_cmp_ge_i32_e64 s[24:25], v62, v5
	s_waitcnt lgkmcnt(0)
	v_cmp_lt_i32_e64 s[26:27], v60, v59
	v_cmp_lt_i32_e64 s[22:23], v61, v6
	s_or_b64 s[24:25], s[24:25], s[26:27]
	s_and_b64 s[22:23], s[22:23], s[24:25]
	s_xor_b64 s[24:25], s[22:23], -1
                                        ; implicit-def: $vgpr63
	s_and_saveexec_b64 s[26:27], s[24:25]
	s_xor_b64 s[24:25], exec, s[26:27]
; %bb.63:                               ;   in Loop: Header=BB8_2 Depth=1
	v_lshlrev_b32_e32 v63, 2, v62
	ds_read_b32 v63, v63 offset:4
; %bb.64:                               ;   in Loop: Header=BB8_2 Depth=1
	s_or_saveexec_b64 s[24:25], s[24:25]
	v_mov_b32_e32 v64, v60
	s_xor_b64 exec, exec, s[24:25]
	s_cbranch_execz .LBB8_66
; %bb.65:                               ;   in Loop: Header=BB8_2 Depth=1
	s_waitcnt lgkmcnt(0)
	v_lshlrev_b32_e32 v63, 2, v61
	ds_read_b32 v64, v63 offset:4
	v_mov_b32_e32 v63, v59
.LBB8_66:                               ;   in Loop: Header=BB8_2 Depth=1
	s_or_b64 exec, exec, s[24:25]
	v_cndmask_b32_e64 v59, v59, v60, s[22:23]
	v_add_u32_e32 v60, 1, v61
	v_add_u32_e32 v65, 1, v62
	v_cndmask_b32_e64 v60, v61, v60, s[22:23]
	v_cndmask_b32_e64 v61, v65, v62, s[22:23]
	;; [unrolled: 1-line block ×4, first 2 shown]
	v_cmp_ge_i32_e64 s[12:13], v61, v5
	s_waitcnt lgkmcnt(0)
	v_cmp_lt_i32_e64 s[14:15], v64, v63
	v_cndmask_b32_e64 v47, v47, v48, s[10:11]
	v_cmp_lt_i32_e64 s[10:11], v60, v6
	s_or_b64 s[12:13], s[12:13], s[14:15]
	s_and_b64 s[10:11], s[10:11], s[12:13]
	v_cndmask_b32_e64 v57, v57, v58, s[20:21]
	v_cndmask_b32_e64 v55, v55, v56, s[18:19]
	;; [unrolled: 1-line block ×4, first 2 shown]
	; wave barrier
	ds_write2_b32 v40, v47, v49 offset1:1
	ds_write2_b32 v40, v51, v53 offset0:2 offset1:3
	ds_write2_b32 v40, v55, v57 offset0:4 offset1:5
	;; [unrolled: 1-line block ×3, first 2 shown]
	v_mov_b32_e32 v49, v20
	s_waitcnt lgkmcnt(0)
	; wave barrier
	s_and_saveexec_b64 s[12:13], s[2:3]
	s_cbranch_execz .LBB8_70
; %bb.67:                               ;   in Loop: Header=BB8_2 Depth=1
	s_mov_b64 s[14:15], 0
	v_mov_b32_e32 v49, v20
	v_mov_b32_e32 v47, v21
.LBB8_68:                               ;   Parent Loop BB8_2 Depth=1
                                        ; =>  This Inner Loop Header: Depth=2
	v_sub_u32_e32 v48, v47, v49
	v_lshrrev_b32_e32 v48, 1, v48
	v_add_u32_e32 v48, v48, v49
	v_not_b32_e32 v51, v48
	v_lshl_add_u32 v50, v48, 2, v43
	v_lshl_add_u32 v51, v51, 2, v35
	ds_read_b32 v50, v50
	ds_read_b32 v51, v51
	v_add_u32_e32 v52, 1, v48
	s_waitcnt lgkmcnt(0)
	v_cmp_lt_i32_e64 s[10:11], v51, v50
	v_cndmask_b32_e64 v47, v47, v48, s[10:11]
	v_cndmask_b32_e64 v49, v52, v49, s[10:11]
	v_cmp_ge_i32_e64 s[10:11], v49, v47
	s_or_b64 s[14:15], s[10:11], s[14:15]
	s_andn2_b64 exec, exec, s[14:15]
	s_cbranch_execnz .LBB8_68
; %bb.69:                               ;   in Loop: Header=BB8_2 Depth=1
	s_or_b64 exec, exec, s[14:15]
.LBB8_70:                               ;   in Loop: Header=BB8_2 Depth=1
	s_or_b64 exec, exec, s[12:13]
	v_sub_u32_e32 v51, v34, v49
	v_lshl_add_u32 v50, v49, 2, v43
	v_lshlrev_b32_e32 v53, 2, v51
	ds_read_b32 v47, v50
	ds_read_b32 v48, v53
	v_add_u32_e32 v52, v49, v7
	v_cmp_le_i32_e64 s[12:13], v8, v52
	v_cmp_gt_i32_e64 s[10:11], v9, v51
                                        ; implicit-def: $vgpr49
	s_waitcnt lgkmcnt(0)
	v_cmp_lt_i32_e64 s[14:15], v48, v47
	s_or_b64 s[12:13], s[12:13], s[14:15]
	s_and_b64 s[10:11], s[10:11], s[12:13]
	s_xor_b64 s[12:13], s[10:11], -1
	s_and_saveexec_b64 s[14:15], s[12:13]
	s_xor_b64 s[12:13], exec, s[14:15]
; %bb.71:                               ;   in Loop: Header=BB8_2 Depth=1
	ds_read_b32 v49, v50 offset:4
                                        ; implicit-def: $vgpr53
; %bb.72:                               ;   in Loop: Header=BB8_2 Depth=1
	s_or_saveexec_b64 s[12:13], s[12:13]
	v_mov_b32_e32 v50, v48
	s_xor_b64 exec, exec, s[12:13]
	s_cbranch_execz .LBB8_74
; %bb.73:                               ;   in Loop: Header=BB8_2 Depth=1
	ds_read_b32 v50, v53 offset:4
	s_waitcnt lgkmcnt(1)
	v_mov_b32_e32 v49, v47
.LBB8_74:                               ;   in Loop: Header=BB8_2 Depth=1
	s_or_b64 exec, exec, s[12:13]
	v_add_u32_e32 v54, 1, v52
	v_add_u32_e32 v53, 1, v51
	v_cndmask_b32_e64 v54, v54, v52, s[10:11]
	v_cndmask_b32_e64 v53, v51, v53, s[10:11]
	v_cmp_ge_i32_e64 s[14:15], v54, v8
	s_waitcnt lgkmcnt(0)
	v_cmp_lt_i32_e64 s[16:17], v50, v49
	v_cmp_lt_i32_e64 s[12:13], v53, v9
	s_or_b64 s[14:15], s[14:15], s[16:17]
	s_and_b64 s[12:13], s[12:13], s[14:15]
	s_xor_b64 s[14:15], s[12:13], -1
                                        ; implicit-def: $vgpr51
	s_and_saveexec_b64 s[16:17], s[14:15]
	s_xor_b64 s[14:15], exec, s[16:17]
; %bb.75:                               ;   in Loop: Header=BB8_2 Depth=1
	v_lshlrev_b32_e32 v51, 2, v54
	ds_read_b32 v51, v51 offset:4
; %bb.76:                               ;   in Loop: Header=BB8_2 Depth=1
	s_or_saveexec_b64 s[14:15], s[14:15]
	v_mov_b32_e32 v52, v50
	s_xor_b64 exec, exec, s[14:15]
	s_cbranch_execz .LBB8_78
; %bb.77:                               ;   in Loop: Header=BB8_2 Depth=1
	s_waitcnt lgkmcnt(0)
	v_lshlrev_b32_e32 v51, 2, v53
	ds_read_b32 v52, v51 offset:4
	v_mov_b32_e32 v51, v49
.LBB8_78:                               ;   in Loop: Header=BB8_2 Depth=1
	s_or_b64 exec, exec, s[14:15]
	v_add_u32_e32 v56, 1, v54
	v_add_u32_e32 v55, 1, v53
	v_cndmask_b32_e64 v56, v56, v54, s[12:13]
	v_cndmask_b32_e64 v55, v53, v55, s[12:13]
	v_cmp_ge_i32_e64 s[16:17], v56, v8
	s_waitcnt lgkmcnt(0)
	v_cmp_lt_i32_e64 s[18:19], v52, v51
	v_cmp_lt_i32_e64 s[14:15], v55, v9
	s_or_b64 s[16:17], s[16:17], s[18:19]
	s_and_b64 s[14:15], s[14:15], s[16:17]
	s_xor_b64 s[16:17], s[14:15], -1
                                        ; implicit-def: $vgpr53
	s_and_saveexec_b64 s[18:19], s[16:17]
	s_xor_b64 s[16:17], exec, s[18:19]
; %bb.79:                               ;   in Loop: Header=BB8_2 Depth=1
	v_lshlrev_b32_e32 v53, 2, v56
	ds_read_b32 v53, v53 offset:4
; %bb.80:                               ;   in Loop: Header=BB8_2 Depth=1
	s_or_saveexec_b64 s[16:17], s[16:17]
	v_mov_b32_e32 v54, v52
	s_xor_b64 exec, exec, s[16:17]
	s_cbranch_execz .LBB8_82
; %bb.81:                               ;   in Loop: Header=BB8_2 Depth=1
	s_waitcnt lgkmcnt(0)
	v_lshlrev_b32_e32 v53, 2, v55
	ds_read_b32 v54, v53 offset:4
	v_mov_b32_e32 v53, v51
.LBB8_82:                               ;   in Loop: Header=BB8_2 Depth=1
	s_or_b64 exec, exec, s[16:17]
	v_add_u32_e32 v58, 1, v56
	v_add_u32_e32 v57, 1, v55
	v_cndmask_b32_e64 v58, v58, v56, s[14:15]
	v_cndmask_b32_e64 v57, v55, v57, s[14:15]
	v_cmp_ge_i32_e64 s[18:19], v58, v8
	s_waitcnt lgkmcnt(0)
	v_cmp_lt_i32_e64 s[20:21], v54, v53
	v_cmp_lt_i32_e64 s[16:17], v57, v9
	s_or_b64 s[18:19], s[18:19], s[20:21]
	s_and_b64 s[16:17], s[16:17], s[18:19]
	s_xor_b64 s[18:19], s[16:17], -1
                                        ; implicit-def: $vgpr55
	s_and_saveexec_b64 s[20:21], s[18:19]
	s_xor_b64 s[18:19], exec, s[20:21]
; %bb.83:                               ;   in Loop: Header=BB8_2 Depth=1
	v_lshlrev_b32_e32 v55, 2, v58
	ds_read_b32 v55, v55 offset:4
; %bb.84:                               ;   in Loop: Header=BB8_2 Depth=1
	s_or_saveexec_b64 s[18:19], s[18:19]
	v_mov_b32_e32 v56, v54
	s_xor_b64 exec, exec, s[18:19]
	s_cbranch_execz .LBB8_86
; %bb.85:                               ;   in Loop: Header=BB8_2 Depth=1
	s_waitcnt lgkmcnt(0)
	v_lshlrev_b32_e32 v55, 2, v57
	ds_read_b32 v56, v55 offset:4
	v_mov_b32_e32 v55, v53
.LBB8_86:                               ;   in Loop: Header=BB8_2 Depth=1
	s_or_b64 exec, exec, s[18:19]
	v_add_u32_e32 v60, 1, v58
	v_add_u32_e32 v59, 1, v57
	v_cndmask_b32_e64 v60, v60, v58, s[16:17]
	v_cndmask_b32_e64 v59, v57, v59, s[16:17]
	v_cmp_ge_i32_e64 s[20:21], v60, v8
	s_waitcnt lgkmcnt(0)
	v_cmp_lt_i32_e64 s[22:23], v56, v55
	v_cmp_lt_i32_e64 s[18:19], v59, v9
	s_or_b64 s[20:21], s[20:21], s[22:23]
	s_and_b64 s[18:19], s[18:19], s[20:21]
	s_xor_b64 s[20:21], s[18:19], -1
                                        ; implicit-def: $vgpr57
	s_and_saveexec_b64 s[22:23], s[20:21]
	s_xor_b64 s[20:21], exec, s[22:23]
; %bb.87:                               ;   in Loop: Header=BB8_2 Depth=1
	v_lshlrev_b32_e32 v57, 2, v60
	ds_read_b32 v57, v57 offset:4
; %bb.88:                               ;   in Loop: Header=BB8_2 Depth=1
	s_or_saveexec_b64 s[20:21], s[20:21]
	v_mov_b32_e32 v58, v56
	s_xor_b64 exec, exec, s[20:21]
	s_cbranch_execz .LBB8_90
; %bb.89:                               ;   in Loop: Header=BB8_2 Depth=1
	s_waitcnt lgkmcnt(0)
	v_lshlrev_b32_e32 v57, 2, v59
	ds_read_b32 v58, v57 offset:4
	v_mov_b32_e32 v57, v55
.LBB8_90:                               ;   in Loop: Header=BB8_2 Depth=1
	s_or_b64 exec, exec, s[20:21]
	v_add_u32_e32 v62, 1, v60
	v_add_u32_e32 v61, 1, v59
	v_cndmask_b32_e64 v62, v62, v60, s[18:19]
	v_cndmask_b32_e64 v61, v59, v61, s[18:19]
	v_cmp_ge_i32_e64 s[22:23], v62, v8
	s_waitcnt lgkmcnt(0)
	v_cmp_lt_i32_e64 s[24:25], v58, v57
	v_cmp_lt_i32_e64 s[20:21], v61, v9
	s_or_b64 s[22:23], s[22:23], s[24:25]
	s_and_b64 s[20:21], s[20:21], s[22:23]
	s_xor_b64 s[22:23], s[20:21], -1
                                        ; implicit-def: $vgpr59
	s_and_saveexec_b64 s[24:25], s[22:23]
	s_xor_b64 s[22:23], exec, s[24:25]
; %bb.91:                               ;   in Loop: Header=BB8_2 Depth=1
	v_lshlrev_b32_e32 v59, 2, v62
	ds_read_b32 v59, v59 offset:4
; %bb.92:                               ;   in Loop: Header=BB8_2 Depth=1
	s_or_saveexec_b64 s[22:23], s[22:23]
	v_mov_b32_e32 v60, v58
	s_xor_b64 exec, exec, s[22:23]
	s_cbranch_execz .LBB8_94
; %bb.93:                               ;   in Loop: Header=BB8_2 Depth=1
	s_waitcnt lgkmcnt(0)
	v_lshlrev_b32_e32 v59, 2, v61
	ds_read_b32 v60, v59 offset:4
	v_mov_b32_e32 v59, v57
.LBB8_94:                               ;   in Loop: Header=BB8_2 Depth=1
	s_or_b64 exec, exec, s[22:23]
	v_add_u32_e32 v64, 1, v62
	v_add_u32_e32 v63, 1, v61
	v_cndmask_b32_e64 v62, v64, v62, s[20:21]
	v_cndmask_b32_e64 v61, v61, v63, s[20:21]
	v_cmp_ge_i32_e64 s[24:25], v62, v8
	s_waitcnt lgkmcnt(0)
	v_cmp_lt_i32_e64 s[26:27], v60, v59
	v_cmp_lt_i32_e64 s[22:23], v61, v9
	s_or_b64 s[24:25], s[24:25], s[26:27]
	s_and_b64 s[22:23], s[22:23], s[24:25]
	s_xor_b64 s[24:25], s[22:23], -1
                                        ; implicit-def: $vgpr63
	s_and_saveexec_b64 s[26:27], s[24:25]
	s_xor_b64 s[24:25], exec, s[26:27]
; %bb.95:                               ;   in Loop: Header=BB8_2 Depth=1
	v_lshlrev_b32_e32 v63, 2, v62
	ds_read_b32 v63, v63 offset:4
; %bb.96:                               ;   in Loop: Header=BB8_2 Depth=1
	s_or_saveexec_b64 s[24:25], s[24:25]
	v_mov_b32_e32 v64, v60
	s_xor_b64 exec, exec, s[24:25]
	s_cbranch_execz .LBB8_98
; %bb.97:                               ;   in Loop: Header=BB8_2 Depth=1
	s_waitcnt lgkmcnt(0)
	v_lshlrev_b32_e32 v63, 2, v61
	ds_read_b32 v64, v63 offset:4
	v_mov_b32_e32 v63, v59
.LBB8_98:                               ;   in Loop: Header=BB8_2 Depth=1
	s_or_b64 exec, exec, s[24:25]
	v_cndmask_b32_e64 v59, v59, v60, s[22:23]
	v_add_u32_e32 v60, 1, v61
	v_add_u32_e32 v65, 1, v62
	v_cndmask_b32_e64 v60, v61, v60, s[22:23]
	v_cndmask_b32_e64 v61, v65, v62, s[22:23]
	;; [unrolled: 1-line block ×4, first 2 shown]
	v_cmp_ge_i32_e64 s[12:13], v61, v8
	s_waitcnt lgkmcnt(0)
	v_cmp_lt_i32_e64 s[14:15], v64, v63
	v_cndmask_b32_e64 v47, v47, v48, s[10:11]
	v_cmp_lt_i32_e64 s[10:11], v60, v9
	s_or_b64 s[12:13], s[12:13], s[14:15]
	s_and_b64 s[10:11], s[10:11], s[12:13]
	v_cndmask_b32_e64 v57, v57, v58, s[20:21]
	v_cndmask_b32_e64 v55, v55, v56, s[18:19]
	;; [unrolled: 1-line block ×4, first 2 shown]
	; wave barrier
	ds_write2_b32 v40, v47, v49 offset1:1
	ds_write2_b32 v40, v51, v53 offset0:2 offset1:3
	ds_write2_b32 v40, v55, v57 offset0:4 offset1:5
	;; [unrolled: 1-line block ×3, first 2 shown]
	v_mov_b32_e32 v49, v22
	s_waitcnt lgkmcnt(0)
	; wave barrier
	s_and_saveexec_b64 s[12:13], s[4:5]
	s_cbranch_execz .LBB8_102
; %bb.99:                               ;   in Loop: Header=BB8_2 Depth=1
	s_mov_b64 s[14:15], 0
	v_mov_b32_e32 v49, v22
	v_mov_b32_e32 v47, v23
.LBB8_100:                              ;   Parent Loop BB8_2 Depth=1
                                        ; =>  This Inner Loop Header: Depth=2
	v_sub_u32_e32 v48, v47, v49
	v_lshrrev_b32_e32 v48, 1, v48
	v_add_u32_e32 v48, v48, v49
	v_not_b32_e32 v51, v48
	v_lshl_add_u32 v50, v48, 2, v44
	v_lshl_add_u32 v51, v51, 2, v37
	ds_read_b32 v50, v50
	ds_read_b32 v51, v51
	v_add_u32_e32 v52, 1, v48
	s_waitcnt lgkmcnt(0)
	v_cmp_lt_i32_e64 s[10:11], v51, v50
	v_cndmask_b32_e64 v47, v47, v48, s[10:11]
	v_cndmask_b32_e64 v49, v52, v49, s[10:11]
	v_cmp_ge_i32_e64 s[10:11], v49, v47
	s_or_b64 s[14:15], s[10:11], s[14:15]
	s_andn2_b64 exec, exec, s[14:15]
	s_cbranch_execnz .LBB8_100
; %bb.101:                              ;   in Loop: Header=BB8_2 Depth=1
	s_or_b64 exec, exec, s[14:15]
.LBB8_102:                              ;   in Loop: Header=BB8_2 Depth=1
	s_or_b64 exec, exec, s[12:13]
	v_sub_u32_e32 v51, v36, v49
	v_lshl_add_u32 v50, v49, 2, v44
	v_lshlrev_b32_e32 v53, 2, v51
	ds_read_b32 v47, v50
	ds_read_b32 v48, v53
	v_add_u32_e32 v52, v49, v10
	v_cmp_le_i32_e64 s[12:13], v11, v52
	v_cmp_gt_i32_e64 s[10:11], v12, v51
                                        ; implicit-def: $vgpr49
	s_waitcnt lgkmcnt(0)
	v_cmp_lt_i32_e64 s[14:15], v48, v47
	s_or_b64 s[12:13], s[12:13], s[14:15]
	s_and_b64 s[10:11], s[10:11], s[12:13]
	s_xor_b64 s[12:13], s[10:11], -1
	s_and_saveexec_b64 s[14:15], s[12:13]
	s_xor_b64 s[12:13], exec, s[14:15]
; %bb.103:                              ;   in Loop: Header=BB8_2 Depth=1
	ds_read_b32 v49, v50 offset:4
                                        ; implicit-def: $vgpr53
; %bb.104:                              ;   in Loop: Header=BB8_2 Depth=1
	s_or_saveexec_b64 s[12:13], s[12:13]
	v_mov_b32_e32 v50, v48
	s_xor_b64 exec, exec, s[12:13]
	s_cbranch_execz .LBB8_106
; %bb.105:                              ;   in Loop: Header=BB8_2 Depth=1
	ds_read_b32 v50, v53 offset:4
	s_waitcnt lgkmcnt(1)
	v_mov_b32_e32 v49, v47
.LBB8_106:                              ;   in Loop: Header=BB8_2 Depth=1
	s_or_b64 exec, exec, s[12:13]
	v_add_u32_e32 v54, 1, v52
	v_add_u32_e32 v53, 1, v51
	v_cndmask_b32_e64 v54, v54, v52, s[10:11]
	v_cndmask_b32_e64 v53, v51, v53, s[10:11]
	v_cmp_ge_i32_e64 s[14:15], v54, v11
	s_waitcnt lgkmcnt(0)
	v_cmp_lt_i32_e64 s[16:17], v50, v49
	v_cmp_lt_i32_e64 s[12:13], v53, v12
	s_or_b64 s[14:15], s[14:15], s[16:17]
	s_and_b64 s[12:13], s[12:13], s[14:15]
	s_xor_b64 s[14:15], s[12:13], -1
                                        ; implicit-def: $vgpr51
	s_and_saveexec_b64 s[16:17], s[14:15]
	s_xor_b64 s[14:15], exec, s[16:17]
; %bb.107:                              ;   in Loop: Header=BB8_2 Depth=1
	v_lshlrev_b32_e32 v51, 2, v54
	ds_read_b32 v51, v51 offset:4
; %bb.108:                              ;   in Loop: Header=BB8_2 Depth=1
	s_or_saveexec_b64 s[14:15], s[14:15]
	v_mov_b32_e32 v52, v50
	s_xor_b64 exec, exec, s[14:15]
	s_cbranch_execz .LBB8_110
; %bb.109:                              ;   in Loop: Header=BB8_2 Depth=1
	s_waitcnt lgkmcnt(0)
	v_lshlrev_b32_e32 v51, 2, v53
	ds_read_b32 v52, v51 offset:4
	v_mov_b32_e32 v51, v49
.LBB8_110:                              ;   in Loop: Header=BB8_2 Depth=1
	s_or_b64 exec, exec, s[14:15]
	v_add_u32_e32 v56, 1, v54
	v_add_u32_e32 v55, 1, v53
	v_cndmask_b32_e64 v56, v56, v54, s[12:13]
	v_cndmask_b32_e64 v55, v53, v55, s[12:13]
	v_cmp_ge_i32_e64 s[16:17], v56, v11
	s_waitcnt lgkmcnt(0)
	v_cmp_lt_i32_e64 s[18:19], v52, v51
	v_cmp_lt_i32_e64 s[14:15], v55, v12
	s_or_b64 s[16:17], s[16:17], s[18:19]
	s_and_b64 s[14:15], s[14:15], s[16:17]
	s_xor_b64 s[16:17], s[14:15], -1
                                        ; implicit-def: $vgpr53
	s_and_saveexec_b64 s[18:19], s[16:17]
	s_xor_b64 s[16:17], exec, s[18:19]
; %bb.111:                              ;   in Loop: Header=BB8_2 Depth=1
	v_lshlrev_b32_e32 v53, 2, v56
	ds_read_b32 v53, v53 offset:4
; %bb.112:                              ;   in Loop: Header=BB8_2 Depth=1
	s_or_saveexec_b64 s[16:17], s[16:17]
	v_mov_b32_e32 v54, v52
	s_xor_b64 exec, exec, s[16:17]
	s_cbranch_execz .LBB8_114
; %bb.113:                              ;   in Loop: Header=BB8_2 Depth=1
	s_waitcnt lgkmcnt(0)
	v_lshlrev_b32_e32 v53, 2, v55
	ds_read_b32 v54, v53 offset:4
	v_mov_b32_e32 v53, v51
.LBB8_114:                              ;   in Loop: Header=BB8_2 Depth=1
	s_or_b64 exec, exec, s[16:17]
	v_add_u32_e32 v58, 1, v56
	v_add_u32_e32 v57, 1, v55
	v_cndmask_b32_e64 v58, v58, v56, s[14:15]
	v_cndmask_b32_e64 v57, v55, v57, s[14:15]
	v_cmp_ge_i32_e64 s[18:19], v58, v11
	s_waitcnt lgkmcnt(0)
	v_cmp_lt_i32_e64 s[20:21], v54, v53
	v_cmp_lt_i32_e64 s[16:17], v57, v12
	s_or_b64 s[18:19], s[18:19], s[20:21]
	s_and_b64 s[16:17], s[16:17], s[18:19]
	s_xor_b64 s[18:19], s[16:17], -1
                                        ; implicit-def: $vgpr55
	s_and_saveexec_b64 s[20:21], s[18:19]
	s_xor_b64 s[18:19], exec, s[20:21]
; %bb.115:                              ;   in Loop: Header=BB8_2 Depth=1
	v_lshlrev_b32_e32 v55, 2, v58
	ds_read_b32 v55, v55 offset:4
; %bb.116:                              ;   in Loop: Header=BB8_2 Depth=1
	s_or_saveexec_b64 s[18:19], s[18:19]
	v_mov_b32_e32 v56, v54
	s_xor_b64 exec, exec, s[18:19]
	s_cbranch_execz .LBB8_118
; %bb.117:                              ;   in Loop: Header=BB8_2 Depth=1
	s_waitcnt lgkmcnt(0)
	v_lshlrev_b32_e32 v55, 2, v57
	ds_read_b32 v56, v55 offset:4
	v_mov_b32_e32 v55, v53
.LBB8_118:                              ;   in Loop: Header=BB8_2 Depth=1
	s_or_b64 exec, exec, s[18:19]
	v_add_u32_e32 v60, 1, v58
	v_add_u32_e32 v59, 1, v57
	v_cndmask_b32_e64 v60, v60, v58, s[16:17]
	v_cndmask_b32_e64 v59, v57, v59, s[16:17]
	v_cmp_ge_i32_e64 s[20:21], v60, v11
	s_waitcnt lgkmcnt(0)
	v_cmp_lt_i32_e64 s[22:23], v56, v55
	v_cmp_lt_i32_e64 s[18:19], v59, v12
	s_or_b64 s[20:21], s[20:21], s[22:23]
	s_and_b64 s[18:19], s[18:19], s[20:21]
	s_xor_b64 s[20:21], s[18:19], -1
                                        ; implicit-def: $vgpr57
	s_and_saveexec_b64 s[22:23], s[20:21]
	s_xor_b64 s[20:21], exec, s[22:23]
; %bb.119:                              ;   in Loop: Header=BB8_2 Depth=1
	v_lshlrev_b32_e32 v57, 2, v60
	ds_read_b32 v57, v57 offset:4
; %bb.120:                              ;   in Loop: Header=BB8_2 Depth=1
	s_or_saveexec_b64 s[20:21], s[20:21]
	v_mov_b32_e32 v58, v56
	s_xor_b64 exec, exec, s[20:21]
	s_cbranch_execz .LBB8_122
; %bb.121:                              ;   in Loop: Header=BB8_2 Depth=1
	s_waitcnt lgkmcnt(0)
	v_lshlrev_b32_e32 v57, 2, v59
	ds_read_b32 v58, v57 offset:4
	v_mov_b32_e32 v57, v55
.LBB8_122:                              ;   in Loop: Header=BB8_2 Depth=1
	s_or_b64 exec, exec, s[20:21]
	v_add_u32_e32 v62, 1, v60
	v_add_u32_e32 v61, 1, v59
	v_cndmask_b32_e64 v62, v62, v60, s[18:19]
	v_cndmask_b32_e64 v61, v59, v61, s[18:19]
	v_cmp_ge_i32_e64 s[22:23], v62, v11
	s_waitcnt lgkmcnt(0)
	v_cmp_lt_i32_e64 s[24:25], v58, v57
	v_cmp_lt_i32_e64 s[20:21], v61, v12
	s_or_b64 s[22:23], s[22:23], s[24:25]
	s_and_b64 s[20:21], s[20:21], s[22:23]
	s_xor_b64 s[22:23], s[20:21], -1
                                        ; implicit-def: $vgpr59
	s_and_saveexec_b64 s[24:25], s[22:23]
	s_xor_b64 s[22:23], exec, s[24:25]
; %bb.123:                              ;   in Loop: Header=BB8_2 Depth=1
	v_lshlrev_b32_e32 v59, 2, v62
	ds_read_b32 v59, v59 offset:4
; %bb.124:                              ;   in Loop: Header=BB8_2 Depth=1
	s_or_saveexec_b64 s[22:23], s[22:23]
	v_mov_b32_e32 v60, v58
	s_xor_b64 exec, exec, s[22:23]
	s_cbranch_execz .LBB8_126
; %bb.125:                              ;   in Loop: Header=BB8_2 Depth=1
	s_waitcnt lgkmcnt(0)
	v_lshlrev_b32_e32 v59, 2, v61
	ds_read_b32 v60, v59 offset:4
	v_mov_b32_e32 v59, v57
.LBB8_126:                              ;   in Loop: Header=BB8_2 Depth=1
	s_or_b64 exec, exec, s[22:23]
	v_add_u32_e32 v64, 1, v62
	v_add_u32_e32 v63, 1, v61
	v_cndmask_b32_e64 v62, v64, v62, s[20:21]
	v_cndmask_b32_e64 v61, v61, v63, s[20:21]
	v_cmp_ge_i32_e64 s[24:25], v62, v11
	s_waitcnt lgkmcnt(0)
	v_cmp_lt_i32_e64 s[26:27], v60, v59
	v_cmp_lt_i32_e64 s[22:23], v61, v12
	s_or_b64 s[24:25], s[24:25], s[26:27]
	s_and_b64 s[22:23], s[22:23], s[24:25]
	s_xor_b64 s[24:25], s[22:23], -1
                                        ; implicit-def: $vgpr63
	s_and_saveexec_b64 s[26:27], s[24:25]
	s_xor_b64 s[24:25], exec, s[26:27]
; %bb.127:                              ;   in Loop: Header=BB8_2 Depth=1
	v_lshlrev_b32_e32 v63, 2, v62
	ds_read_b32 v63, v63 offset:4
; %bb.128:                              ;   in Loop: Header=BB8_2 Depth=1
	s_or_saveexec_b64 s[24:25], s[24:25]
	v_mov_b32_e32 v64, v60
	s_xor_b64 exec, exec, s[24:25]
	s_cbranch_execz .LBB8_130
; %bb.129:                              ;   in Loop: Header=BB8_2 Depth=1
	s_waitcnt lgkmcnt(0)
	v_lshlrev_b32_e32 v63, 2, v61
	ds_read_b32 v64, v63 offset:4
	v_mov_b32_e32 v63, v59
.LBB8_130:                              ;   in Loop: Header=BB8_2 Depth=1
	s_or_b64 exec, exec, s[24:25]
	v_cndmask_b32_e64 v59, v59, v60, s[22:23]
	v_add_u32_e32 v60, 1, v61
	v_add_u32_e32 v65, 1, v62
	v_cndmask_b32_e64 v60, v61, v60, s[22:23]
	v_cndmask_b32_e64 v61, v65, v62, s[22:23]
	;; [unrolled: 1-line block ×4, first 2 shown]
	v_cmp_ge_i32_e64 s[12:13], v61, v11
	s_waitcnt lgkmcnt(0)
	v_cmp_lt_i32_e64 s[14:15], v64, v63
	v_cndmask_b32_e64 v47, v47, v48, s[10:11]
	v_cmp_lt_i32_e64 s[10:11], v60, v12
	s_or_b64 s[12:13], s[12:13], s[14:15]
	s_and_b64 s[10:11], s[10:11], s[12:13]
	v_cndmask_b32_e64 v57, v57, v58, s[20:21]
	v_cndmask_b32_e64 v55, v55, v56, s[18:19]
	;; [unrolled: 1-line block ×4, first 2 shown]
	; wave barrier
	ds_write2_b32 v40, v47, v49 offset1:1
	ds_write2_b32 v40, v51, v53 offset0:2 offset1:3
	ds_write2_b32 v40, v55, v57 offset0:4 offset1:5
	ds_write2_b32 v40, v59, v48 offset0:6 offset1:7
	v_mov_b32_e32 v49, v24
	s_waitcnt lgkmcnt(0)
	; wave barrier
	s_and_saveexec_b64 s[12:13], s[6:7]
	s_cbranch_execz .LBB8_134
; %bb.131:                              ;   in Loop: Header=BB8_2 Depth=1
	s_mov_b64 s[14:15], 0
	v_mov_b32_e32 v49, v24
	v_mov_b32_e32 v47, v25
.LBB8_132:                              ;   Parent Loop BB8_2 Depth=1
                                        ; =>  This Inner Loop Header: Depth=2
	v_sub_u32_e32 v48, v47, v49
	v_lshrrev_b32_e32 v48, 1, v48
	v_add_u32_e32 v48, v48, v49
	v_not_b32_e32 v51, v48
	v_lshl_add_u32 v50, v48, 2, v45
	v_lshl_add_u32 v51, v51, 2, v39
	ds_read_b32 v50, v50
	ds_read_b32 v51, v51
	v_add_u32_e32 v52, 1, v48
	s_waitcnt lgkmcnt(0)
	v_cmp_lt_i32_e64 s[10:11], v51, v50
	v_cndmask_b32_e64 v47, v47, v48, s[10:11]
	v_cndmask_b32_e64 v49, v52, v49, s[10:11]
	v_cmp_ge_i32_e64 s[10:11], v49, v47
	s_or_b64 s[14:15], s[10:11], s[14:15]
	s_andn2_b64 exec, exec, s[14:15]
	s_cbranch_execnz .LBB8_132
; %bb.133:                              ;   in Loop: Header=BB8_2 Depth=1
	s_or_b64 exec, exec, s[14:15]
.LBB8_134:                              ;   in Loop: Header=BB8_2 Depth=1
	s_or_b64 exec, exec, s[12:13]
	v_sub_u32_e32 v51, v38, v49
	v_lshl_add_u32 v50, v49, 2, v45
	v_lshlrev_b32_e32 v53, 2, v51
	ds_read_b32 v47, v50
	ds_read_b32 v48, v53
	v_add_u32_e32 v52, v49, v13
	v_cmp_le_i32_e64 s[12:13], v14, v52
	v_cmp_gt_i32_e64 s[10:11], v15, v51
                                        ; implicit-def: $vgpr49
	s_waitcnt lgkmcnt(0)
	v_cmp_lt_i32_e64 s[14:15], v48, v47
	s_or_b64 s[12:13], s[12:13], s[14:15]
	s_and_b64 s[10:11], s[10:11], s[12:13]
	s_xor_b64 s[12:13], s[10:11], -1
	s_and_saveexec_b64 s[14:15], s[12:13]
	s_xor_b64 s[12:13], exec, s[14:15]
; %bb.135:                              ;   in Loop: Header=BB8_2 Depth=1
	ds_read_b32 v49, v50 offset:4
                                        ; implicit-def: $vgpr53
; %bb.136:                              ;   in Loop: Header=BB8_2 Depth=1
	s_or_saveexec_b64 s[12:13], s[12:13]
	v_mov_b32_e32 v50, v48
	s_xor_b64 exec, exec, s[12:13]
	s_cbranch_execz .LBB8_138
; %bb.137:                              ;   in Loop: Header=BB8_2 Depth=1
	ds_read_b32 v50, v53 offset:4
	s_waitcnt lgkmcnt(1)
	v_mov_b32_e32 v49, v47
.LBB8_138:                              ;   in Loop: Header=BB8_2 Depth=1
	s_or_b64 exec, exec, s[12:13]
	v_add_u32_e32 v54, 1, v52
	v_add_u32_e32 v53, 1, v51
	v_cndmask_b32_e64 v54, v54, v52, s[10:11]
	v_cndmask_b32_e64 v53, v51, v53, s[10:11]
	v_cmp_ge_i32_e64 s[14:15], v54, v14
	s_waitcnt lgkmcnt(0)
	v_cmp_lt_i32_e64 s[16:17], v50, v49
	v_cmp_lt_i32_e64 s[12:13], v53, v15
	s_or_b64 s[14:15], s[14:15], s[16:17]
	s_and_b64 s[12:13], s[12:13], s[14:15]
	s_xor_b64 s[14:15], s[12:13], -1
                                        ; implicit-def: $vgpr51
	s_and_saveexec_b64 s[16:17], s[14:15]
	s_xor_b64 s[14:15], exec, s[16:17]
; %bb.139:                              ;   in Loop: Header=BB8_2 Depth=1
	v_lshlrev_b32_e32 v51, 2, v54
	ds_read_b32 v51, v51 offset:4
; %bb.140:                              ;   in Loop: Header=BB8_2 Depth=1
	s_or_saveexec_b64 s[14:15], s[14:15]
	v_mov_b32_e32 v52, v50
	s_xor_b64 exec, exec, s[14:15]
	s_cbranch_execz .LBB8_142
; %bb.141:                              ;   in Loop: Header=BB8_2 Depth=1
	s_waitcnt lgkmcnt(0)
	v_lshlrev_b32_e32 v51, 2, v53
	ds_read_b32 v52, v51 offset:4
	v_mov_b32_e32 v51, v49
.LBB8_142:                              ;   in Loop: Header=BB8_2 Depth=1
	s_or_b64 exec, exec, s[14:15]
	v_add_u32_e32 v56, 1, v54
	v_add_u32_e32 v55, 1, v53
	v_cndmask_b32_e64 v56, v56, v54, s[12:13]
	v_cndmask_b32_e64 v55, v53, v55, s[12:13]
	v_cmp_ge_i32_e64 s[16:17], v56, v14
	s_waitcnt lgkmcnt(0)
	v_cmp_lt_i32_e64 s[18:19], v52, v51
	v_cmp_lt_i32_e64 s[14:15], v55, v15
	s_or_b64 s[16:17], s[16:17], s[18:19]
	s_and_b64 s[14:15], s[14:15], s[16:17]
	s_xor_b64 s[16:17], s[14:15], -1
                                        ; implicit-def: $vgpr53
	s_and_saveexec_b64 s[18:19], s[16:17]
	s_xor_b64 s[16:17], exec, s[18:19]
; %bb.143:                              ;   in Loop: Header=BB8_2 Depth=1
	v_lshlrev_b32_e32 v53, 2, v56
	ds_read_b32 v53, v53 offset:4
; %bb.144:                              ;   in Loop: Header=BB8_2 Depth=1
	s_or_saveexec_b64 s[16:17], s[16:17]
	v_mov_b32_e32 v54, v52
	s_xor_b64 exec, exec, s[16:17]
	s_cbranch_execz .LBB8_146
; %bb.145:                              ;   in Loop: Header=BB8_2 Depth=1
	s_waitcnt lgkmcnt(0)
	v_lshlrev_b32_e32 v53, 2, v55
	ds_read_b32 v54, v53 offset:4
	v_mov_b32_e32 v53, v51
.LBB8_146:                              ;   in Loop: Header=BB8_2 Depth=1
	s_or_b64 exec, exec, s[16:17]
	v_add_u32_e32 v58, 1, v56
	v_add_u32_e32 v57, 1, v55
	v_cndmask_b32_e64 v58, v58, v56, s[14:15]
	v_cndmask_b32_e64 v57, v55, v57, s[14:15]
	v_cmp_ge_i32_e64 s[18:19], v58, v14
	s_waitcnt lgkmcnt(0)
	v_cmp_lt_i32_e64 s[20:21], v54, v53
	v_cmp_lt_i32_e64 s[16:17], v57, v15
	s_or_b64 s[18:19], s[18:19], s[20:21]
	s_and_b64 s[16:17], s[16:17], s[18:19]
	s_xor_b64 s[18:19], s[16:17], -1
                                        ; implicit-def: $vgpr55
	s_and_saveexec_b64 s[20:21], s[18:19]
	s_xor_b64 s[18:19], exec, s[20:21]
; %bb.147:                              ;   in Loop: Header=BB8_2 Depth=1
	v_lshlrev_b32_e32 v55, 2, v58
	ds_read_b32 v55, v55 offset:4
; %bb.148:                              ;   in Loop: Header=BB8_2 Depth=1
	s_or_saveexec_b64 s[18:19], s[18:19]
	v_mov_b32_e32 v56, v54
	s_xor_b64 exec, exec, s[18:19]
	s_cbranch_execz .LBB8_150
; %bb.149:                              ;   in Loop: Header=BB8_2 Depth=1
	s_waitcnt lgkmcnt(0)
	v_lshlrev_b32_e32 v55, 2, v57
	ds_read_b32 v56, v55 offset:4
	v_mov_b32_e32 v55, v53
.LBB8_150:                              ;   in Loop: Header=BB8_2 Depth=1
	s_or_b64 exec, exec, s[18:19]
	v_add_u32_e32 v60, 1, v58
	v_add_u32_e32 v59, 1, v57
	v_cndmask_b32_e64 v60, v60, v58, s[16:17]
	v_cndmask_b32_e64 v59, v57, v59, s[16:17]
	v_cmp_ge_i32_e64 s[20:21], v60, v14
	s_waitcnt lgkmcnt(0)
	v_cmp_lt_i32_e64 s[22:23], v56, v55
	v_cmp_lt_i32_e64 s[18:19], v59, v15
	s_or_b64 s[20:21], s[20:21], s[22:23]
	s_and_b64 s[18:19], s[18:19], s[20:21]
	s_xor_b64 s[20:21], s[18:19], -1
                                        ; implicit-def: $vgpr57
	s_and_saveexec_b64 s[22:23], s[20:21]
	s_xor_b64 s[20:21], exec, s[22:23]
; %bb.151:                              ;   in Loop: Header=BB8_2 Depth=1
	v_lshlrev_b32_e32 v57, 2, v60
	ds_read_b32 v57, v57 offset:4
; %bb.152:                              ;   in Loop: Header=BB8_2 Depth=1
	s_or_saveexec_b64 s[20:21], s[20:21]
	v_mov_b32_e32 v58, v56
	s_xor_b64 exec, exec, s[20:21]
	s_cbranch_execz .LBB8_154
; %bb.153:                              ;   in Loop: Header=BB8_2 Depth=1
	s_waitcnt lgkmcnt(0)
	v_lshlrev_b32_e32 v57, 2, v59
	ds_read_b32 v58, v57 offset:4
	v_mov_b32_e32 v57, v55
.LBB8_154:                              ;   in Loop: Header=BB8_2 Depth=1
	s_or_b64 exec, exec, s[20:21]
	v_add_u32_e32 v62, 1, v60
	v_add_u32_e32 v61, 1, v59
	v_cndmask_b32_e64 v62, v62, v60, s[18:19]
	v_cndmask_b32_e64 v61, v59, v61, s[18:19]
	v_cmp_ge_i32_e64 s[22:23], v62, v14
	s_waitcnt lgkmcnt(0)
	v_cmp_lt_i32_e64 s[24:25], v58, v57
	v_cmp_lt_i32_e64 s[20:21], v61, v15
	s_or_b64 s[22:23], s[22:23], s[24:25]
	s_and_b64 s[20:21], s[20:21], s[22:23]
	s_xor_b64 s[22:23], s[20:21], -1
                                        ; implicit-def: $vgpr59
	s_and_saveexec_b64 s[24:25], s[22:23]
	s_xor_b64 s[22:23], exec, s[24:25]
; %bb.155:                              ;   in Loop: Header=BB8_2 Depth=1
	v_lshlrev_b32_e32 v59, 2, v62
	ds_read_b32 v59, v59 offset:4
; %bb.156:                              ;   in Loop: Header=BB8_2 Depth=1
	s_or_saveexec_b64 s[22:23], s[22:23]
	v_mov_b32_e32 v60, v58
	s_xor_b64 exec, exec, s[22:23]
	s_cbranch_execz .LBB8_158
; %bb.157:                              ;   in Loop: Header=BB8_2 Depth=1
	s_waitcnt lgkmcnt(0)
	v_lshlrev_b32_e32 v59, 2, v61
	ds_read_b32 v60, v59 offset:4
	v_mov_b32_e32 v59, v57
.LBB8_158:                              ;   in Loop: Header=BB8_2 Depth=1
	s_or_b64 exec, exec, s[22:23]
	v_add_u32_e32 v64, 1, v62
	v_add_u32_e32 v63, 1, v61
	v_cndmask_b32_e64 v62, v64, v62, s[20:21]
	v_cndmask_b32_e64 v61, v61, v63, s[20:21]
	v_cmp_ge_i32_e64 s[24:25], v62, v14
	s_waitcnt lgkmcnt(0)
	v_cmp_lt_i32_e64 s[26:27], v60, v59
	v_cmp_lt_i32_e64 s[22:23], v61, v15
	s_or_b64 s[24:25], s[24:25], s[26:27]
	s_and_b64 s[22:23], s[22:23], s[24:25]
	s_xor_b64 s[24:25], s[22:23], -1
                                        ; implicit-def: $vgpr63
	s_and_saveexec_b64 s[26:27], s[24:25]
	s_xor_b64 s[24:25], exec, s[26:27]
; %bb.159:                              ;   in Loop: Header=BB8_2 Depth=1
	v_lshlrev_b32_e32 v63, 2, v62
	ds_read_b32 v63, v63 offset:4
; %bb.160:                              ;   in Loop: Header=BB8_2 Depth=1
	s_or_saveexec_b64 s[24:25], s[24:25]
	v_mov_b32_e32 v64, v60
	s_xor_b64 exec, exec, s[24:25]
	s_cbranch_execz .LBB8_162
; %bb.161:                              ;   in Loop: Header=BB8_2 Depth=1
	s_waitcnt lgkmcnt(0)
	v_lshlrev_b32_e32 v63, 2, v61
	ds_read_b32 v64, v63 offset:4
	v_mov_b32_e32 v63, v59
.LBB8_162:                              ;   in Loop: Header=BB8_2 Depth=1
	s_or_b64 exec, exec, s[24:25]
	v_cndmask_b32_e64 v59, v59, v60, s[22:23]
	v_add_u32_e32 v60, 1, v61
	v_add_u32_e32 v65, 1, v62
	v_cndmask_b32_e64 v60, v61, v60, s[22:23]
	v_cndmask_b32_e64 v61, v65, v62, s[22:23]
	;; [unrolled: 1-line block ×4, first 2 shown]
	v_cmp_ge_i32_e64 s[12:13], v61, v14
	s_waitcnt lgkmcnt(0)
	v_cmp_lt_i32_e64 s[14:15], v64, v63
	v_cndmask_b32_e64 v47, v47, v48, s[10:11]
	v_cmp_lt_i32_e64 s[10:11], v60, v15
	s_or_b64 s[12:13], s[12:13], s[14:15]
	s_and_b64 s[10:11], s[10:11], s[12:13]
	v_cndmask_b32_e64 v57, v57, v58, s[20:21]
	v_cndmask_b32_e64 v55, v55, v56, s[18:19]
	;; [unrolled: 1-line block ×4, first 2 shown]
	; wave barrier
	ds_write2_b32 v40, v47, v49 offset1:1
	ds_write2_b32 v40, v51, v53 offset0:2 offset1:3
	ds_write2_b32 v40, v55, v57 offset0:4 offset1:5
	;; [unrolled: 1-line block ×3, first 2 shown]
	v_mov_b32_e32 v51, v27
	s_waitcnt lgkmcnt(0)
	; wave barrier
	s_and_saveexec_b64 s[12:13], s[8:9]
	s_cbranch_execz .LBB8_166
; %bb.163:                              ;   in Loop: Header=BB8_2 Depth=1
	s_mov_b64 s[14:15], 0
	v_mov_b32_e32 v51, v27
	v_mov_b32_e32 v47, v28
.LBB8_164:                              ;   Parent Loop BB8_2 Depth=1
                                        ; =>  This Inner Loop Header: Depth=2
	v_sub_u32_e32 v48, v47, v51
	v_lshrrev_b32_e32 v48, 1, v48
	v_add_u32_e32 v48, v48, v51
	v_not_b32_e32 v50, v48
	v_lshlrev_b32_e32 v49, 2, v48
	v_lshl_add_u32 v50, v50, 2, v46
	ds_read_b32 v49, v49
	ds_read_b32 v50, v50
	v_add_u32_e32 v52, 1, v48
	s_waitcnt lgkmcnt(0)
	v_cmp_lt_i32_e64 s[10:11], v50, v49
	v_cndmask_b32_e64 v47, v47, v48, s[10:11]
	v_cndmask_b32_e64 v51, v52, v51, s[10:11]
	v_cmp_ge_i32_e64 s[10:11], v51, v47
	s_or_b64 s[14:15], s[10:11], s[14:15]
	s_andn2_b64 exec, exec, s[14:15]
	s_cbranch_execnz .LBB8_164
; %bb.165:                              ;   in Loop: Header=BB8_2 Depth=1
	s_or_b64 exec, exec, s[14:15]
.LBB8_166:                              ;   in Loop: Header=BB8_2 Depth=1
	s_or_b64 exec, exec, s[12:13]
	v_sub_u32_e32 v52, v29, v51
	v_lshlrev_b32_e32 v50, 2, v51
	v_lshlrev_b32_e32 v53, 2, v52
	ds_read_b32 v47, v50
	ds_read_b32 v48, v53
	v_cmp_le_i32_e64 s[12:13], v26, v51
	v_cmp_gt_i32_e64 s[10:11], s28, v52
                                        ; implicit-def: $vgpr49
	s_waitcnt lgkmcnt(0)
	v_cmp_lt_i32_e64 s[14:15], v48, v47
	s_or_b64 s[12:13], s[12:13], s[14:15]
	s_and_b64 s[10:11], s[10:11], s[12:13]
	s_xor_b64 s[12:13], s[10:11], -1
	s_and_saveexec_b64 s[14:15], s[12:13]
	s_xor_b64 s[12:13], exec, s[14:15]
; %bb.167:                              ;   in Loop: Header=BB8_2 Depth=1
	ds_read_b32 v49, v50 offset:4
                                        ; implicit-def: $vgpr53
; %bb.168:                              ;   in Loop: Header=BB8_2 Depth=1
	s_or_saveexec_b64 s[12:13], s[12:13]
	v_mov_b32_e32 v50, v48
	s_xor_b64 exec, exec, s[12:13]
	s_cbranch_execz .LBB8_170
; %bb.169:                              ;   in Loop: Header=BB8_2 Depth=1
	ds_read_b32 v50, v53 offset:4
	s_waitcnt lgkmcnt(1)
	v_mov_b32_e32 v49, v47
.LBB8_170:                              ;   in Loop: Header=BB8_2 Depth=1
	s_or_b64 exec, exec, s[12:13]
	v_add_u32_e32 v54, 1, v51
	v_add_u32_e32 v53, 1, v52
	v_cndmask_b32_e64 v54, v54, v51, s[10:11]
	v_cndmask_b32_e64 v53, v52, v53, s[10:11]
	v_cmp_ge_i32_e64 s[14:15], v54, v26
	s_waitcnt lgkmcnt(0)
	v_cmp_lt_i32_e64 s[16:17], v50, v49
	v_cmp_gt_i32_e64 s[12:13], s28, v53
	s_or_b64 s[14:15], s[14:15], s[16:17]
	s_and_b64 s[12:13], s[12:13], s[14:15]
	s_xor_b64 s[14:15], s[12:13], -1
                                        ; implicit-def: $vgpr51
	s_and_saveexec_b64 s[16:17], s[14:15]
	s_xor_b64 s[14:15], exec, s[16:17]
; %bb.171:                              ;   in Loop: Header=BB8_2 Depth=1
	v_lshlrev_b32_e32 v51, 2, v54
	ds_read_b32 v51, v51 offset:4
; %bb.172:                              ;   in Loop: Header=BB8_2 Depth=1
	s_or_saveexec_b64 s[14:15], s[14:15]
	v_mov_b32_e32 v52, v50
	s_xor_b64 exec, exec, s[14:15]
	s_cbranch_execz .LBB8_174
; %bb.173:                              ;   in Loop: Header=BB8_2 Depth=1
	s_waitcnt lgkmcnt(0)
	v_lshlrev_b32_e32 v51, 2, v53
	ds_read_b32 v52, v51 offset:4
	v_mov_b32_e32 v51, v49
.LBB8_174:                              ;   in Loop: Header=BB8_2 Depth=1
	s_or_b64 exec, exec, s[14:15]
	v_add_u32_e32 v56, 1, v54
	v_add_u32_e32 v55, 1, v53
	v_cndmask_b32_e64 v56, v56, v54, s[12:13]
	v_cndmask_b32_e64 v55, v53, v55, s[12:13]
	v_cmp_ge_i32_e64 s[16:17], v56, v26
	s_waitcnt lgkmcnt(0)
	v_cmp_lt_i32_e64 s[18:19], v52, v51
	v_cmp_gt_i32_e64 s[14:15], s28, v55
	s_or_b64 s[16:17], s[16:17], s[18:19]
	s_and_b64 s[14:15], s[14:15], s[16:17]
	s_xor_b64 s[16:17], s[14:15], -1
                                        ; implicit-def: $vgpr53
	s_and_saveexec_b64 s[18:19], s[16:17]
	s_xor_b64 s[16:17], exec, s[18:19]
; %bb.175:                              ;   in Loop: Header=BB8_2 Depth=1
	v_lshlrev_b32_e32 v53, 2, v56
	ds_read_b32 v53, v53 offset:4
; %bb.176:                              ;   in Loop: Header=BB8_2 Depth=1
	s_or_saveexec_b64 s[16:17], s[16:17]
	v_mov_b32_e32 v54, v52
	s_xor_b64 exec, exec, s[16:17]
	s_cbranch_execz .LBB8_178
; %bb.177:                              ;   in Loop: Header=BB8_2 Depth=1
	s_waitcnt lgkmcnt(0)
	v_lshlrev_b32_e32 v53, 2, v55
	ds_read_b32 v54, v53 offset:4
	v_mov_b32_e32 v53, v51
.LBB8_178:                              ;   in Loop: Header=BB8_2 Depth=1
	s_or_b64 exec, exec, s[16:17]
	v_add_u32_e32 v58, 1, v56
	v_add_u32_e32 v57, 1, v55
	v_cndmask_b32_e64 v58, v58, v56, s[14:15]
	v_cndmask_b32_e64 v57, v55, v57, s[14:15]
	v_cmp_ge_i32_e64 s[18:19], v58, v26
	s_waitcnt lgkmcnt(0)
	v_cmp_lt_i32_e64 s[20:21], v54, v53
	v_cmp_gt_i32_e64 s[16:17], s28, v57
	s_or_b64 s[18:19], s[18:19], s[20:21]
	s_and_b64 s[16:17], s[16:17], s[18:19]
	s_xor_b64 s[18:19], s[16:17], -1
                                        ; implicit-def: $vgpr55
	s_and_saveexec_b64 s[20:21], s[18:19]
	s_xor_b64 s[18:19], exec, s[20:21]
; %bb.179:                              ;   in Loop: Header=BB8_2 Depth=1
	v_lshlrev_b32_e32 v55, 2, v58
	ds_read_b32 v55, v55 offset:4
; %bb.180:                              ;   in Loop: Header=BB8_2 Depth=1
	s_or_saveexec_b64 s[18:19], s[18:19]
	v_mov_b32_e32 v56, v54
	s_xor_b64 exec, exec, s[18:19]
	s_cbranch_execz .LBB8_182
; %bb.181:                              ;   in Loop: Header=BB8_2 Depth=1
	s_waitcnt lgkmcnt(0)
	v_lshlrev_b32_e32 v55, 2, v57
	ds_read_b32 v56, v55 offset:4
	v_mov_b32_e32 v55, v53
.LBB8_182:                              ;   in Loop: Header=BB8_2 Depth=1
	s_or_b64 exec, exec, s[18:19]
	v_add_u32_e32 v60, 1, v58
	v_add_u32_e32 v59, 1, v57
	v_cndmask_b32_e64 v58, v60, v58, s[16:17]
	v_cndmask_b32_e64 v57, v57, v59, s[16:17]
	v_cmp_ge_i32_e64 s[20:21], v58, v26
	s_waitcnt lgkmcnt(0)
	v_cmp_lt_i32_e64 s[22:23], v56, v55
	v_cmp_gt_i32_e64 s[18:19], s28, v57
	s_or_b64 s[20:21], s[20:21], s[22:23]
	s_and_b64 s[18:19], s[18:19], s[20:21]
	s_xor_b64 s[20:21], s[18:19], -1
                                        ; implicit-def: $vgpr59
	s_and_saveexec_b64 s[22:23], s[20:21]
	s_xor_b64 s[20:21], exec, s[22:23]
; %bb.183:                              ;   in Loop: Header=BB8_2 Depth=1
	v_lshlrev_b32_e32 v59, 2, v58
	ds_read_b32 v59, v59 offset:4
; %bb.184:                              ;   in Loop: Header=BB8_2 Depth=1
	s_or_saveexec_b64 s[20:21], s[20:21]
	v_mov_b32_e32 v60, v56
	s_xor_b64 exec, exec, s[20:21]
	s_cbranch_execz .LBB8_186
; %bb.185:                              ;   in Loop: Header=BB8_2 Depth=1
	s_waitcnt lgkmcnt(0)
	v_lshlrev_b32_e32 v59, 2, v57
	ds_read_b32 v60, v59 offset:4
	v_mov_b32_e32 v59, v55
.LBB8_186:                              ;   in Loop: Header=BB8_2 Depth=1
	s_or_b64 exec, exec, s[20:21]
	v_add_u32_e32 v62, 1, v58
	v_add_u32_e32 v61, 1, v57
	v_cndmask_b32_e64 v58, v62, v58, s[18:19]
	v_cndmask_b32_e64 v57, v57, v61, s[18:19]
	v_cmp_ge_i32_e64 s[22:23], v58, v26
	s_waitcnt lgkmcnt(0)
	v_cmp_lt_i32_e64 s[24:25], v60, v59
	v_cmp_gt_i32_e64 s[20:21], s28, v57
	s_or_b64 s[22:23], s[22:23], s[24:25]
	s_and_b64 s[20:21], s[20:21], s[22:23]
	s_xor_b64 s[22:23], s[20:21], -1
                                        ; implicit-def: $vgpr61
	s_and_saveexec_b64 s[24:25], s[22:23]
	s_xor_b64 s[22:23], exec, s[24:25]
; %bb.187:                              ;   in Loop: Header=BB8_2 Depth=1
	v_lshlrev_b32_e32 v61, 2, v58
	ds_read_b32 v61, v61 offset:4
; %bb.188:                              ;   in Loop: Header=BB8_2 Depth=1
	s_or_saveexec_b64 s[22:23], s[22:23]
	v_mov_b32_e32 v62, v60
	s_xor_b64 exec, exec, s[22:23]
	s_cbranch_execz .LBB8_190
; %bb.189:                              ;   in Loop: Header=BB8_2 Depth=1
	s_waitcnt lgkmcnt(0)
	v_lshlrev_b32_e32 v61, 2, v57
	ds_read_b32 v62, v61 offset:4
	v_mov_b32_e32 v61, v59
.LBB8_190:                              ;   in Loop: Header=BB8_2 Depth=1
	s_or_b64 exec, exec, s[22:23]
	v_add_u32_e32 v63, 1, v57
	v_add_u32_e32 v64, 1, v58
	v_cndmask_b32_e64 v63, v57, v63, s[20:21]
	v_cndmask_b32_e64 v57, v64, v58, s[20:21]
	v_cmp_ge_i32_e64 s[24:25], v57, v26
	s_waitcnt lgkmcnt(0)
	v_cmp_lt_i32_e64 s[26:27], v62, v61
	v_cmp_gt_i32_e64 s[22:23], s28, v63
	s_or_b64 s[24:25], s[24:25], s[26:27]
	s_and_b64 s[22:23], s[22:23], s[24:25]
	s_xor_b64 s[24:25], s[22:23], -1
                                        ; implicit-def: $vgpr64
                                        ; implicit-def: $vgpr65
	s_and_saveexec_b64 s[26:27], s[24:25]
	s_xor_b64 s[24:25], exec, s[26:27]
; %bb.191:                              ;   in Loop: Header=BB8_2 Depth=1
	v_lshlrev_b32_e32 v58, 2, v57
	ds_read_b32 v64, v58 offset:4
	v_add_u32_e32 v65, 1, v57
                                        ; implicit-def: $vgpr57
; %bb.192:                              ;   in Loop: Header=BB8_2 Depth=1
	s_or_saveexec_b64 s[24:25], s[24:25]
	v_mov_b32_e32 v66, v62
	s_xor_b64 exec, exec, s[24:25]
	s_cbranch_execz .LBB8_1
; %bb.193:                              ;   in Loop: Header=BB8_2 Depth=1
	v_lshlrev_b32_e32 v58, 2, v63
	ds_read_b32 v66, v58 offset:4
	v_add_u32_e32 v63, 1, v63
	v_mov_b32_e32 v65, v57
	s_waitcnt lgkmcnt(1)
	v_mov_b32_e32 v64, v61
	s_branch .LBB8_1
.LBB8_194:
	s_add_u32 s0, s30, s36
	s_addc_u32 s1, s31, s37
	v_lshlrev_b32_e32 v0, 2, v0
	global_store_dword v0, v57, s[0:1]
	global_store_dword v0, v58, s[0:1] offset:256
	global_store_dword v0, v50, s[0:1] offset:512
	;; [unrolled: 1-line block ×7, first 2 shown]
	s_endpgm
	.section	.rodata,"a",@progbits
	.p2align	6, 0x0
	.amdhsa_kernel _Z16sort_keys_kernelIiLj64ELj8EN10test_utils4lessELj10EEvPKT_PS2_T2_
		.amdhsa_group_segment_fixed_size 2052
		.amdhsa_private_segment_fixed_size 0
		.amdhsa_kernarg_size 20
		.amdhsa_user_sgpr_count 6
		.amdhsa_user_sgpr_private_segment_buffer 1
		.amdhsa_user_sgpr_dispatch_ptr 0
		.amdhsa_user_sgpr_queue_ptr 0
		.amdhsa_user_sgpr_kernarg_segment_ptr 1
		.amdhsa_user_sgpr_dispatch_id 0
		.amdhsa_user_sgpr_flat_scratch_init 0
		.amdhsa_user_sgpr_private_segment_size 0
		.amdhsa_uses_dynamic_stack 0
		.amdhsa_system_sgpr_private_segment_wavefront_offset 0
		.amdhsa_system_sgpr_workgroup_id_x 1
		.amdhsa_system_sgpr_workgroup_id_y 0
		.amdhsa_system_sgpr_workgroup_id_z 0
		.amdhsa_system_sgpr_workgroup_info 0
		.amdhsa_system_vgpr_workitem_id 0
		.amdhsa_next_free_vgpr 67
		.amdhsa_next_free_sgpr 61
		.amdhsa_reserve_vcc 1
		.amdhsa_reserve_flat_scratch 0
		.amdhsa_float_round_mode_32 0
		.amdhsa_float_round_mode_16_64 0
		.amdhsa_float_denorm_mode_32 3
		.amdhsa_float_denorm_mode_16_64 3
		.amdhsa_dx10_clamp 1
		.amdhsa_ieee_mode 1
		.amdhsa_fp16_overflow 0
		.amdhsa_exception_fp_ieee_invalid_op 0
		.amdhsa_exception_fp_denorm_src 0
		.amdhsa_exception_fp_ieee_div_zero 0
		.amdhsa_exception_fp_ieee_overflow 0
		.amdhsa_exception_fp_ieee_underflow 0
		.amdhsa_exception_fp_ieee_inexact 0
		.amdhsa_exception_int_div_zero 0
	.end_amdhsa_kernel
	.section	.text._Z16sort_keys_kernelIiLj64ELj8EN10test_utils4lessELj10EEvPKT_PS2_T2_,"axG",@progbits,_Z16sort_keys_kernelIiLj64ELj8EN10test_utils4lessELj10EEvPKT_PS2_T2_,comdat
.Lfunc_end8:
	.size	_Z16sort_keys_kernelIiLj64ELj8EN10test_utils4lessELj10EEvPKT_PS2_T2_, .Lfunc_end8-_Z16sort_keys_kernelIiLj64ELj8EN10test_utils4lessELj10EEvPKT_PS2_T2_
                                        ; -- End function
	.set _Z16sort_keys_kernelIiLj64ELj8EN10test_utils4lessELj10EEvPKT_PS2_T2_.num_vgpr, 67
	.set _Z16sort_keys_kernelIiLj64ELj8EN10test_utils4lessELj10EEvPKT_PS2_T2_.num_agpr, 0
	.set _Z16sort_keys_kernelIiLj64ELj8EN10test_utils4lessELj10EEvPKT_PS2_T2_.numbered_sgpr, 38
	.set _Z16sort_keys_kernelIiLj64ELj8EN10test_utils4lessELj10EEvPKT_PS2_T2_.num_named_barrier, 0
	.set _Z16sort_keys_kernelIiLj64ELj8EN10test_utils4lessELj10EEvPKT_PS2_T2_.private_seg_size, 0
	.set _Z16sort_keys_kernelIiLj64ELj8EN10test_utils4lessELj10EEvPKT_PS2_T2_.uses_vcc, 1
	.set _Z16sort_keys_kernelIiLj64ELj8EN10test_utils4lessELj10EEvPKT_PS2_T2_.uses_flat_scratch, 0
	.set _Z16sort_keys_kernelIiLj64ELj8EN10test_utils4lessELj10EEvPKT_PS2_T2_.has_dyn_sized_stack, 0
	.set _Z16sort_keys_kernelIiLj64ELj8EN10test_utils4lessELj10EEvPKT_PS2_T2_.has_recursion, 0
	.set _Z16sort_keys_kernelIiLj64ELj8EN10test_utils4lessELj10EEvPKT_PS2_T2_.has_indirect_call, 0
	.section	.AMDGPU.csdata,"",@progbits
; Kernel info:
; codeLenInByte = 8532
; TotalNumSgprs: 42
; NumVgprs: 67
; ScratchSize: 0
; MemoryBound: 0
; FloatMode: 240
; IeeeMode: 1
; LDSByteSize: 2052 bytes/workgroup (compile time only)
; SGPRBlocks: 8
; VGPRBlocks: 16
; NumSGPRsForWavesPerEU: 65
; NumVGPRsForWavesPerEU: 67
; Occupancy: 3
; WaveLimiterHint : 1
; COMPUTE_PGM_RSRC2:SCRATCH_EN: 0
; COMPUTE_PGM_RSRC2:USER_SGPR: 6
; COMPUTE_PGM_RSRC2:TRAP_HANDLER: 0
; COMPUTE_PGM_RSRC2:TGID_X_EN: 1
; COMPUTE_PGM_RSRC2:TGID_Y_EN: 0
; COMPUTE_PGM_RSRC2:TGID_Z_EN: 0
; COMPUTE_PGM_RSRC2:TIDIG_COMP_CNT: 0
	.section	.text._Z17sort_pairs_kernelIiLj64ELj8EN10test_utils4lessELj10EEvPKT_PS2_T2_,"axG",@progbits,_Z17sort_pairs_kernelIiLj64ELj8EN10test_utils4lessELj10EEvPKT_PS2_T2_,comdat
	.protected	_Z17sort_pairs_kernelIiLj64ELj8EN10test_utils4lessELj10EEvPKT_PS2_T2_ ; -- Begin function _Z17sort_pairs_kernelIiLj64ELj8EN10test_utils4lessELj10EEvPKT_PS2_T2_
	.globl	_Z17sort_pairs_kernelIiLj64ELj8EN10test_utils4lessELj10EEvPKT_PS2_T2_
	.p2align	8
	.type	_Z17sort_pairs_kernelIiLj64ELj8EN10test_utils4lessELj10EEvPKT_PS2_T2_,@function
_Z17sort_pairs_kernelIiLj64ELj8EN10test_utils4lessELj10EEvPKT_PS2_T2_: ; @_Z17sort_pairs_kernelIiLj64ELj8EN10test_utils4lessELj10EEvPKT_PS2_T2_
; %bb.0:
	s_load_dwordx4 s[84:87], s[4:5], 0x0
	s_lshl_b32 s90, s6, 9
	s_mov_b32 s91, 0
	s_lshl_b64 s[88:89], s[90:91], 2
	v_lshlrev_b32_e32 v4, 2, v0
	s_waitcnt lgkmcnt(0)
	s_add_u32 s0, s84, s88
	s_addc_u32 s1, s85, s89
	global_load_dword v67, v4, s[0:1]
	global_load_dword v60, v4, s[0:1] offset:256
	global_load_dword v58, v4, s[0:1] offset:512
	;; [unrolled: 1-line block ×7, first 2 shown]
	v_lshlrev_b32_e32 v29, 3, v0
	v_and_b32_e32 v1, 0x1f0, v29
	v_and_b32_e32 v4, 0x1e0, v29
	;; [unrolled: 1-line block ×5, first 2 shown]
	v_or_b32_e32 v2, 8, v1
	v_add_u32_e32 v3, 16, v1
	v_or_b32_e32 v5, 16, v4
	v_add_u32_e32 v6, 32, v4
	;; [unrolled: 2-line block ×5, first 2 shown]
	v_and_b32_e32 v31, 8, v29
	v_sub_u32_e32 v16, v3, v2
	v_and_b32_e32 v33, 24, v29
	v_sub_u32_e32 v18, v6, v5
	;; [unrolled: 2-line block ×5, first 2 shown]
	v_sub_u32_e32 v17, v31, v16
	v_sub_u32_e32 v19, v33, v18
	;; [unrolled: 1-line block ×5, first 2 shown]
	v_cmp_ge_i32_e32 vcc, v31, v16
	v_cmp_ge_i32_e64 s[0:1], v33, v18
	v_cmp_ge_i32_e64 s[2:3], v35, v20
	;; [unrolled: 1-line block ×4, first 2 shown]
	v_cndmask_b32_e32 v16, 0, v17, vcc
	v_sub_u32_e32 v17, v2, v1
	v_cndmask_b32_e64 v18, 0, v19, s[0:1]
	v_sub_u32_e32 v19, v5, v4
	v_cndmask_b32_e64 v20, 0, v21, s[2:3]
	v_sub_u32_e32 v21, v8, v7
	v_cndmask_b32_e64 v22, 0, v23, s[4:5]
	v_sub_u32_e32 v23, v11, v10
	v_cndmask_b32_e64 v24, 0, v25, s[6:7]
	v_sub_u32_e32 v25, v14, v13
	v_mov_b32_e32 v26, 0x100
	v_min_i32_e32 v17, v31, v17
	v_min_i32_e32 v19, v33, v19
	;; [unrolled: 1-line block ×5, first 2 shown]
	v_sub_u32_e64 v27, v29, v26 clamp
	v_min_i32_e32 v28, 0x100, v29
	v_add_u32_e32 v30, v2, v31
	v_lshlrev_b32_e32 v31, 2, v31
	v_add_u32_e32 v32, v5, v33
	v_lshlrev_b32_e32 v33, 2, v33
	v_add_u32_e32 v34, v8, v35
	v_lshlrev_b32_e32 v35, 2, v35
	v_add_u32_e32 v36, v11, v37
	v_lshlrev_b32_e32 v37, 2, v37
	v_add_u32_e32 v38, v14, v39
	v_lshlrev_b32_e32 v39, 2, v39
	v_lshlrev_b32_e32 v40, 5, v0
	v_cmp_lt_i32_e32 vcc, v16, v17
	v_cmp_lt_i32_e64 s[0:1], v18, v19
	v_cmp_lt_i32_e64 s[2:3], v20, v21
	;; [unrolled: 1-line block ×5, first 2 shown]
	v_add_u32_e32 v29, 0x100, v29
	v_lshl_add_u32 v31, v2, 2, v31
	v_lshl_add_u32 v33, v5, 2, v33
	;; [unrolled: 1-line block ×5, first 2 shown]
	s_movk_i32 s33, 0x200
	s_waitcnt vmcnt(7)
	v_add_u32_e32 v47, 1, v67
	s_waitcnt vmcnt(6)
	v_add_u32_e32 v51, 1, v60
	;; [unrolled: 2-line block ×8, first 2 shown]
	v_lshlrev_b32_e32 v41, 2, v1
	v_lshlrev_b32_e32 v42, 2, v4
	;; [unrolled: 1-line block ×5, first 2 shown]
	v_add_u32_e32 v46, 0x400, v40
	s_branch .LBB9_2
.LBB9_1:                                ;   in Loop: Header=BB9_2 Depth=1
	s_or_b64 exec, exec, s[24:25]
	v_cndmask_b32_e64 v67, v57, v58, s[10:11]
	v_cndmask_b32_e64 v60, v59, v60, s[12:13]
	;; [unrolled: 1-line block ×5, first 2 shown]
	v_cmp_ge_i32_e64 s[12:13], v84, v26
	s_waitcnt lgkmcnt(0)
	v_cmp_lt_i32_e64 s[14:15], v86, v85
	v_cndmask_b32_e64 v56, v55, v56, s[10:11]
	v_cmp_gt_i32_e64 s[10:11], s33, v82
	s_or_b64 s[12:13], s[12:13], s[14:15]
	v_cndmask_b32_e64 v59, v68, v69, s[16:17]
	v_cndmask_b32_e64 v63, v81, v80, s[18:19]
	;; [unrolled: 1-line block ×4, first 2 shown]
	s_and_b64 s[10:11], s[10:11], s[12:13]
	v_cndmask_b32_e64 v62, v84, v82, s[10:11]
	; wave barrier
	ds_write2_b32 v40, v47, v48 offset1:1
	ds_write2_b32 v40, v49, v50 offset0:2 offset1:3
	ds_write2_b32 v40, v51, v52 offset0:4 offset1:5
	;; [unrolled: 1-line block ×3, first 2 shown]
	v_lshlrev_b32_e32 v47, 2, v56
	v_lshlrev_b32_e32 v48, 2, v61
	;; [unrolled: 1-line block ×6, first 2 shown]
	s_waitcnt lgkmcnt(0)
	; wave barrier
	v_lshlrev_b32_e32 v56, 2, v83
	v_lshlrev_b32_e32 v61, 2, v62
	ds_read_b32 v47, v47
	ds_read_b32 v51, v48
	;; [unrolled: 1-line block ×8, first 2 shown]
	s_add_i32 s91, s91, 1
	v_cndmask_b32_e64 v57, v73, v75, s[20:21]
	v_cndmask_b32_e64 v55, v85, v86, s[10:11]
	;; [unrolled: 1-line block ×3, first 2 shown]
	s_cmp_eq_u32 s91, 10
	v_cndmask_b32_e64 v61, v78, v79, s[22:23]
	s_cbranch_scc1 .LBB9_194
.LBB9_2:                                ; =>This Loop Header: Depth=1
                                        ;     Child Loop BB9_4 Depth 2
                                        ;     Child Loop BB9_36 Depth 2
	;; [unrolled: 1-line block ×6, first 2 shown]
	v_cmp_lt_i32_e64 s[10:11], v60, v67
	v_cmp_lt_i32_e64 s[12:13], v59, v58
	v_cmp_lt_i32_e64 s[14:15], v56, v57
	v_cmp_lt_i32_e64 s[16:17], v55, v61
	v_cndmask_b32_e64 v62, v67, v60, s[10:11]
	v_cndmask_b32_e64 v60, v60, v67, s[10:11]
	v_cndmask_b32_e64 v63, v59, v58, s[12:13]
	v_cndmask_b32_e64 v58, v58, v59, s[12:13]
	v_cndmask_b32_e64 v59, v56, v57, s[14:15]
	v_cndmask_b32_e64 v56, v57, v56, s[14:15]
	v_cndmask_b32_e64 v57, v55, v61, s[16:17]
	v_cndmask_b32_e64 v55, v61, v55, s[16:17]
	v_cmp_lt_i32_e64 s[18:19], v58, v60
	v_cmp_lt_i32_e64 s[20:21], v56, v63
	v_cmp_lt_i32_e64 s[22:23], v55, v59
	v_cndmask_b32_e64 v61, v58, v60, s[18:19]
	v_cndmask_b32_e64 v58, v60, v58, s[18:19]
	v_cndmask_b32_e64 v60, v56, v63, s[20:21]
	v_cndmask_b32_e64 v56, v63, v56, s[20:21]
	v_cndmask_b32_e64 v63, v55, v59, s[22:23]
	v_cndmask_b32_e64 v55, v59, v55, s[22:23]
	v_cmp_lt_i32_e64 s[24:25], v58, v62
	v_cmp_lt_i32_e64 s[26:27], v56, v61
	v_cmp_lt_i32_e64 s[28:29], v55, v60
	v_cmp_lt_i32_e64 s[30:31], v57, v63
	v_cndmask_b32_e64 v59, v62, v58, s[24:25]
	v_cndmask_b32_e64 v58, v58, v62, s[24:25]
	v_cndmask_b32_e64 v62, v56, v61, s[26:27]
	v_cndmask_b32_e64 v56, v61, v56, s[26:27]
	v_cndmask_b32_e64 v61, v55, v60, s[28:29]
	v_cndmask_b32_e64 v55, v60, v55, s[28:29]
	v_cndmask_b32_e64 v60, v57, v63, s[30:31]
	v_cndmask_b32_e64 v57, v63, v57, s[30:31]
	v_cmp_lt_i32_e64 s[34:35], v56, v58
	v_cmp_lt_i32_e64 s[36:37], v55, v62
	v_cmp_lt_i32_e64 s[38:39], v57, v61
	v_cndmask_b32_e64 v63, v56, v58, s[34:35]
	v_cndmask_b32_e64 v56, v58, v56, s[34:35]
	v_cndmask_b32_e64 v58, v55, v62, s[36:37]
	v_cndmask_b32_e64 v55, v62, v55, s[36:37]
	v_cndmask_b32_e64 v62, v57, v61, s[38:39]
	v_cndmask_b32_e64 v57, v61, v57, s[38:39]
	;; [unrolled: 21-line block ×3, first 2 shown]
	v_cmp_lt_i32_e64 s[54:55], v55, v61
	v_cmp_lt_i32_e64 s[56:57], v57, v62
	v_cmp_lt_i32_e64 s[58:59], v60, v56
	v_cndmask_b32_e64 v63, v61, v55, s[54:55]
	v_cndmask_b32_e64 v55, v55, v61, s[54:55]
	;; [unrolled: 1-line block ×6, first 2 shown]
	v_cmp_lt_i32_e64 s[60:61], v58, v59
	v_cndmask_b32_e64 v60, v58, v59, s[60:61]
	v_cndmask_b32_e64 v58, v59, v58, s[60:61]
	v_cmp_lt_i32_e64 s[62:63], v57, v55
	v_cmp_lt_i32_e64 s[64:65], v56, v61
	v_cndmask_b32_e64 v59, v57, v55, s[62:63]
	v_cndmask_b32_e64 v55, v55, v57, s[62:63]
	;; [unrolled: 1-line block ×3, first 2 shown]
	v_cmp_lt_i32_e64 s[66:67], v58, v62
	v_cndmask_b32_e64 v56, v61, v56, s[64:65]
	v_cndmask_b32_e64 v61, v58, v62, s[66:67]
	v_cndmask_b32_e64 v58, v62, v58, s[66:67]
	; wave barrier
	ds_write2_b32 v40, v63, v55 offset1:1
	ds_write2_b32 v40, v59, v56 offset0:2 offset1:3
	ds_write2_b32 v40, v57, v58 offset0:4 offset1:5
	;; [unrolled: 1-line block ×3, first 2 shown]
	v_mov_b32_e32 v57, v16
	s_waitcnt lgkmcnt(0)
	; wave barrier
	s_and_saveexec_b64 s[70:71], vcc
	s_cbranch_execz .LBB9_6
; %bb.3:                                ;   in Loop: Header=BB9_2 Depth=1
	s_mov_b64 s[72:73], 0
	v_mov_b32_e32 v57, v16
	v_mov_b32_e32 v55, v17
.LBB9_4:                                ;   Parent Loop BB9_2 Depth=1
                                        ; =>  This Inner Loop Header: Depth=2
	v_sub_u32_e32 v56, v55, v57
	v_lshrrev_b32_e32 v56, 1, v56
	v_add_u32_e32 v56, v56, v57
	v_not_b32_e32 v59, v56
	v_lshl_add_u32 v58, v56, 2, v41
	v_lshl_add_u32 v59, v59, 2, v31
	ds_read_b32 v58, v58
	ds_read_b32 v59, v59
	v_add_u32_e32 v60, 1, v56
	s_waitcnt lgkmcnt(0)
	v_cmp_lt_i32_e64 s[68:69], v59, v58
	v_cndmask_b32_e64 v55, v55, v56, s[68:69]
	v_cndmask_b32_e64 v57, v60, v57, s[68:69]
	v_cmp_ge_i32_e64 s[68:69], v57, v55
	s_or_b64 s[72:73], s[68:69], s[72:73]
	s_andn2_b64 exec, exec, s[72:73]
	s_cbranch_execnz .LBB9_4
; %bb.5:                                ;   in Loop: Header=BB9_2 Depth=1
	s_or_b64 exec, exec, s[72:73]
.LBB9_6:                                ;   in Loop: Header=BB9_2 Depth=1
	s_or_b64 exec, exec, s[70:71]
	v_sub_u32_e32 v55, v30, v57
	v_lshl_add_u32 v60, v57, 2, v41
	v_lshlrev_b32_e32 v61, 2, v55
	ds_read_b32 v56, v60
	ds_read_b32 v58, v61
	v_add_u32_e32 v57, v57, v1
	v_cmp_le_i32_e64 s[70:71], v2, v57
	v_cmp_gt_i32_e64 s[68:69], v3, v55
                                        ; implicit-def: $vgpr59
	s_waitcnt lgkmcnt(0)
	v_cmp_lt_i32_e64 s[72:73], v58, v56
	s_or_b64 s[70:71], s[70:71], s[72:73]
	s_and_b64 s[68:69], s[68:69], s[70:71]
	s_xor_b64 s[70:71], s[68:69], -1
	s_and_saveexec_b64 s[72:73], s[70:71]
	s_xor_b64 s[70:71], exec, s[72:73]
; %bb.7:                                ;   in Loop: Header=BB9_2 Depth=1
	ds_read_b32 v59, v60 offset:4
                                        ; implicit-def: $vgpr61
; %bb.8:                                ;   in Loop: Header=BB9_2 Depth=1
	s_or_saveexec_b64 s[70:71], s[70:71]
	v_mov_b32_e32 v60, v58
	s_xor_b64 exec, exec, s[70:71]
	s_cbranch_execz .LBB9_10
; %bb.9:                                ;   in Loop: Header=BB9_2 Depth=1
	ds_read_b32 v60, v61 offset:4
	s_waitcnt lgkmcnt(1)
	v_mov_b32_e32 v59, v56
.LBB9_10:                               ;   in Loop: Header=BB9_2 Depth=1
	s_or_b64 exec, exec, s[70:71]
	v_add_u32_e32 v62, 1, v57
	v_add_u32_e32 v61, 1, v55
	v_cndmask_b32_e64 v62, v62, v57, s[68:69]
	v_cndmask_b32_e64 v61, v55, v61, s[68:69]
	v_cmp_ge_i32_e64 s[72:73], v62, v2
	s_waitcnt lgkmcnt(0)
	v_cmp_lt_i32_e64 s[74:75], v60, v59
	v_cmp_lt_i32_e64 s[70:71], v61, v3
	s_or_b64 s[72:73], s[72:73], s[74:75]
	s_and_b64 s[70:71], s[70:71], s[72:73]
	s_xor_b64 s[72:73], s[70:71], -1
                                        ; implicit-def: $vgpr63
	s_and_saveexec_b64 s[74:75], s[72:73]
	s_xor_b64 s[72:73], exec, s[74:75]
; %bb.11:                               ;   in Loop: Header=BB9_2 Depth=1
	v_lshlrev_b32_e32 v63, 2, v62
	ds_read_b32 v63, v63 offset:4
; %bb.12:                               ;   in Loop: Header=BB9_2 Depth=1
	s_or_saveexec_b64 s[72:73], s[72:73]
	v_mov_b32_e32 v64, v60
	s_xor_b64 exec, exec, s[72:73]
	s_cbranch_execz .LBB9_14
; %bb.13:                               ;   in Loop: Header=BB9_2 Depth=1
	s_waitcnt lgkmcnt(0)
	v_lshlrev_b32_e32 v63, 2, v61
	ds_read_b32 v64, v63 offset:4
	v_mov_b32_e32 v63, v59
.LBB9_14:                               ;   in Loop: Header=BB9_2 Depth=1
	s_or_b64 exec, exec, s[72:73]
	v_add_u32_e32 v66, 1, v62
	v_add_u32_e32 v65, 1, v61
	v_cndmask_b32_e64 v66, v66, v62, s[70:71]
	v_cndmask_b32_e64 v65, v61, v65, s[70:71]
	v_cmp_ge_i32_e64 s[74:75], v66, v2
	s_waitcnt lgkmcnt(0)
	v_cmp_lt_i32_e64 s[76:77], v64, v63
	v_cmp_lt_i32_e64 s[72:73], v65, v3
	s_or_b64 s[74:75], s[74:75], s[76:77]
	s_and_b64 s[72:73], s[72:73], s[74:75]
	s_xor_b64 s[74:75], s[72:73], -1
                                        ; implicit-def: $vgpr67
	s_and_saveexec_b64 s[76:77], s[74:75]
	s_xor_b64 s[74:75], exec, s[76:77]
; %bb.15:                               ;   in Loop: Header=BB9_2 Depth=1
	v_lshlrev_b32_e32 v67, 2, v66
	ds_read_b32 v67, v67 offset:4
; %bb.16:                               ;   in Loop: Header=BB9_2 Depth=1
	s_or_saveexec_b64 s[74:75], s[74:75]
	v_mov_b32_e32 v68, v64
	s_xor_b64 exec, exec, s[74:75]
	s_cbranch_execz .LBB9_18
; %bb.17:                               ;   in Loop: Header=BB9_2 Depth=1
	s_waitcnt lgkmcnt(0)
	v_lshlrev_b32_e32 v67, 2, v65
	ds_read_b32 v68, v67 offset:4
	v_mov_b32_e32 v67, v63
.LBB9_18:                               ;   in Loop: Header=BB9_2 Depth=1
	s_or_b64 exec, exec, s[74:75]
	v_add_u32_e32 v70, 1, v66
	v_add_u32_e32 v69, 1, v65
	v_cndmask_b32_e64 v70, v70, v66, s[72:73]
	v_cndmask_b32_e64 v69, v65, v69, s[72:73]
	v_cmp_ge_i32_e64 s[76:77], v70, v2
	s_waitcnt lgkmcnt(0)
	v_cmp_lt_i32_e64 s[78:79], v68, v67
	v_cmp_lt_i32_e64 s[74:75], v69, v3
	s_or_b64 s[76:77], s[76:77], s[78:79]
	s_and_b64 s[74:75], s[74:75], s[76:77]
	s_xor_b64 s[76:77], s[74:75], -1
                                        ; implicit-def: $vgpr71
	s_and_saveexec_b64 s[78:79], s[76:77]
	s_xor_b64 s[76:77], exec, s[78:79]
; %bb.19:                               ;   in Loop: Header=BB9_2 Depth=1
	v_lshlrev_b32_e32 v71, 2, v70
	ds_read_b32 v71, v71 offset:4
; %bb.20:                               ;   in Loop: Header=BB9_2 Depth=1
	s_or_saveexec_b64 s[76:77], s[76:77]
	v_mov_b32_e32 v72, v68
	s_xor_b64 exec, exec, s[76:77]
	s_cbranch_execz .LBB9_22
; %bb.21:                               ;   in Loop: Header=BB9_2 Depth=1
	s_waitcnt lgkmcnt(0)
	v_lshlrev_b32_e32 v71, 2, v69
	ds_read_b32 v72, v71 offset:4
	v_mov_b32_e32 v71, v67
.LBB9_22:                               ;   in Loop: Header=BB9_2 Depth=1
	s_or_b64 exec, exec, s[76:77]
	v_add_u32_e32 v74, 1, v70
	v_add_u32_e32 v73, 1, v69
	v_cndmask_b32_e64 v74, v74, v70, s[74:75]
	v_cndmask_b32_e64 v73, v69, v73, s[74:75]
	v_cmp_ge_i32_e64 s[78:79], v74, v2
	s_waitcnt lgkmcnt(0)
	v_cmp_lt_i32_e64 s[80:81], v72, v71
	v_cmp_lt_i32_e64 s[76:77], v73, v3
	s_or_b64 s[78:79], s[78:79], s[80:81]
	s_and_b64 s[76:77], s[76:77], s[78:79]
	s_xor_b64 s[78:79], s[76:77], -1
                                        ; implicit-def: $vgpr75
	s_and_saveexec_b64 s[80:81], s[78:79]
	s_xor_b64 s[78:79], exec, s[80:81]
; %bb.23:                               ;   in Loop: Header=BB9_2 Depth=1
	v_lshlrev_b32_e32 v75, 2, v74
	ds_read_b32 v75, v75 offset:4
; %bb.24:                               ;   in Loop: Header=BB9_2 Depth=1
	s_or_saveexec_b64 s[78:79], s[78:79]
	v_mov_b32_e32 v77, v72
	s_xor_b64 exec, exec, s[78:79]
	s_cbranch_execz .LBB9_26
; %bb.25:                               ;   in Loop: Header=BB9_2 Depth=1
	s_waitcnt lgkmcnt(0)
	v_lshlrev_b32_e32 v75, 2, v73
	ds_read_b32 v77, v75 offset:4
	v_mov_b32_e32 v75, v71
.LBB9_26:                               ;   in Loop: Header=BB9_2 Depth=1
	s_or_b64 exec, exec, s[78:79]
	v_add_u32_e32 v78, 1, v74
	v_add_u32_e32 v76, 1, v73
	v_cndmask_b32_e64 v80, v78, v74, s[76:77]
	v_cndmask_b32_e64 v79, v73, v76, s[76:77]
	v_cmp_ge_i32_e64 s[80:81], v80, v2
	s_waitcnt lgkmcnt(0)
	v_cmp_lt_i32_e64 s[82:83], v77, v75
	v_cmp_lt_i32_e64 s[78:79], v79, v3
	s_or_b64 s[80:81], s[80:81], s[82:83]
	s_and_b64 s[78:79], s[78:79], s[80:81]
	s_xor_b64 s[80:81], s[78:79], -1
                                        ; implicit-def: $vgpr81
	s_and_saveexec_b64 s[82:83], s[80:81]
	s_xor_b64 s[80:81], exec, s[82:83]
; %bb.27:                               ;   in Loop: Header=BB9_2 Depth=1
	v_lshlrev_b32_e32 v76, 2, v80
	ds_read_b32 v81, v76 offset:4
; %bb.28:                               ;   in Loop: Header=BB9_2 Depth=1
	s_or_saveexec_b64 s[80:81], s[80:81]
	v_mov_b32_e32 v82, v77
	s_xor_b64 exec, exec, s[80:81]
	s_cbranch_execz .LBB9_30
; %bb.29:                               ;   in Loop: Header=BB9_2 Depth=1
	v_lshlrev_b32_e32 v76, 2, v79
	ds_read_b32 v82, v76 offset:4
	s_waitcnt lgkmcnt(1)
	v_mov_b32_e32 v81, v75
.LBB9_30:                               ;   in Loop: Header=BB9_2 Depth=1
	s_or_b64 exec, exec, s[80:81]
	v_add_u32_e32 v78, 1, v80
	v_add_u32_e32 v76, 1, v79
	v_cndmask_b32_e64 v84, v78, v80, s[78:79]
	v_cndmask_b32_e64 v83, v79, v76, s[78:79]
	v_cmp_ge_i32_e64 s[82:83], v84, v2
	s_waitcnt lgkmcnt(0)
	v_cmp_lt_i32_e64 s[84:85], v82, v81
	v_cmp_lt_i32_e64 s[80:81], v83, v3
	s_or_b64 s[82:83], s[82:83], s[84:85]
	s_and_b64 s[80:81], s[80:81], s[82:83]
	s_xor_b64 s[82:83], s[80:81], -1
                                        ; implicit-def: $vgpr76
	s_and_saveexec_b64 s[84:85], s[82:83]
	s_xor_b64 s[82:83], exec, s[84:85]
; %bb.31:                               ;   in Loop: Header=BB9_2 Depth=1
	v_lshlrev_b32_e32 v76, 2, v84
	ds_read_b32 v76, v76 offset:4
; %bb.32:                               ;   in Loop: Header=BB9_2 Depth=1
	s_or_saveexec_b64 s[82:83], s[82:83]
	v_mov_b32_e32 v78, v82
	s_xor_b64 exec, exec, s[82:83]
	s_cbranch_execz .LBB9_34
; %bb.33:                               ;   in Loop: Header=BB9_2 Depth=1
	s_waitcnt lgkmcnt(0)
	v_lshlrev_b32_e32 v76, 2, v83
	ds_read_b32 v78, v76 offset:4
	v_mov_b32_e32 v76, v81
.LBB9_34:                               ;   in Loop: Header=BB9_2 Depth=1
	s_or_b64 exec, exec, s[82:83]
	v_cndmask_b32_e64 v55, v57, v55, s[68:69]
	v_cndmask_b32_e64 v57, v47, v51, s[10:11]
	;; [unrolled: 1-line block ×15, first 2 shown]
	v_add_u32_e32 v85, 1, v84
	v_cndmask_b32_e64 v52, v57, v47, s[24:25]
	v_cndmask_b32_e64 v47, v47, v57, s[24:25]
	;; [unrolled: 1-line block ×9, first 2 shown]
	v_add_u32_e32 v82, 1, v83
	v_cndmask_b32_e64 v85, v85, v84, s[80:81]
	v_cndmask_b32_e64 v53, v49, v47, s[34:35]
	;; [unrolled: 1-line block ×16, first 2 shown]
	v_cmp_ge_i32_e64 s[12:13], v85, v2
	s_waitcnt lgkmcnt(0)
	v_cmp_lt_i32_e64 s[14:15], v78, v76
	v_cndmask_b32_e64 v57, v48, v47, s[48:49]
	v_cndmask_b32_e64 v47, v47, v48, s[48:49]
	;; [unrolled: 1-line block ×6, first 2 shown]
	v_cmp_lt_i32_e64 s[10:11], v82, v3
	s_or_b64 s[12:13], s[12:13], s[14:15]
	v_cndmask_b32_e64 v53, v54, v47, s[54:55]
	v_cndmask_b32_e64 v47, v47, v54, s[54:55]
	;; [unrolled: 1-line block ×8, first 2 shown]
	s_and_b64 s[10:11], s[10:11], s[12:13]
	v_cndmask_b32_e64 v83, v84, v83, s[80:81]
	v_cndmask_b32_e64 v75, v75, v77, s[78:79]
	;; [unrolled: 1-line block ×19, first 2 shown]
	; wave barrier
	ds_write2_b32 v40, v53, v47 offset1:1
	ds_write2_b32 v40, v52, v48 offset0:2 offset1:3
	ds_write2_b32 v40, v49, v51 offset0:4 offset1:5
	;; [unrolled: 1-line block ×3, first 2 shown]
	v_lshlrev_b32_e32 v47, 2, v55
	v_lshlrev_b32_e32 v48, 2, v60
	;; [unrolled: 1-line block ×8, first 2 shown]
	s_waitcnt lgkmcnt(0)
	; wave barrier
	ds_read_b32 v47, v47
	ds_read_b32 v48, v48
	;; [unrolled: 1-line block ×8, first 2 shown]
	v_cndmask_b32_e64 v57, v76, v78, s[10:11]
	s_waitcnt lgkmcnt(0)
	; wave barrier
	ds_write2_b32 v40, v56, v59 offset1:1
	ds_write2_b32 v40, v63, v67 offset0:2 offset1:3
	ds_write2_b32 v40, v71, v75 offset0:4 offset1:5
	;; [unrolled: 1-line block ×3, first 2 shown]
	v_mov_b32_e32 v57, v18
	s_waitcnt lgkmcnt(0)
	; wave barrier
	s_and_saveexec_b64 s[12:13], s[0:1]
	s_cbranch_execz .LBB9_38
; %bb.35:                               ;   in Loop: Header=BB9_2 Depth=1
	s_mov_b64 s[14:15], 0
	v_mov_b32_e32 v57, v18
	v_mov_b32_e32 v55, v19
.LBB9_36:                               ;   Parent Loop BB9_2 Depth=1
                                        ; =>  This Inner Loop Header: Depth=2
	v_sub_u32_e32 v56, v55, v57
	v_lshrrev_b32_e32 v56, 1, v56
	v_add_u32_e32 v56, v56, v57
	v_not_b32_e32 v59, v56
	v_lshl_add_u32 v58, v56, 2, v42
	v_lshl_add_u32 v59, v59, 2, v33
	ds_read_b32 v58, v58
	ds_read_b32 v59, v59
	v_add_u32_e32 v60, 1, v56
	s_waitcnt lgkmcnt(0)
	v_cmp_lt_i32_e64 s[10:11], v59, v58
	v_cndmask_b32_e64 v55, v55, v56, s[10:11]
	v_cndmask_b32_e64 v57, v60, v57, s[10:11]
	v_cmp_ge_i32_e64 s[10:11], v57, v55
	s_or_b64 s[14:15], s[10:11], s[14:15]
	s_andn2_b64 exec, exec, s[14:15]
	s_cbranch_execnz .LBB9_36
; %bb.37:                               ;   in Loop: Header=BB9_2 Depth=1
	s_or_b64 exec, exec, s[14:15]
.LBB9_38:                               ;   in Loop: Header=BB9_2 Depth=1
	s_or_b64 exec, exec, s[12:13]
	v_sub_u32_e32 v55, v32, v57
	v_lshl_add_u32 v60, v57, 2, v42
	v_lshlrev_b32_e32 v61, 2, v55
	ds_read_b32 v56, v60
	ds_read_b32 v58, v61
	v_add_u32_e32 v57, v57, v4
	v_cmp_le_i32_e64 s[12:13], v5, v57
	v_cmp_gt_i32_e64 s[10:11], v6, v55
                                        ; implicit-def: $vgpr59
	s_waitcnt lgkmcnt(0)
	v_cmp_lt_i32_e64 s[14:15], v58, v56
	s_or_b64 s[12:13], s[12:13], s[14:15]
	s_and_b64 s[10:11], s[10:11], s[12:13]
	s_xor_b64 s[12:13], s[10:11], -1
	s_and_saveexec_b64 s[14:15], s[12:13]
	s_xor_b64 s[12:13], exec, s[14:15]
; %bb.39:                               ;   in Loop: Header=BB9_2 Depth=1
	ds_read_b32 v59, v60 offset:4
                                        ; implicit-def: $vgpr61
; %bb.40:                               ;   in Loop: Header=BB9_2 Depth=1
	s_or_saveexec_b64 s[12:13], s[12:13]
	v_mov_b32_e32 v60, v58
	s_xor_b64 exec, exec, s[12:13]
	s_cbranch_execz .LBB9_42
; %bb.41:                               ;   in Loop: Header=BB9_2 Depth=1
	ds_read_b32 v60, v61 offset:4
	s_waitcnt lgkmcnt(1)
	v_mov_b32_e32 v59, v56
.LBB9_42:                               ;   in Loop: Header=BB9_2 Depth=1
	s_or_b64 exec, exec, s[12:13]
	v_add_u32_e32 v62, 1, v57
	v_add_u32_e32 v61, 1, v55
	v_cndmask_b32_e64 v62, v62, v57, s[10:11]
	v_cndmask_b32_e64 v61, v55, v61, s[10:11]
	v_cmp_ge_i32_e64 s[14:15], v62, v5
	s_waitcnt lgkmcnt(0)
	v_cmp_lt_i32_e64 s[16:17], v60, v59
	v_cmp_lt_i32_e64 s[12:13], v61, v6
	s_or_b64 s[14:15], s[14:15], s[16:17]
	s_and_b64 s[12:13], s[12:13], s[14:15]
	s_xor_b64 s[14:15], s[12:13], -1
                                        ; implicit-def: $vgpr63
	s_and_saveexec_b64 s[16:17], s[14:15]
	s_xor_b64 s[14:15], exec, s[16:17]
; %bb.43:                               ;   in Loop: Header=BB9_2 Depth=1
	v_lshlrev_b32_e32 v63, 2, v62
	ds_read_b32 v63, v63 offset:4
; %bb.44:                               ;   in Loop: Header=BB9_2 Depth=1
	s_or_saveexec_b64 s[14:15], s[14:15]
	v_mov_b32_e32 v64, v60
	s_xor_b64 exec, exec, s[14:15]
	s_cbranch_execz .LBB9_46
; %bb.45:                               ;   in Loop: Header=BB9_2 Depth=1
	s_waitcnt lgkmcnt(0)
	v_lshlrev_b32_e32 v63, 2, v61
	ds_read_b32 v64, v63 offset:4
	v_mov_b32_e32 v63, v59
.LBB9_46:                               ;   in Loop: Header=BB9_2 Depth=1
	s_or_b64 exec, exec, s[14:15]
	v_add_u32_e32 v66, 1, v62
	v_add_u32_e32 v65, 1, v61
	v_cndmask_b32_e64 v66, v66, v62, s[12:13]
	v_cndmask_b32_e64 v65, v61, v65, s[12:13]
	v_cmp_ge_i32_e64 s[16:17], v66, v5
	s_waitcnt lgkmcnt(0)
	v_cmp_lt_i32_e64 s[18:19], v64, v63
	v_cmp_lt_i32_e64 s[14:15], v65, v6
	s_or_b64 s[16:17], s[16:17], s[18:19]
	s_and_b64 s[14:15], s[14:15], s[16:17]
	s_xor_b64 s[16:17], s[14:15], -1
                                        ; implicit-def: $vgpr67
	s_and_saveexec_b64 s[18:19], s[16:17]
	s_xor_b64 s[16:17], exec, s[18:19]
; %bb.47:                               ;   in Loop: Header=BB9_2 Depth=1
	v_lshlrev_b32_e32 v67, 2, v66
	ds_read_b32 v67, v67 offset:4
; %bb.48:                               ;   in Loop: Header=BB9_2 Depth=1
	s_or_saveexec_b64 s[16:17], s[16:17]
	v_mov_b32_e32 v68, v64
	s_xor_b64 exec, exec, s[16:17]
	s_cbranch_execz .LBB9_50
; %bb.49:                               ;   in Loop: Header=BB9_2 Depth=1
	s_waitcnt lgkmcnt(0)
	v_lshlrev_b32_e32 v67, 2, v65
	ds_read_b32 v68, v67 offset:4
	v_mov_b32_e32 v67, v63
.LBB9_50:                               ;   in Loop: Header=BB9_2 Depth=1
	s_or_b64 exec, exec, s[16:17]
	v_add_u32_e32 v70, 1, v66
	v_add_u32_e32 v69, 1, v65
	v_cndmask_b32_e64 v70, v70, v66, s[14:15]
	v_cndmask_b32_e64 v69, v65, v69, s[14:15]
	v_cmp_ge_i32_e64 s[18:19], v70, v5
	s_waitcnt lgkmcnt(0)
	v_cmp_lt_i32_e64 s[20:21], v68, v67
	v_cmp_lt_i32_e64 s[16:17], v69, v6
	s_or_b64 s[18:19], s[18:19], s[20:21]
	s_and_b64 s[16:17], s[16:17], s[18:19]
	s_xor_b64 s[18:19], s[16:17], -1
                                        ; implicit-def: $vgpr71
	s_and_saveexec_b64 s[20:21], s[18:19]
	s_xor_b64 s[18:19], exec, s[20:21]
; %bb.51:                               ;   in Loop: Header=BB9_2 Depth=1
	v_lshlrev_b32_e32 v71, 2, v70
	ds_read_b32 v71, v71 offset:4
; %bb.52:                               ;   in Loop: Header=BB9_2 Depth=1
	s_or_saveexec_b64 s[18:19], s[18:19]
	v_mov_b32_e32 v72, v68
	s_xor_b64 exec, exec, s[18:19]
	s_cbranch_execz .LBB9_54
; %bb.53:                               ;   in Loop: Header=BB9_2 Depth=1
	s_waitcnt lgkmcnt(0)
	v_lshlrev_b32_e32 v71, 2, v69
	ds_read_b32 v72, v71 offset:4
	v_mov_b32_e32 v71, v67
.LBB9_54:                               ;   in Loop: Header=BB9_2 Depth=1
	s_or_b64 exec, exec, s[18:19]
	v_add_u32_e32 v74, 1, v70
	v_add_u32_e32 v73, 1, v69
	v_cndmask_b32_e64 v74, v74, v70, s[16:17]
	v_cndmask_b32_e64 v73, v69, v73, s[16:17]
	v_cmp_ge_i32_e64 s[20:21], v74, v5
	s_waitcnt lgkmcnt(0)
	v_cmp_lt_i32_e64 s[22:23], v72, v71
	v_cmp_lt_i32_e64 s[18:19], v73, v6
	s_or_b64 s[20:21], s[20:21], s[22:23]
	s_and_b64 s[18:19], s[18:19], s[20:21]
	s_xor_b64 s[20:21], s[18:19], -1
                                        ; implicit-def: $vgpr75
	s_and_saveexec_b64 s[22:23], s[20:21]
	s_xor_b64 s[20:21], exec, s[22:23]
; %bb.55:                               ;   in Loop: Header=BB9_2 Depth=1
	v_lshlrev_b32_e32 v75, 2, v74
	ds_read_b32 v75, v75 offset:4
; %bb.56:                               ;   in Loop: Header=BB9_2 Depth=1
	s_or_saveexec_b64 s[20:21], s[20:21]
	v_mov_b32_e32 v76, v72
	s_xor_b64 exec, exec, s[20:21]
	s_cbranch_execz .LBB9_58
; %bb.57:                               ;   in Loop: Header=BB9_2 Depth=1
	s_waitcnt lgkmcnt(0)
	v_lshlrev_b32_e32 v75, 2, v73
	ds_read_b32 v76, v75 offset:4
	v_mov_b32_e32 v75, v71
.LBB9_58:                               ;   in Loop: Header=BB9_2 Depth=1
	s_or_b64 exec, exec, s[20:21]
	v_add_u32_e32 v78, 1, v74
	v_add_u32_e32 v77, 1, v73
	v_cndmask_b32_e64 v78, v78, v74, s[18:19]
	v_cndmask_b32_e64 v77, v73, v77, s[18:19]
	v_cmp_ge_i32_e64 s[22:23], v78, v5
	s_waitcnt lgkmcnt(0)
	v_cmp_lt_i32_e64 s[24:25], v76, v75
	v_cmp_lt_i32_e64 s[20:21], v77, v6
	s_or_b64 s[22:23], s[22:23], s[24:25]
	s_and_b64 s[20:21], s[20:21], s[22:23]
	s_xor_b64 s[22:23], s[20:21], -1
                                        ; implicit-def: $vgpr79
	s_and_saveexec_b64 s[24:25], s[22:23]
	s_xor_b64 s[22:23], exec, s[24:25]
; %bb.59:                               ;   in Loop: Header=BB9_2 Depth=1
	v_lshlrev_b32_e32 v79, 2, v78
	ds_read_b32 v79, v79 offset:4
; %bb.60:                               ;   in Loop: Header=BB9_2 Depth=1
	s_or_saveexec_b64 s[22:23], s[22:23]
	v_mov_b32_e32 v80, v76
	s_xor_b64 exec, exec, s[22:23]
	s_cbranch_execz .LBB9_62
; %bb.61:                               ;   in Loop: Header=BB9_2 Depth=1
	s_waitcnt lgkmcnt(0)
	v_lshlrev_b32_e32 v79, 2, v77
	ds_read_b32 v80, v79 offset:4
	v_mov_b32_e32 v79, v75
.LBB9_62:                               ;   in Loop: Header=BB9_2 Depth=1
	s_or_b64 exec, exec, s[22:23]
	v_add_u32_e32 v83, 1, v78
	v_add_u32_e32 v81, 1, v77
	v_cndmask_b32_e64 v83, v83, v78, s[20:21]
	v_cndmask_b32_e64 v82, v77, v81, s[20:21]
	v_cmp_ge_i32_e64 s[24:25], v83, v5
	s_waitcnt lgkmcnt(0)
	v_cmp_lt_i32_e64 s[26:27], v80, v79
	v_cmp_lt_i32_e64 s[22:23], v82, v6
	s_or_b64 s[24:25], s[24:25], s[26:27]
	s_and_b64 s[22:23], s[22:23], s[24:25]
	s_xor_b64 s[24:25], s[22:23], -1
                                        ; implicit-def: $vgpr81
	s_and_saveexec_b64 s[26:27], s[24:25]
	s_xor_b64 s[24:25], exec, s[26:27]
; %bb.63:                               ;   in Loop: Header=BB9_2 Depth=1
	v_lshlrev_b32_e32 v81, 2, v83
	ds_read_b32 v81, v81 offset:4
; %bb.64:                               ;   in Loop: Header=BB9_2 Depth=1
	s_or_saveexec_b64 s[24:25], s[24:25]
	v_mov_b32_e32 v84, v80
	s_xor_b64 exec, exec, s[24:25]
	s_cbranch_execz .LBB9_66
; %bb.65:                               ;   in Loop: Header=BB9_2 Depth=1
	s_waitcnt lgkmcnt(0)
	v_lshlrev_b32_e32 v81, 2, v82
	ds_read_b32 v84, v81 offset:4
	v_mov_b32_e32 v81, v79
.LBB9_66:                               ;   in Loop: Header=BB9_2 Depth=1
	s_or_b64 exec, exec, s[24:25]
	v_add_u32_e32 v85, 1, v83
	v_cndmask_b32_e64 v79, v79, v80, s[22:23]
	v_add_u32_e32 v80, 1, v82
	v_cndmask_b32_e64 v85, v85, v83, s[22:23]
	v_cndmask_b32_e64 v80, v82, v80, s[22:23]
	;; [unrolled: 1-line block ×6, first 2 shown]
	v_cmp_ge_i32_e64 s[12:13], v85, v5
	s_waitcnt lgkmcnt(0)
	v_cmp_lt_i32_e64 s[14:15], v84, v81
	v_cndmask_b32_e64 v56, v56, v58, s[10:11]
	v_cndmask_b32_e64 v55, v57, v55, s[10:11]
	v_cmp_lt_i32_e64 s[10:11], v80, v6
	s_or_b64 s[12:13], s[12:13], s[14:15]
	s_and_b64 s[10:11], s[10:11], s[12:13]
	v_cndmask_b32_e64 v82, v83, v82, s[22:23]
	v_cndmask_b32_e64 v75, v75, v76, s[20:21]
	;; [unrolled: 1-line block ×8, first 2 shown]
	; wave barrier
	ds_write2_b32 v40, v47, v48 offset1:1
	ds_write2_b32 v40, v49, v50 offset0:2 offset1:3
	ds_write2_b32 v40, v51, v52 offset0:4 offset1:5
	;; [unrolled: 1-line block ×3, first 2 shown]
	v_lshlrev_b32_e32 v47, 2, v55
	v_lshlrev_b32_e32 v48, 2, v60
	;; [unrolled: 1-line block ×8, first 2 shown]
	s_waitcnt lgkmcnt(0)
	; wave barrier
	ds_read_b32 v47, v47
	ds_read_b32 v48, v48
	;; [unrolled: 1-line block ×8, first 2 shown]
	v_cndmask_b32_e64 v57, v81, v84, s[10:11]
	s_waitcnt lgkmcnt(0)
	; wave barrier
	ds_write2_b32 v40, v56, v59 offset1:1
	ds_write2_b32 v40, v63, v67 offset0:2 offset1:3
	ds_write2_b32 v40, v71, v75 offset0:4 offset1:5
	;; [unrolled: 1-line block ×3, first 2 shown]
	v_mov_b32_e32 v57, v20
	s_waitcnt lgkmcnt(0)
	; wave barrier
	s_and_saveexec_b64 s[12:13], s[2:3]
	s_cbranch_execz .LBB9_70
; %bb.67:                               ;   in Loop: Header=BB9_2 Depth=1
	s_mov_b64 s[14:15], 0
	v_mov_b32_e32 v57, v20
	v_mov_b32_e32 v55, v21
.LBB9_68:                               ;   Parent Loop BB9_2 Depth=1
                                        ; =>  This Inner Loop Header: Depth=2
	v_sub_u32_e32 v56, v55, v57
	v_lshrrev_b32_e32 v56, 1, v56
	v_add_u32_e32 v56, v56, v57
	v_not_b32_e32 v59, v56
	v_lshl_add_u32 v58, v56, 2, v43
	v_lshl_add_u32 v59, v59, 2, v35
	ds_read_b32 v58, v58
	ds_read_b32 v59, v59
	v_add_u32_e32 v60, 1, v56
	s_waitcnt lgkmcnt(0)
	v_cmp_lt_i32_e64 s[10:11], v59, v58
	v_cndmask_b32_e64 v55, v55, v56, s[10:11]
	v_cndmask_b32_e64 v57, v60, v57, s[10:11]
	v_cmp_ge_i32_e64 s[10:11], v57, v55
	s_or_b64 s[14:15], s[10:11], s[14:15]
	s_andn2_b64 exec, exec, s[14:15]
	s_cbranch_execnz .LBB9_68
; %bb.69:                               ;   in Loop: Header=BB9_2 Depth=1
	s_or_b64 exec, exec, s[14:15]
.LBB9_70:                               ;   in Loop: Header=BB9_2 Depth=1
	s_or_b64 exec, exec, s[12:13]
	v_sub_u32_e32 v55, v34, v57
	v_lshl_add_u32 v60, v57, 2, v43
	v_lshlrev_b32_e32 v61, 2, v55
	ds_read_b32 v56, v60
	ds_read_b32 v58, v61
	v_add_u32_e32 v57, v57, v7
	v_cmp_le_i32_e64 s[12:13], v8, v57
	v_cmp_gt_i32_e64 s[10:11], v9, v55
                                        ; implicit-def: $vgpr59
	s_waitcnt lgkmcnt(0)
	v_cmp_lt_i32_e64 s[14:15], v58, v56
	s_or_b64 s[12:13], s[12:13], s[14:15]
	s_and_b64 s[10:11], s[10:11], s[12:13]
	s_xor_b64 s[12:13], s[10:11], -1
	s_and_saveexec_b64 s[14:15], s[12:13]
	s_xor_b64 s[12:13], exec, s[14:15]
; %bb.71:                               ;   in Loop: Header=BB9_2 Depth=1
	ds_read_b32 v59, v60 offset:4
                                        ; implicit-def: $vgpr61
; %bb.72:                               ;   in Loop: Header=BB9_2 Depth=1
	s_or_saveexec_b64 s[12:13], s[12:13]
	v_mov_b32_e32 v60, v58
	s_xor_b64 exec, exec, s[12:13]
	s_cbranch_execz .LBB9_74
; %bb.73:                               ;   in Loop: Header=BB9_2 Depth=1
	ds_read_b32 v60, v61 offset:4
	s_waitcnt lgkmcnt(1)
	v_mov_b32_e32 v59, v56
.LBB9_74:                               ;   in Loop: Header=BB9_2 Depth=1
	s_or_b64 exec, exec, s[12:13]
	v_add_u32_e32 v62, 1, v57
	v_add_u32_e32 v61, 1, v55
	v_cndmask_b32_e64 v62, v62, v57, s[10:11]
	v_cndmask_b32_e64 v61, v55, v61, s[10:11]
	v_cmp_ge_i32_e64 s[14:15], v62, v8
	s_waitcnt lgkmcnt(0)
	v_cmp_lt_i32_e64 s[16:17], v60, v59
	v_cmp_lt_i32_e64 s[12:13], v61, v9
	s_or_b64 s[14:15], s[14:15], s[16:17]
	s_and_b64 s[12:13], s[12:13], s[14:15]
	s_xor_b64 s[14:15], s[12:13], -1
                                        ; implicit-def: $vgpr63
	s_and_saveexec_b64 s[16:17], s[14:15]
	s_xor_b64 s[14:15], exec, s[16:17]
; %bb.75:                               ;   in Loop: Header=BB9_2 Depth=1
	v_lshlrev_b32_e32 v63, 2, v62
	ds_read_b32 v63, v63 offset:4
; %bb.76:                               ;   in Loop: Header=BB9_2 Depth=1
	s_or_saveexec_b64 s[14:15], s[14:15]
	v_mov_b32_e32 v64, v60
	s_xor_b64 exec, exec, s[14:15]
	s_cbranch_execz .LBB9_78
; %bb.77:                               ;   in Loop: Header=BB9_2 Depth=1
	s_waitcnt lgkmcnt(0)
	v_lshlrev_b32_e32 v63, 2, v61
	ds_read_b32 v64, v63 offset:4
	v_mov_b32_e32 v63, v59
.LBB9_78:                               ;   in Loop: Header=BB9_2 Depth=1
	s_or_b64 exec, exec, s[14:15]
	v_add_u32_e32 v66, 1, v62
	v_add_u32_e32 v65, 1, v61
	v_cndmask_b32_e64 v66, v66, v62, s[12:13]
	v_cndmask_b32_e64 v65, v61, v65, s[12:13]
	v_cmp_ge_i32_e64 s[16:17], v66, v8
	s_waitcnt lgkmcnt(0)
	v_cmp_lt_i32_e64 s[18:19], v64, v63
	v_cmp_lt_i32_e64 s[14:15], v65, v9
	s_or_b64 s[16:17], s[16:17], s[18:19]
	s_and_b64 s[14:15], s[14:15], s[16:17]
	s_xor_b64 s[16:17], s[14:15], -1
                                        ; implicit-def: $vgpr67
	s_and_saveexec_b64 s[18:19], s[16:17]
	s_xor_b64 s[16:17], exec, s[18:19]
; %bb.79:                               ;   in Loop: Header=BB9_2 Depth=1
	v_lshlrev_b32_e32 v67, 2, v66
	ds_read_b32 v67, v67 offset:4
; %bb.80:                               ;   in Loop: Header=BB9_2 Depth=1
	s_or_saveexec_b64 s[16:17], s[16:17]
	v_mov_b32_e32 v68, v64
	s_xor_b64 exec, exec, s[16:17]
	s_cbranch_execz .LBB9_82
; %bb.81:                               ;   in Loop: Header=BB9_2 Depth=1
	s_waitcnt lgkmcnt(0)
	v_lshlrev_b32_e32 v67, 2, v65
	ds_read_b32 v68, v67 offset:4
	v_mov_b32_e32 v67, v63
.LBB9_82:                               ;   in Loop: Header=BB9_2 Depth=1
	s_or_b64 exec, exec, s[16:17]
	v_add_u32_e32 v70, 1, v66
	v_add_u32_e32 v69, 1, v65
	v_cndmask_b32_e64 v70, v70, v66, s[14:15]
	v_cndmask_b32_e64 v69, v65, v69, s[14:15]
	v_cmp_ge_i32_e64 s[18:19], v70, v8
	s_waitcnt lgkmcnt(0)
	v_cmp_lt_i32_e64 s[20:21], v68, v67
	v_cmp_lt_i32_e64 s[16:17], v69, v9
	s_or_b64 s[18:19], s[18:19], s[20:21]
	s_and_b64 s[16:17], s[16:17], s[18:19]
	s_xor_b64 s[18:19], s[16:17], -1
                                        ; implicit-def: $vgpr71
	s_and_saveexec_b64 s[20:21], s[18:19]
	s_xor_b64 s[18:19], exec, s[20:21]
; %bb.83:                               ;   in Loop: Header=BB9_2 Depth=1
	v_lshlrev_b32_e32 v71, 2, v70
	ds_read_b32 v71, v71 offset:4
; %bb.84:                               ;   in Loop: Header=BB9_2 Depth=1
	s_or_saveexec_b64 s[18:19], s[18:19]
	v_mov_b32_e32 v72, v68
	s_xor_b64 exec, exec, s[18:19]
	s_cbranch_execz .LBB9_86
; %bb.85:                               ;   in Loop: Header=BB9_2 Depth=1
	s_waitcnt lgkmcnt(0)
	v_lshlrev_b32_e32 v71, 2, v69
	ds_read_b32 v72, v71 offset:4
	v_mov_b32_e32 v71, v67
.LBB9_86:                               ;   in Loop: Header=BB9_2 Depth=1
	s_or_b64 exec, exec, s[18:19]
	v_add_u32_e32 v74, 1, v70
	v_add_u32_e32 v73, 1, v69
	v_cndmask_b32_e64 v74, v74, v70, s[16:17]
	v_cndmask_b32_e64 v73, v69, v73, s[16:17]
	v_cmp_ge_i32_e64 s[20:21], v74, v8
	s_waitcnt lgkmcnt(0)
	v_cmp_lt_i32_e64 s[22:23], v72, v71
	v_cmp_lt_i32_e64 s[18:19], v73, v9
	s_or_b64 s[20:21], s[20:21], s[22:23]
	s_and_b64 s[18:19], s[18:19], s[20:21]
	s_xor_b64 s[20:21], s[18:19], -1
                                        ; implicit-def: $vgpr75
	s_and_saveexec_b64 s[22:23], s[20:21]
	s_xor_b64 s[20:21], exec, s[22:23]
; %bb.87:                               ;   in Loop: Header=BB9_2 Depth=1
	v_lshlrev_b32_e32 v75, 2, v74
	ds_read_b32 v75, v75 offset:4
; %bb.88:                               ;   in Loop: Header=BB9_2 Depth=1
	s_or_saveexec_b64 s[20:21], s[20:21]
	v_mov_b32_e32 v76, v72
	s_xor_b64 exec, exec, s[20:21]
	s_cbranch_execz .LBB9_90
; %bb.89:                               ;   in Loop: Header=BB9_2 Depth=1
	s_waitcnt lgkmcnt(0)
	v_lshlrev_b32_e32 v75, 2, v73
	ds_read_b32 v76, v75 offset:4
	v_mov_b32_e32 v75, v71
.LBB9_90:                               ;   in Loop: Header=BB9_2 Depth=1
	s_or_b64 exec, exec, s[20:21]
	v_add_u32_e32 v78, 1, v74
	v_add_u32_e32 v77, 1, v73
	v_cndmask_b32_e64 v78, v78, v74, s[18:19]
	v_cndmask_b32_e64 v77, v73, v77, s[18:19]
	v_cmp_ge_i32_e64 s[22:23], v78, v8
	s_waitcnt lgkmcnt(0)
	v_cmp_lt_i32_e64 s[24:25], v76, v75
	v_cmp_lt_i32_e64 s[20:21], v77, v9
	s_or_b64 s[22:23], s[22:23], s[24:25]
	s_and_b64 s[20:21], s[20:21], s[22:23]
	s_xor_b64 s[22:23], s[20:21], -1
                                        ; implicit-def: $vgpr79
	s_and_saveexec_b64 s[24:25], s[22:23]
	s_xor_b64 s[22:23], exec, s[24:25]
; %bb.91:                               ;   in Loop: Header=BB9_2 Depth=1
	v_lshlrev_b32_e32 v79, 2, v78
	ds_read_b32 v79, v79 offset:4
; %bb.92:                               ;   in Loop: Header=BB9_2 Depth=1
	s_or_saveexec_b64 s[22:23], s[22:23]
	v_mov_b32_e32 v80, v76
	s_xor_b64 exec, exec, s[22:23]
	s_cbranch_execz .LBB9_94
; %bb.93:                               ;   in Loop: Header=BB9_2 Depth=1
	s_waitcnt lgkmcnt(0)
	v_lshlrev_b32_e32 v79, 2, v77
	ds_read_b32 v80, v79 offset:4
	v_mov_b32_e32 v79, v75
.LBB9_94:                               ;   in Loop: Header=BB9_2 Depth=1
	s_or_b64 exec, exec, s[22:23]
	v_add_u32_e32 v83, 1, v78
	v_add_u32_e32 v81, 1, v77
	v_cndmask_b32_e64 v83, v83, v78, s[20:21]
	v_cndmask_b32_e64 v82, v77, v81, s[20:21]
	v_cmp_ge_i32_e64 s[24:25], v83, v8
	s_waitcnt lgkmcnt(0)
	v_cmp_lt_i32_e64 s[26:27], v80, v79
	v_cmp_lt_i32_e64 s[22:23], v82, v9
	s_or_b64 s[24:25], s[24:25], s[26:27]
	s_and_b64 s[22:23], s[22:23], s[24:25]
	s_xor_b64 s[24:25], s[22:23], -1
                                        ; implicit-def: $vgpr81
	s_and_saveexec_b64 s[26:27], s[24:25]
	s_xor_b64 s[24:25], exec, s[26:27]
; %bb.95:                               ;   in Loop: Header=BB9_2 Depth=1
	v_lshlrev_b32_e32 v81, 2, v83
	ds_read_b32 v81, v81 offset:4
; %bb.96:                               ;   in Loop: Header=BB9_2 Depth=1
	s_or_saveexec_b64 s[24:25], s[24:25]
	v_mov_b32_e32 v84, v80
	s_xor_b64 exec, exec, s[24:25]
	s_cbranch_execz .LBB9_98
; %bb.97:                               ;   in Loop: Header=BB9_2 Depth=1
	s_waitcnt lgkmcnt(0)
	v_lshlrev_b32_e32 v81, 2, v82
	ds_read_b32 v84, v81 offset:4
	v_mov_b32_e32 v81, v79
.LBB9_98:                               ;   in Loop: Header=BB9_2 Depth=1
	s_or_b64 exec, exec, s[24:25]
	v_add_u32_e32 v85, 1, v83
	v_cndmask_b32_e64 v79, v79, v80, s[22:23]
	v_add_u32_e32 v80, 1, v82
	v_cndmask_b32_e64 v85, v85, v83, s[22:23]
	v_cndmask_b32_e64 v80, v82, v80, s[22:23]
	;; [unrolled: 1-line block ×6, first 2 shown]
	v_cmp_ge_i32_e64 s[12:13], v85, v8
	s_waitcnt lgkmcnt(0)
	v_cmp_lt_i32_e64 s[14:15], v84, v81
	v_cndmask_b32_e64 v56, v56, v58, s[10:11]
	v_cndmask_b32_e64 v55, v57, v55, s[10:11]
	v_cmp_lt_i32_e64 s[10:11], v80, v9
	s_or_b64 s[12:13], s[12:13], s[14:15]
	s_and_b64 s[10:11], s[10:11], s[12:13]
	v_cndmask_b32_e64 v82, v83, v82, s[22:23]
	v_cndmask_b32_e64 v75, v75, v76, s[20:21]
	;; [unrolled: 1-line block ×8, first 2 shown]
	; wave barrier
	ds_write2_b32 v40, v47, v48 offset1:1
	ds_write2_b32 v40, v49, v50 offset0:2 offset1:3
	ds_write2_b32 v40, v51, v52 offset0:4 offset1:5
	;; [unrolled: 1-line block ×3, first 2 shown]
	v_lshlrev_b32_e32 v47, 2, v55
	v_lshlrev_b32_e32 v48, 2, v60
	;; [unrolled: 1-line block ×8, first 2 shown]
	s_waitcnt lgkmcnt(0)
	; wave barrier
	ds_read_b32 v47, v47
	ds_read_b32 v48, v48
	;; [unrolled: 1-line block ×8, first 2 shown]
	v_cndmask_b32_e64 v57, v81, v84, s[10:11]
	s_waitcnt lgkmcnt(0)
	; wave barrier
	ds_write2_b32 v40, v56, v59 offset1:1
	ds_write2_b32 v40, v63, v67 offset0:2 offset1:3
	ds_write2_b32 v40, v71, v75 offset0:4 offset1:5
	;; [unrolled: 1-line block ×3, first 2 shown]
	v_mov_b32_e32 v57, v22
	s_waitcnt lgkmcnt(0)
	; wave barrier
	s_and_saveexec_b64 s[12:13], s[4:5]
	s_cbranch_execz .LBB9_102
; %bb.99:                               ;   in Loop: Header=BB9_2 Depth=1
	s_mov_b64 s[14:15], 0
	v_mov_b32_e32 v57, v22
	v_mov_b32_e32 v55, v23
.LBB9_100:                              ;   Parent Loop BB9_2 Depth=1
                                        ; =>  This Inner Loop Header: Depth=2
	v_sub_u32_e32 v56, v55, v57
	v_lshrrev_b32_e32 v56, 1, v56
	v_add_u32_e32 v56, v56, v57
	v_not_b32_e32 v59, v56
	v_lshl_add_u32 v58, v56, 2, v44
	v_lshl_add_u32 v59, v59, 2, v37
	ds_read_b32 v58, v58
	ds_read_b32 v59, v59
	v_add_u32_e32 v60, 1, v56
	s_waitcnt lgkmcnt(0)
	v_cmp_lt_i32_e64 s[10:11], v59, v58
	v_cndmask_b32_e64 v55, v55, v56, s[10:11]
	v_cndmask_b32_e64 v57, v60, v57, s[10:11]
	v_cmp_ge_i32_e64 s[10:11], v57, v55
	s_or_b64 s[14:15], s[10:11], s[14:15]
	s_andn2_b64 exec, exec, s[14:15]
	s_cbranch_execnz .LBB9_100
; %bb.101:                              ;   in Loop: Header=BB9_2 Depth=1
	s_or_b64 exec, exec, s[14:15]
.LBB9_102:                              ;   in Loop: Header=BB9_2 Depth=1
	s_or_b64 exec, exec, s[12:13]
	v_sub_u32_e32 v55, v36, v57
	v_lshl_add_u32 v60, v57, 2, v44
	v_lshlrev_b32_e32 v61, 2, v55
	ds_read_b32 v56, v60
	ds_read_b32 v58, v61
	v_add_u32_e32 v57, v57, v10
	v_cmp_le_i32_e64 s[12:13], v11, v57
	v_cmp_gt_i32_e64 s[10:11], v12, v55
                                        ; implicit-def: $vgpr59
	s_waitcnt lgkmcnt(0)
	v_cmp_lt_i32_e64 s[14:15], v58, v56
	s_or_b64 s[12:13], s[12:13], s[14:15]
	s_and_b64 s[10:11], s[10:11], s[12:13]
	s_xor_b64 s[12:13], s[10:11], -1
	s_and_saveexec_b64 s[14:15], s[12:13]
	s_xor_b64 s[12:13], exec, s[14:15]
; %bb.103:                              ;   in Loop: Header=BB9_2 Depth=1
	ds_read_b32 v59, v60 offset:4
                                        ; implicit-def: $vgpr61
; %bb.104:                              ;   in Loop: Header=BB9_2 Depth=1
	s_or_saveexec_b64 s[12:13], s[12:13]
	v_mov_b32_e32 v60, v58
	s_xor_b64 exec, exec, s[12:13]
	s_cbranch_execz .LBB9_106
; %bb.105:                              ;   in Loop: Header=BB9_2 Depth=1
	ds_read_b32 v60, v61 offset:4
	s_waitcnt lgkmcnt(1)
	v_mov_b32_e32 v59, v56
.LBB9_106:                              ;   in Loop: Header=BB9_2 Depth=1
	s_or_b64 exec, exec, s[12:13]
	v_add_u32_e32 v62, 1, v57
	v_add_u32_e32 v61, 1, v55
	v_cndmask_b32_e64 v62, v62, v57, s[10:11]
	v_cndmask_b32_e64 v61, v55, v61, s[10:11]
	v_cmp_ge_i32_e64 s[14:15], v62, v11
	s_waitcnt lgkmcnt(0)
	v_cmp_lt_i32_e64 s[16:17], v60, v59
	v_cmp_lt_i32_e64 s[12:13], v61, v12
	s_or_b64 s[14:15], s[14:15], s[16:17]
	s_and_b64 s[12:13], s[12:13], s[14:15]
	s_xor_b64 s[14:15], s[12:13], -1
                                        ; implicit-def: $vgpr63
	s_and_saveexec_b64 s[16:17], s[14:15]
	s_xor_b64 s[14:15], exec, s[16:17]
; %bb.107:                              ;   in Loop: Header=BB9_2 Depth=1
	v_lshlrev_b32_e32 v63, 2, v62
	ds_read_b32 v63, v63 offset:4
; %bb.108:                              ;   in Loop: Header=BB9_2 Depth=1
	s_or_saveexec_b64 s[14:15], s[14:15]
	v_mov_b32_e32 v64, v60
	s_xor_b64 exec, exec, s[14:15]
	s_cbranch_execz .LBB9_110
; %bb.109:                              ;   in Loop: Header=BB9_2 Depth=1
	s_waitcnt lgkmcnt(0)
	v_lshlrev_b32_e32 v63, 2, v61
	ds_read_b32 v64, v63 offset:4
	v_mov_b32_e32 v63, v59
.LBB9_110:                              ;   in Loop: Header=BB9_2 Depth=1
	s_or_b64 exec, exec, s[14:15]
	v_add_u32_e32 v66, 1, v62
	v_add_u32_e32 v65, 1, v61
	v_cndmask_b32_e64 v66, v66, v62, s[12:13]
	v_cndmask_b32_e64 v65, v61, v65, s[12:13]
	v_cmp_ge_i32_e64 s[16:17], v66, v11
	s_waitcnt lgkmcnt(0)
	v_cmp_lt_i32_e64 s[18:19], v64, v63
	v_cmp_lt_i32_e64 s[14:15], v65, v12
	s_or_b64 s[16:17], s[16:17], s[18:19]
	s_and_b64 s[14:15], s[14:15], s[16:17]
	s_xor_b64 s[16:17], s[14:15], -1
                                        ; implicit-def: $vgpr67
	s_and_saveexec_b64 s[18:19], s[16:17]
	s_xor_b64 s[16:17], exec, s[18:19]
; %bb.111:                              ;   in Loop: Header=BB9_2 Depth=1
	v_lshlrev_b32_e32 v67, 2, v66
	ds_read_b32 v67, v67 offset:4
; %bb.112:                              ;   in Loop: Header=BB9_2 Depth=1
	s_or_saveexec_b64 s[16:17], s[16:17]
	v_mov_b32_e32 v68, v64
	s_xor_b64 exec, exec, s[16:17]
	s_cbranch_execz .LBB9_114
; %bb.113:                              ;   in Loop: Header=BB9_2 Depth=1
	s_waitcnt lgkmcnt(0)
	v_lshlrev_b32_e32 v67, 2, v65
	ds_read_b32 v68, v67 offset:4
	v_mov_b32_e32 v67, v63
.LBB9_114:                              ;   in Loop: Header=BB9_2 Depth=1
	s_or_b64 exec, exec, s[16:17]
	v_add_u32_e32 v70, 1, v66
	v_add_u32_e32 v69, 1, v65
	v_cndmask_b32_e64 v70, v70, v66, s[14:15]
	v_cndmask_b32_e64 v69, v65, v69, s[14:15]
	v_cmp_ge_i32_e64 s[18:19], v70, v11
	s_waitcnt lgkmcnt(0)
	v_cmp_lt_i32_e64 s[20:21], v68, v67
	v_cmp_lt_i32_e64 s[16:17], v69, v12
	s_or_b64 s[18:19], s[18:19], s[20:21]
	s_and_b64 s[16:17], s[16:17], s[18:19]
	s_xor_b64 s[18:19], s[16:17], -1
                                        ; implicit-def: $vgpr71
	s_and_saveexec_b64 s[20:21], s[18:19]
	s_xor_b64 s[18:19], exec, s[20:21]
; %bb.115:                              ;   in Loop: Header=BB9_2 Depth=1
	v_lshlrev_b32_e32 v71, 2, v70
	ds_read_b32 v71, v71 offset:4
; %bb.116:                              ;   in Loop: Header=BB9_2 Depth=1
	s_or_saveexec_b64 s[18:19], s[18:19]
	v_mov_b32_e32 v72, v68
	s_xor_b64 exec, exec, s[18:19]
	s_cbranch_execz .LBB9_118
; %bb.117:                              ;   in Loop: Header=BB9_2 Depth=1
	s_waitcnt lgkmcnt(0)
	v_lshlrev_b32_e32 v71, 2, v69
	ds_read_b32 v72, v71 offset:4
	v_mov_b32_e32 v71, v67
.LBB9_118:                              ;   in Loop: Header=BB9_2 Depth=1
	s_or_b64 exec, exec, s[18:19]
	v_add_u32_e32 v74, 1, v70
	v_add_u32_e32 v73, 1, v69
	v_cndmask_b32_e64 v74, v74, v70, s[16:17]
	v_cndmask_b32_e64 v73, v69, v73, s[16:17]
	v_cmp_ge_i32_e64 s[20:21], v74, v11
	s_waitcnt lgkmcnt(0)
	v_cmp_lt_i32_e64 s[22:23], v72, v71
	v_cmp_lt_i32_e64 s[18:19], v73, v12
	s_or_b64 s[20:21], s[20:21], s[22:23]
	s_and_b64 s[18:19], s[18:19], s[20:21]
	s_xor_b64 s[20:21], s[18:19], -1
                                        ; implicit-def: $vgpr75
	s_and_saveexec_b64 s[22:23], s[20:21]
	s_xor_b64 s[20:21], exec, s[22:23]
; %bb.119:                              ;   in Loop: Header=BB9_2 Depth=1
	v_lshlrev_b32_e32 v75, 2, v74
	ds_read_b32 v75, v75 offset:4
; %bb.120:                              ;   in Loop: Header=BB9_2 Depth=1
	s_or_saveexec_b64 s[20:21], s[20:21]
	v_mov_b32_e32 v76, v72
	s_xor_b64 exec, exec, s[20:21]
	s_cbranch_execz .LBB9_122
; %bb.121:                              ;   in Loop: Header=BB9_2 Depth=1
	s_waitcnt lgkmcnt(0)
	v_lshlrev_b32_e32 v75, 2, v73
	ds_read_b32 v76, v75 offset:4
	v_mov_b32_e32 v75, v71
.LBB9_122:                              ;   in Loop: Header=BB9_2 Depth=1
	s_or_b64 exec, exec, s[20:21]
	v_add_u32_e32 v78, 1, v74
	v_add_u32_e32 v77, 1, v73
	v_cndmask_b32_e64 v78, v78, v74, s[18:19]
	v_cndmask_b32_e64 v77, v73, v77, s[18:19]
	v_cmp_ge_i32_e64 s[22:23], v78, v11
	s_waitcnt lgkmcnt(0)
	v_cmp_lt_i32_e64 s[24:25], v76, v75
	v_cmp_lt_i32_e64 s[20:21], v77, v12
	s_or_b64 s[22:23], s[22:23], s[24:25]
	s_and_b64 s[20:21], s[20:21], s[22:23]
	s_xor_b64 s[22:23], s[20:21], -1
                                        ; implicit-def: $vgpr79
	s_and_saveexec_b64 s[24:25], s[22:23]
	s_xor_b64 s[22:23], exec, s[24:25]
; %bb.123:                              ;   in Loop: Header=BB9_2 Depth=1
	v_lshlrev_b32_e32 v79, 2, v78
	ds_read_b32 v79, v79 offset:4
; %bb.124:                              ;   in Loop: Header=BB9_2 Depth=1
	s_or_saveexec_b64 s[22:23], s[22:23]
	v_mov_b32_e32 v80, v76
	s_xor_b64 exec, exec, s[22:23]
	s_cbranch_execz .LBB9_126
; %bb.125:                              ;   in Loop: Header=BB9_2 Depth=1
	s_waitcnt lgkmcnt(0)
	v_lshlrev_b32_e32 v79, 2, v77
	ds_read_b32 v80, v79 offset:4
	v_mov_b32_e32 v79, v75
.LBB9_126:                              ;   in Loop: Header=BB9_2 Depth=1
	s_or_b64 exec, exec, s[22:23]
	v_add_u32_e32 v83, 1, v78
	v_add_u32_e32 v81, 1, v77
	v_cndmask_b32_e64 v83, v83, v78, s[20:21]
	v_cndmask_b32_e64 v82, v77, v81, s[20:21]
	v_cmp_ge_i32_e64 s[24:25], v83, v11
	s_waitcnt lgkmcnt(0)
	v_cmp_lt_i32_e64 s[26:27], v80, v79
	v_cmp_lt_i32_e64 s[22:23], v82, v12
	s_or_b64 s[24:25], s[24:25], s[26:27]
	s_and_b64 s[22:23], s[22:23], s[24:25]
	s_xor_b64 s[24:25], s[22:23], -1
                                        ; implicit-def: $vgpr81
	s_and_saveexec_b64 s[26:27], s[24:25]
	s_xor_b64 s[24:25], exec, s[26:27]
; %bb.127:                              ;   in Loop: Header=BB9_2 Depth=1
	v_lshlrev_b32_e32 v81, 2, v83
	ds_read_b32 v81, v81 offset:4
; %bb.128:                              ;   in Loop: Header=BB9_2 Depth=1
	s_or_saveexec_b64 s[24:25], s[24:25]
	v_mov_b32_e32 v84, v80
	s_xor_b64 exec, exec, s[24:25]
	s_cbranch_execz .LBB9_130
; %bb.129:                              ;   in Loop: Header=BB9_2 Depth=1
	s_waitcnt lgkmcnt(0)
	v_lshlrev_b32_e32 v81, 2, v82
	ds_read_b32 v84, v81 offset:4
	v_mov_b32_e32 v81, v79
.LBB9_130:                              ;   in Loop: Header=BB9_2 Depth=1
	s_or_b64 exec, exec, s[24:25]
	v_add_u32_e32 v85, 1, v83
	v_cndmask_b32_e64 v79, v79, v80, s[22:23]
	v_add_u32_e32 v80, 1, v82
	v_cndmask_b32_e64 v85, v85, v83, s[22:23]
	v_cndmask_b32_e64 v80, v82, v80, s[22:23]
	v_cndmask_b32_e64 v63, v63, v64, s[14:15]
	v_cndmask_b32_e64 v64, v66, v65, s[14:15]
	v_cndmask_b32_e64 v59, v59, v60, s[12:13]
	v_cndmask_b32_e64 v60, v62, v61, s[12:13]
	v_cmp_ge_i32_e64 s[12:13], v85, v11
	s_waitcnt lgkmcnt(0)
	v_cmp_lt_i32_e64 s[14:15], v84, v81
	v_cndmask_b32_e64 v56, v56, v58, s[10:11]
	v_cndmask_b32_e64 v55, v57, v55, s[10:11]
	v_cmp_lt_i32_e64 s[10:11], v80, v12
	s_or_b64 s[12:13], s[12:13], s[14:15]
	s_and_b64 s[10:11], s[10:11], s[12:13]
	v_cndmask_b32_e64 v82, v83, v82, s[22:23]
	v_cndmask_b32_e64 v75, v75, v76, s[20:21]
	;; [unrolled: 1-line block ×8, first 2 shown]
	; wave barrier
	ds_write2_b32 v40, v47, v48 offset1:1
	ds_write2_b32 v40, v49, v50 offset0:2 offset1:3
	ds_write2_b32 v40, v51, v52 offset0:4 offset1:5
	;; [unrolled: 1-line block ×3, first 2 shown]
	v_lshlrev_b32_e32 v47, 2, v55
	v_lshlrev_b32_e32 v48, 2, v60
	v_lshlrev_b32_e32 v49, 2, v64
	v_lshlrev_b32_e32 v50, 2, v68
	v_lshlrev_b32_e32 v51, 2, v72
	v_lshlrev_b32_e32 v52, 2, v76
	v_lshlrev_b32_e32 v53, 2, v82
	v_lshlrev_b32_e32 v54, 2, v58
	s_waitcnt lgkmcnt(0)
	; wave barrier
	ds_read_b32 v47, v47
	ds_read_b32 v48, v48
	;; [unrolled: 1-line block ×8, first 2 shown]
	v_cndmask_b32_e64 v57, v81, v84, s[10:11]
	s_waitcnt lgkmcnt(0)
	; wave barrier
	ds_write2_b32 v40, v56, v59 offset1:1
	ds_write2_b32 v40, v63, v67 offset0:2 offset1:3
	ds_write2_b32 v40, v71, v75 offset0:4 offset1:5
	;; [unrolled: 1-line block ×3, first 2 shown]
	v_mov_b32_e32 v57, v24
	s_waitcnt lgkmcnt(0)
	; wave barrier
	s_and_saveexec_b64 s[12:13], s[6:7]
	s_cbranch_execz .LBB9_134
; %bb.131:                              ;   in Loop: Header=BB9_2 Depth=1
	s_mov_b64 s[14:15], 0
	v_mov_b32_e32 v57, v24
	v_mov_b32_e32 v55, v25
.LBB9_132:                              ;   Parent Loop BB9_2 Depth=1
                                        ; =>  This Inner Loop Header: Depth=2
	v_sub_u32_e32 v56, v55, v57
	v_lshrrev_b32_e32 v56, 1, v56
	v_add_u32_e32 v56, v56, v57
	v_not_b32_e32 v59, v56
	v_lshl_add_u32 v58, v56, 2, v45
	v_lshl_add_u32 v59, v59, 2, v39
	ds_read_b32 v58, v58
	ds_read_b32 v59, v59
	v_add_u32_e32 v60, 1, v56
	s_waitcnt lgkmcnt(0)
	v_cmp_lt_i32_e64 s[10:11], v59, v58
	v_cndmask_b32_e64 v55, v55, v56, s[10:11]
	v_cndmask_b32_e64 v57, v60, v57, s[10:11]
	v_cmp_ge_i32_e64 s[10:11], v57, v55
	s_or_b64 s[14:15], s[10:11], s[14:15]
	s_andn2_b64 exec, exec, s[14:15]
	s_cbranch_execnz .LBB9_132
; %bb.133:                              ;   in Loop: Header=BB9_2 Depth=1
	s_or_b64 exec, exec, s[14:15]
.LBB9_134:                              ;   in Loop: Header=BB9_2 Depth=1
	s_or_b64 exec, exec, s[12:13]
	v_sub_u32_e32 v55, v38, v57
	v_lshl_add_u32 v60, v57, 2, v45
	v_lshlrev_b32_e32 v61, 2, v55
	ds_read_b32 v56, v60
	ds_read_b32 v58, v61
	v_add_u32_e32 v57, v57, v13
	v_cmp_le_i32_e64 s[12:13], v14, v57
	v_cmp_gt_i32_e64 s[10:11], v15, v55
                                        ; implicit-def: $vgpr59
	s_waitcnt lgkmcnt(0)
	v_cmp_lt_i32_e64 s[14:15], v58, v56
	s_or_b64 s[12:13], s[12:13], s[14:15]
	s_and_b64 s[10:11], s[10:11], s[12:13]
	s_xor_b64 s[12:13], s[10:11], -1
	s_and_saveexec_b64 s[14:15], s[12:13]
	s_xor_b64 s[12:13], exec, s[14:15]
; %bb.135:                              ;   in Loop: Header=BB9_2 Depth=1
	ds_read_b32 v59, v60 offset:4
                                        ; implicit-def: $vgpr61
; %bb.136:                              ;   in Loop: Header=BB9_2 Depth=1
	s_or_saveexec_b64 s[12:13], s[12:13]
	v_mov_b32_e32 v60, v58
	s_xor_b64 exec, exec, s[12:13]
	s_cbranch_execz .LBB9_138
; %bb.137:                              ;   in Loop: Header=BB9_2 Depth=1
	ds_read_b32 v60, v61 offset:4
	s_waitcnt lgkmcnt(1)
	v_mov_b32_e32 v59, v56
.LBB9_138:                              ;   in Loop: Header=BB9_2 Depth=1
	s_or_b64 exec, exec, s[12:13]
	v_add_u32_e32 v62, 1, v57
	v_add_u32_e32 v61, 1, v55
	v_cndmask_b32_e64 v62, v62, v57, s[10:11]
	v_cndmask_b32_e64 v61, v55, v61, s[10:11]
	v_cmp_ge_i32_e64 s[14:15], v62, v14
	s_waitcnt lgkmcnt(0)
	v_cmp_lt_i32_e64 s[16:17], v60, v59
	v_cmp_lt_i32_e64 s[12:13], v61, v15
	s_or_b64 s[14:15], s[14:15], s[16:17]
	s_and_b64 s[12:13], s[12:13], s[14:15]
	s_xor_b64 s[14:15], s[12:13], -1
                                        ; implicit-def: $vgpr63
	s_and_saveexec_b64 s[16:17], s[14:15]
	s_xor_b64 s[14:15], exec, s[16:17]
; %bb.139:                              ;   in Loop: Header=BB9_2 Depth=1
	v_lshlrev_b32_e32 v63, 2, v62
	ds_read_b32 v63, v63 offset:4
; %bb.140:                              ;   in Loop: Header=BB9_2 Depth=1
	s_or_saveexec_b64 s[14:15], s[14:15]
	v_mov_b32_e32 v64, v60
	s_xor_b64 exec, exec, s[14:15]
	s_cbranch_execz .LBB9_142
; %bb.141:                              ;   in Loop: Header=BB9_2 Depth=1
	s_waitcnt lgkmcnt(0)
	v_lshlrev_b32_e32 v63, 2, v61
	ds_read_b32 v64, v63 offset:4
	v_mov_b32_e32 v63, v59
.LBB9_142:                              ;   in Loop: Header=BB9_2 Depth=1
	s_or_b64 exec, exec, s[14:15]
	v_add_u32_e32 v66, 1, v62
	v_add_u32_e32 v65, 1, v61
	v_cndmask_b32_e64 v66, v66, v62, s[12:13]
	v_cndmask_b32_e64 v65, v61, v65, s[12:13]
	v_cmp_ge_i32_e64 s[16:17], v66, v14
	s_waitcnt lgkmcnt(0)
	v_cmp_lt_i32_e64 s[18:19], v64, v63
	v_cmp_lt_i32_e64 s[14:15], v65, v15
	s_or_b64 s[16:17], s[16:17], s[18:19]
	s_and_b64 s[14:15], s[14:15], s[16:17]
	s_xor_b64 s[16:17], s[14:15], -1
                                        ; implicit-def: $vgpr67
	s_and_saveexec_b64 s[18:19], s[16:17]
	s_xor_b64 s[16:17], exec, s[18:19]
; %bb.143:                              ;   in Loop: Header=BB9_2 Depth=1
	v_lshlrev_b32_e32 v67, 2, v66
	ds_read_b32 v67, v67 offset:4
; %bb.144:                              ;   in Loop: Header=BB9_2 Depth=1
	s_or_saveexec_b64 s[16:17], s[16:17]
	v_mov_b32_e32 v68, v64
	s_xor_b64 exec, exec, s[16:17]
	s_cbranch_execz .LBB9_146
; %bb.145:                              ;   in Loop: Header=BB9_2 Depth=1
	s_waitcnt lgkmcnt(0)
	v_lshlrev_b32_e32 v67, 2, v65
	ds_read_b32 v68, v67 offset:4
	v_mov_b32_e32 v67, v63
.LBB9_146:                              ;   in Loop: Header=BB9_2 Depth=1
	s_or_b64 exec, exec, s[16:17]
	v_add_u32_e32 v70, 1, v66
	v_add_u32_e32 v69, 1, v65
	v_cndmask_b32_e64 v70, v70, v66, s[14:15]
	v_cndmask_b32_e64 v69, v65, v69, s[14:15]
	v_cmp_ge_i32_e64 s[18:19], v70, v14
	s_waitcnt lgkmcnt(0)
	v_cmp_lt_i32_e64 s[20:21], v68, v67
	v_cmp_lt_i32_e64 s[16:17], v69, v15
	s_or_b64 s[18:19], s[18:19], s[20:21]
	s_and_b64 s[16:17], s[16:17], s[18:19]
	s_xor_b64 s[18:19], s[16:17], -1
                                        ; implicit-def: $vgpr71
	s_and_saveexec_b64 s[20:21], s[18:19]
	s_xor_b64 s[18:19], exec, s[20:21]
; %bb.147:                              ;   in Loop: Header=BB9_2 Depth=1
	v_lshlrev_b32_e32 v71, 2, v70
	ds_read_b32 v71, v71 offset:4
; %bb.148:                              ;   in Loop: Header=BB9_2 Depth=1
	s_or_saveexec_b64 s[18:19], s[18:19]
	v_mov_b32_e32 v72, v68
	s_xor_b64 exec, exec, s[18:19]
	s_cbranch_execz .LBB9_150
; %bb.149:                              ;   in Loop: Header=BB9_2 Depth=1
	s_waitcnt lgkmcnt(0)
	v_lshlrev_b32_e32 v71, 2, v69
	ds_read_b32 v72, v71 offset:4
	v_mov_b32_e32 v71, v67
.LBB9_150:                              ;   in Loop: Header=BB9_2 Depth=1
	s_or_b64 exec, exec, s[18:19]
	v_add_u32_e32 v74, 1, v70
	v_add_u32_e32 v73, 1, v69
	v_cndmask_b32_e64 v74, v74, v70, s[16:17]
	v_cndmask_b32_e64 v73, v69, v73, s[16:17]
	v_cmp_ge_i32_e64 s[20:21], v74, v14
	s_waitcnt lgkmcnt(0)
	v_cmp_lt_i32_e64 s[22:23], v72, v71
	v_cmp_lt_i32_e64 s[18:19], v73, v15
	s_or_b64 s[20:21], s[20:21], s[22:23]
	s_and_b64 s[18:19], s[18:19], s[20:21]
	s_xor_b64 s[20:21], s[18:19], -1
                                        ; implicit-def: $vgpr75
	s_and_saveexec_b64 s[22:23], s[20:21]
	s_xor_b64 s[20:21], exec, s[22:23]
; %bb.151:                              ;   in Loop: Header=BB9_2 Depth=1
	v_lshlrev_b32_e32 v75, 2, v74
	ds_read_b32 v75, v75 offset:4
; %bb.152:                              ;   in Loop: Header=BB9_2 Depth=1
	s_or_saveexec_b64 s[20:21], s[20:21]
	v_mov_b32_e32 v76, v72
	s_xor_b64 exec, exec, s[20:21]
	s_cbranch_execz .LBB9_154
; %bb.153:                              ;   in Loop: Header=BB9_2 Depth=1
	s_waitcnt lgkmcnt(0)
	v_lshlrev_b32_e32 v75, 2, v73
	ds_read_b32 v76, v75 offset:4
	v_mov_b32_e32 v75, v71
.LBB9_154:                              ;   in Loop: Header=BB9_2 Depth=1
	s_or_b64 exec, exec, s[20:21]
	v_add_u32_e32 v78, 1, v74
	v_add_u32_e32 v77, 1, v73
	v_cndmask_b32_e64 v78, v78, v74, s[18:19]
	v_cndmask_b32_e64 v77, v73, v77, s[18:19]
	v_cmp_ge_i32_e64 s[22:23], v78, v14
	s_waitcnt lgkmcnt(0)
	v_cmp_lt_i32_e64 s[24:25], v76, v75
	v_cmp_lt_i32_e64 s[20:21], v77, v15
	s_or_b64 s[22:23], s[22:23], s[24:25]
	s_and_b64 s[20:21], s[20:21], s[22:23]
	s_xor_b64 s[22:23], s[20:21], -1
                                        ; implicit-def: $vgpr79
	s_and_saveexec_b64 s[24:25], s[22:23]
	s_xor_b64 s[22:23], exec, s[24:25]
; %bb.155:                              ;   in Loop: Header=BB9_2 Depth=1
	v_lshlrev_b32_e32 v79, 2, v78
	ds_read_b32 v79, v79 offset:4
; %bb.156:                              ;   in Loop: Header=BB9_2 Depth=1
	s_or_saveexec_b64 s[22:23], s[22:23]
	v_mov_b32_e32 v80, v76
	s_xor_b64 exec, exec, s[22:23]
	s_cbranch_execz .LBB9_158
; %bb.157:                              ;   in Loop: Header=BB9_2 Depth=1
	s_waitcnt lgkmcnt(0)
	v_lshlrev_b32_e32 v79, 2, v77
	ds_read_b32 v80, v79 offset:4
	v_mov_b32_e32 v79, v75
.LBB9_158:                              ;   in Loop: Header=BB9_2 Depth=1
	s_or_b64 exec, exec, s[22:23]
	v_add_u32_e32 v83, 1, v78
	v_add_u32_e32 v81, 1, v77
	v_cndmask_b32_e64 v83, v83, v78, s[20:21]
	v_cndmask_b32_e64 v82, v77, v81, s[20:21]
	v_cmp_ge_i32_e64 s[24:25], v83, v14
	s_waitcnt lgkmcnt(0)
	v_cmp_lt_i32_e64 s[26:27], v80, v79
	v_cmp_lt_i32_e64 s[22:23], v82, v15
	s_or_b64 s[24:25], s[24:25], s[26:27]
	s_and_b64 s[22:23], s[22:23], s[24:25]
	s_xor_b64 s[24:25], s[22:23], -1
                                        ; implicit-def: $vgpr81
	s_and_saveexec_b64 s[26:27], s[24:25]
	s_xor_b64 s[24:25], exec, s[26:27]
; %bb.159:                              ;   in Loop: Header=BB9_2 Depth=1
	v_lshlrev_b32_e32 v81, 2, v83
	ds_read_b32 v81, v81 offset:4
; %bb.160:                              ;   in Loop: Header=BB9_2 Depth=1
	s_or_saveexec_b64 s[24:25], s[24:25]
	v_mov_b32_e32 v84, v80
	s_xor_b64 exec, exec, s[24:25]
	s_cbranch_execz .LBB9_162
; %bb.161:                              ;   in Loop: Header=BB9_2 Depth=1
	s_waitcnt lgkmcnt(0)
	v_lshlrev_b32_e32 v81, 2, v82
	ds_read_b32 v84, v81 offset:4
	v_mov_b32_e32 v81, v79
.LBB9_162:                              ;   in Loop: Header=BB9_2 Depth=1
	s_or_b64 exec, exec, s[24:25]
	v_add_u32_e32 v85, 1, v83
	v_cndmask_b32_e64 v79, v79, v80, s[22:23]
	v_add_u32_e32 v80, 1, v82
	v_cndmask_b32_e64 v85, v85, v83, s[22:23]
	v_cndmask_b32_e64 v80, v82, v80, s[22:23]
	;; [unrolled: 1-line block ×6, first 2 shown]
	v_cmp_ge_i32_e64 s[12:13], v85, v14
	s_waitcnt lgkmcnt(0)
	v_cmp_lt_i32_e64 s[14:15], v84, v81
	v_cndmask_b32_e64 v56, v56, v58, s[10:11]
	v_cndmask_b32_e64 v55, v57, v55, s[10:11]
	v_cmp_lt_i32_e64 s[10:11], v80, v15
	s_or_b64 s[12:13], s[12:13], s[14:15]
	s_and_b64 s[10:11], s[10:11], s[12:13]
	v_cndmask_b32_e64 v82, v83, v82, s[22:23]
	v_cndmask_b32_e64 v75, v75, v76, s[20:21]
	;; [unrolled: 1-line block ×8, first 2 shown]
	; wave barrier
	ds_write2_b32 v40, v47, v48 offset1:1
	ds_write2_b32 v40, v49, v50 offset0:2 offset1:3
	ds_write2_b32 v40, v51, v52 offset0:4 offset1:5
	;; [unrolled: 1-line block ×3, first 2 shown]
	v_lshlrev_b32_e32 v47, 2, v55
	v_lshlrev_b32_e32 v48, 2, v60
	;; [unrolled: 1-line block ×8, first 2 shown]
	s_waitcnt lgkmcnt(0)
	; wave barrier
	ds_read_b32 v47, v47
	ds_read_b32 v48, v48
	;; [unrolled: 1-line block ×8, first 2 shown]
	v_mov_b32_e32 v55, v27
	v_cndmask_b32_e64 v57, v81, v84, s[10:11]
	s_waitcnt lgkmcnt(0)
	; wave barrier
	ds_write2_b32 v40, v56, v59 offset1:1
	ds_write2_b32 v40, v63, v67 offset0:2 offset1:3
	ds_write2_b32 v40, v71, v75 offset0:4 offset1:5
	;; [unrolled: 1-line block ×3, first 2 shown]
	s_waitcnt lgkmcnt(0)
	; wave barrier
	s_and_saveexec_b64 s[12:13], s[8:9]
	s_cbranch_execz .LBB9_166
; %bb.163:                              ;   in Loop: Header=BB9_2 Depth=1
	s_mov_b64 s[14:15], 0
	v_mov_b32_e32 v55, v27
	v_mov_b32_e32 v56, v28
.LBB9_164:                              ;   Parent Loop BB9_2 Depth=1
                                        ; =>  This Inner Loop Header: Depth=2
	v_sub_u32_e32 v57, v56, v55
	v_lshrrev_b32_e32 v57, 1, v57
	v_add_u32_e32 v57, v57, v55
	v_not_b32_e32 v59, v57
	v_lshlrev_b32_e32 v58, 2, v57
	v_lshl_add_u32 v59, v59, 2, v46
	ds_read_b32 v58, v58
	ds_read_b32 v59, v59
	v_add_u32_e32 v60, 1, v57
	s_waitcnt lgkmcnt(0)
	v_cmp_lt_i32_e64 s[10:11], v59, v58
	v_cndmask_b32_e64 v56, v56, v57, s[10:11]
	v_cndmask_b32_e64 v55, v60, v55, s[10:11]
	v_cmp_ge_i32_e64 s[10:11], v55, v56
	s_or_b64 s[14:15], s[10:11], s[14:15]
	s_andn2_b64 exec, exec, s[14:15]
	s_cbranch_execnz .LBB9_164
; %bb.165:                              ;   in Loop: Header=BB9_2 Depth=1
	s_or_b64 exec, exec, s[14:15]
.LBB9_166:                              ;   in Loop: Header=BB9_2 Depth=1
	s_or_b64 exec, exec, s[12:13]
	v_sub_u32_e32 v56, v29, v55
	v_lshlrev_b32_e32 v60, 2, v55
	v_lshlrev_b32_e32 v61, 2, v56
	ds_read_b32 v57, v60
	ds_read_b32 v58, v61
	v_cmp_le_i32_e64 s[12:13], v26, v55
	v_cmp_gt_i32_e64 s[10:11], s33, v56
                                        ; implicit-def: $vgpr59
	s_waitcnt lgkmcnt(0)
	v_cmp_lt_i32_e64 s[14:15], v58, v57
	s_or_b64 s[12:13], s[12:13], s[14:15]
	s_and_b64 s[10:11], s[10:11], s[12:13]
	s_xor_b64 s[12:13], s[10:11], -1
	s_and_saveexec_b64 s[14:15], s[12:13]
	s_xor_b64 s[12:13], exec, s[14:15]
; %bb.167:                              ;   in Loop: Header=BB9_2 Depth=1
	ds_read_b32 v59, v60 offset:4
                                        ; implicit-def: $vgpr61
; %bb.168:                              ;   in Loop: Header=BB9_2 Depth=1
	s_or_saveexec_b64 s[12:13], s[12:13]
	v_mov_b32_e32 v60, v58
	s_xor_b64 exec, exec, s[12:13]
	s_cbranch_execz .LBB9_170
; %bb.169:                              ;   in Loop: Header=BB9_2 Depth=1
	ds_read_b32 v60, v61 offset:4
	s_waitcnt lgkmcnt(1)
	v_mov_b32_e32 v59, v57
.LBB9_170:                              ;   in Loop: Header=BB9_2 Depth=1
	s_or_b64 exec, exec, s[12:13]
	v_add_u32_e32 v62, 1, v55
	v_add_u32_e32 v61, 1, v56
	v_cndmask_b32_e64 v62, v62, v55, s[10:11]
	v_cndmask_b32_e64 v61, v56, v61, s[10:11]
	v_cmp_ge_i32_e64 s[14:15], v62, v26
	s_waitcnt lgkmcnt(0)
	v_cmp_lt_i32_e64 s[16:17], v60, v59
	v_cmp_gt_i32_e64 s[12:13], s33, v61
	s_or_b64 s[14:15], s[14:15], s[16:17]
	s_and_b64 s[12:13], s[12:13], s[14:15]
	s_xor_b64 s[14:15], s[12:13], -1
                                        ; implicit-def: $vgpr63
	s_and_saveexec_b64 s[16:17], s[14:15]
	s_xor_b64 s[14:15], exec, s[16:17]
; %bb.171:                              ;   in Loop: Header=BB9_2 Depth=1
	v_lshlrev_b32_e32 v63, 2, v62
	ds_read_b32 v63, v63 offset:4
; %bb.172:                              ;   in Loop: Header=BB9_2 Depth=1
	s_or_saveexec_b64 s[14:15], s[14:15]
	v_mov_b32_e32 v64, v60
	s_xor_b64 exec, exec, s[14:15]
	s_cbranch_execz .LBB9_174
; %bb.173:                              ;   in Loop: Header=BB9_2 Depth=1
	s_waitcnt lgkmcnt(0)
	v_lshlrev_b32_e32 v63, 2, v61
	ds_read_b32 v64, v63 offset:4
	v_mov_b32_e32 v63, v59
.LBB9_174:                              ;   in Loop: Header=BB9_2 Depth=1
	s_or_b64 exec, exec, s[14:15]
	v_add_u32_e32 v66, 1, v62
	v_add_u32_e32 v65, 1, v61
	v_cndmask_b32_e64 v66, v66, v62, s[12:13]
	v_cndmask_b32_e64 v65, v61, v65, s[12:13]
	v_cmp_ge_i32_e64 s[16:17], v66, v26
	s_waitcnt lgkmcnt(0)
	v_cmp_lt_i32_e64 s[18:19], v64, v63
	v_cmp_gt_i32_e64 s[14:15], s33, v65
	s_or_b64 s[16:17], s[16:17], s[18:19]
	s_and_b64 s[14:15], s[14:15], s[16:17]
	s_xor_b64 s[16:17], s[14:15], -1
                                        ; implicit-def: $vgpr68
	s_and_saveexec_b64 s[18:19], s[16:17]
	s_xor_b64 s[16:17], exec, s[18:19]
; %bb.175:                              ;   in Loop: Header=BB9_2 Depth=1
	v_lshlrev_b32_e32 v67, 2, v66
	ds_read_b32 v68, v67 offset:4
; %bb.176:                              ;   in Loop: Header=BB9_2 Depth=1
	s_or_saveexec_b64 s[16:17], s[16:17]
	v_mov_b32_e32 v69, v64
	s_xor_b64 exec, exec, s[16:17]
	s_cbranch_execz .LBB9_178
; %bb.177:                              ;   in Loop: Header=BB9_2 Depth=1
	v_lshlrev_b32_e32 v67, 2, v65
	ds_read_b32 v69, v67 offset:4
	s_waitcnt lgkmcnt(1)
	v_mov_b32_e32 v68, v63
.LBB9_178:                              ;   in Loop: Header=BB9_2 Depth=1
	s_or_b64 exec, exec, s[16:17]
	v_add_u32_e32 v71, 1, v66
	v_add_u32_e32 v67, 1, v65
	v_cndmask_b32_e64 v71, v71, v66, s[14:15]
	v_cndmask_b32_e64 v70, v65, v67, s[14:15]
	v_cmp_ge_i32_e64 s[18:19], v71, v26
	s_waitcnt lgkmcnt(0)
	v_cmp_lt_i32_e64 s[20:21], v69, v68
	v_cmp_gt_i32_e64 s[16:17], s33, v70
	s_or_b64 s[18:19], s[18:19], s[20:21]
	s_and_b64 s[16:17], s[16:17], s[18:19]
	s_xor_b64 s[18:19], s[16:17], -1
                                        ; implicit-def: $vgpr73
	s_and_saveexec_b64 s[20:21], s[18:19]
	s_xor_b64 s[18:19], exec, s[20:21]
; %bb.179:                              ;   in Loop: Header=BB9_2 Depth=1
	v_lshlrev_b32_e32 v67, 2, v71
	ds_read_b32 v73, v67 offset:4
; %bb.180:                              ;   in Loop: Header=BB9_2 Depth=1
	s_or_saveexec_b64 s[18:19], s[18:19]
	v_mov_b32_e32 v75, v69
	s_xor_b64 exec, exec, s[18:19]
	s_cbranch_execz .LBB9_182
; %bb.181:                              ;   in Loop: Header=BB9_2 Depth=1
	v_lshlrev_b32_e32 v67, 2, v70
	ds_read_b32 v75, v67 offset:4
	s_waitcnt lgkmcnt(1)
	v_mov_b32_e32 v73, v68
.LBB9_182:                              ;   in Loop: Header=BB9_2 Depth=1
	s_or_b64 exec, exec, s[18:19]
	v_add_u32_e32 v72, 1, v71
	v_add_u32_e32 v67, 1, v70
	v_cndmask_b32_e64 v77, v72, v71, s[16:17]
	v_cndmask_b32_e64 v76, v70, v67, s[16:17]
	v_cmp_ge_i32_e64 s[20:21], v77, v26
	s_waitcnt lgkmcnt(0)
	v_cmp_lt_i32_e64 s[22:23], v75, v73
	v_cmp_gt_i32_e64 s[18:19], s33, v76
	s_or_b64 s[20:21], s[20:21], s[22:23]
	s_and_b64 s[20:21], s[18:19], s[20:21]
	s_xor_b64 s[18:19], s[20:21], -1
                                        ; implicit-def: $vgpr72
	s_and_saveexec_b64 s[22:23], s[18:19]
	s_xor_b64 s[18:19], exec, s[22:23]
; %bb.183:                              ;   in Loop: Header=BB9_2 Depth=1
	v_lshlrev_b32_e32 v67, 2, v77
	ds_read_b32 v72, v67 offset:4
; %bb.184:                              ;   in Loop: Header=BB9_2 Depth=1
	s_or_saveexec_b64 s[18:19], s[18:19]
	v_mov_b32_e32 v74, v75
	s_xor_b64 exec, exec, s[18:19]
	s_cbranch_execz .LBB9_186
; %bb.185:                              ;   in Loop: Header=BB9_2 Depth=1
	v_lshlrev_b32_e32 v67, 2, v76
	ds_read_b32 v74, v67 offset:4
	s_waitcnt lgkmcnt(1)
	v_mov_b32_e32 v72, v73
.LBB9_186:                              ;   in Loop: Header=BB9_2 Depth=1
	s_or_b64 exec, exec, s[18:19]
	v_add_u32_e32 v78, 1, v77
	v_add_u32_e32 v67, 1, v76
	v_cndmask_b32_e64 v81, v78, v77, s[20:21]
	v_cndmask_b32_e64 v80, v76, v67, s[20:21]
	v_cmp_ge_i32_e64 s[22:23], v81, v26
	s_waitcnt lgkmcnt(0)
	v_cmp_lt_i32_e64 s[24:25], v74, v72
	v_cmp_gt_i32_e64 s[18:19], s33, v80
	s_or_b64 s[22:23], s[22:23], s[24:25]
	s_and_b64 s[18:19], s[18:19], s[22:23]
	s_xor_b64 s[22:23], s[18:19], -1
                                        ; implicit-def: $vgpr78
	s_and_saveexec_b64 s[24:25], s[22:23]
	s_xor_b64 s[22:23], exec, s[24:25]
; %bb.187:                              ;   in Loop: Header=BB9_2 Depth=1
	v_lshlrev_b32_e32 v67, 2, v81
	ds_read_b32 v78, v67 offset:4
; %bb.188:                              ;   in Loop: Header=BB9_2 Depth=1
	s_or_saveexec_b64 s[22:23], s[22:23]
	v_mov_b32_e32 v79, v74
	s_xor_b64 exec, exec, s[22:23]
	s_cbranch_execz .LBB9_190
; %bb.189:                              ;   in Loop: Header=BB9_2 Depth=1
	v_lshlrev_b32_e32 v67, 2, v80
	ds_read_b32 v79, v67 offset:4
	s_waitcnt lgkmcnt(1)
	v_mov_b32_e32 v78, v72
.LBB9_190:                              ;   in Loop: Header=BB9_2 Depth=1
	s_or_b64 exec, exec, s[22:23]
	v_add_u32_e32 v67, 1, v80
	v_add_u32_e32 v83, 1, v81
	v_cndmask_b32_e64 v82, v80, v67, s[18:19]
	v_cndmask_b32_e64 v67, v83, v81, s[18:19]
	v_cmp_ge_i32_e64 s[24:25], v67, v26
	s_waitcnt lgkmcnt(0)
	v_cmp_lt_i32_e64 s[26:27], v79, v78
	v_cmp_gt_i32_e64 s[22:23], s33, v82
	s_or_b64 s[24:25], s[24:25], s[26:27]
	s_and_b64 s[22:23], s[22:23], s[24:25]
	s_xor_b64 s[24:25], s[22:23], -1
                                        ; implicit-def: $vgpr85
                                        ; implicit-def: $vgpr84
	s_and_saveexec_b64 s[26:27], s[24:25]
	s_xor_b64 s[24:25], exec, s[26:27]
; %bb.191:                              ;   in Loop: Header=BB9_2 Depth=1
	v_lshlrev_b32_e32 v83, 2, v67
	ds_read_b32 v85, v83 offset:4
	v_add_u32_e32 v84, 1, v67
; %bb.192:                              ;   in Loop: Header=BB9_2 Depth=1
	s_or_saveexec_b64 s[24:25], s[24:25]
	v_mov_b32_e32 v83, v67
	v_mov_b32_e32 v86, v79
	s_xor_b64 exec, exec, s[24:25]
	s_cbranch_execz .LBB9_1
; %bb.193:                              ;   in Loop: Header=BB9_2 Depth=1
	v_lshlrev_b32_e32 v83, 2, v82
	ds_read_b32 v86, v83 offset:4
	s_waitcnt lgkmcnt(1)
	v_add_u32_e32 v85, 1, v82
	v_mov_b32_e32 v83, v82
	v_mov_b32_e32 v84, v67
	;; [unrolled: 1-line block ×4, first 2 shown]
	s_branch .LBB9_1
.LBB9_194:
	s_add_u32 s0, s86, s88
	s_waitcnt lgkmcnt(7)
	v_add_u32_e32 v1, v67, v47
	s_addc_u32 s1, s87, s89
	v_lshlrev_b32_e32 v0, 2, v0
	s_waitcnt lgkmcnt(6)
	v_add_u32_e32 v2, v60, v51
	s_waitcnt lgkmcnt(5)
	v_add_u32_e32 v3, v58, v48
	;; [unrolled: 2-line block ×7, first 2 shown]
	global_store_dword v0, v1, s[0:1]
	global_store_dword v0, v2, s[0:1] offset:256
	global_store_dword v0, v3, s[0:1] offset:512
	;; [unrolled: 1-line block ×7, first 2 shown]
	s_endpgm
	.section	.rodata,"a",@progbits
	.p2align	6, 0x0
	.amdhsa_kernel _Z17sort_pairs_kernelIiLj64ELj8EN10test_utils4lessELj10EEvPKT_PS2_T2_
		.amdhsa_group_segment_fixed_size 2052
		.amdhsa_private_segment_fixed_size 0
		.amdhsa_kernarg_size 20
		.amdhsa_user_sgpr_count 6
		.amdhsa_user_sgpr_private_segment_buffer 1
		.amdhsa_user_sgpr_dispatch_ptr 0
		.amdhsa_user_sgpr_queue_ptr 0
		.amdhsa_user_sgpr_kernarg_segment_ptr 1
		.amdhsa_user_sgpr_dispatch_id 0
		.amdhsa_user_sgpr_flat_scratch_init 0
		.amdhsa_user_sgpr_private_segment_size 0
		.amdhsa_uses_dynamic_stack 0
		.amdhsa_system_sgpr_private_segment_wavefront_offset 0
		.amdhsa_system_sgpr_workgroup_id_x 1
		.amdhsa_system_sgpr_workgroup_id_y 0
		.amdhsa_system_sgpr_workgroup_id_z 0
		.amdhsa_system_sgpr_workgroup_info 0
		.amdhsa_system_vgpr_workitem_id 0
		.amdhsa_next_free_vgpr 87
		.amdhsa_next_free_sgpr 92
		.amdhsa_reserve_vcc 1
		.amdhsa_reserve_flat_scratch 0
		.amdhsa_float_round_mode_32 0
		.amdhsa_float_round_mode_16_64 0
		.amdhsa_float_denorm_mode_32 3
		.amdhsa_float_denorm_mode_16_64 3
		.amdhsa_dx10_clamp 1
		.amdhsa_ieee_mode 1
		.amdhsa_fp16_overflow 0
		.amdhsa_exception_fp_ieee_invalid_op 0
		.amdhsa_exception_fp_denorm_src 0
		.amdhsa_exception_fp_ieee_div_zero 0
		.amdhsa_exception_fp_ieee_overflow 0
		.amdhsa_exception_fp_ieee_underflow 0
		.amdhsa_exception_fp_ieee_inexact 0
		.amdhsa_exception_int_div_zero 0
	.end_amdhsa_kernel
	.section	.text._Z17sort_pairs_kernelIiLj64ELj8EN10test_utils4lessELj10EEvPKT_PS2_T2_,"axG",@progbits,_Z17sort_pairs_kernelIiLj64ELj8EN10test_utils4lessELj10EEvPKT_PS2_T2_,comdat
.Lfunc_end9:
	.size	_Z17sort_pairs_kernelIiLj64ELj8EN10test_utils4lessELj10EEvPKT_PS2_T2_, .Lfunc_end9-_Z17sort_pairs_kernelIiLj64ELj8EN10test_utils4lessELj10EEvPKT_PS2_T2_
                                        ; -- End function
	.set _Z17sort_pairs_kernelIiLj64ELj8EN10test_utils4lessELj10EEvPKT_PS2_T2_.num_vgpr, 87
	.set _Z17sort_pairs_kernelIiLj64ELj8EN10test_utils4lessELj10EEvPKT_PS2_T2_.num_agpr, 0
	.set _Z17sort_pairs_kernelIiLj64ELj8EN10test_utils4lessELj10EEvPKT_PS2_T2_.numbered_sgpr, 92
	.set _Z17sort_pairs_kernelIiLj64ELj8EN10test_utils4lessELj10EEvPKT_PS2_T2_.num_named_barrier, 0
	.set _Z17sort_pairs_kernelIiLj64ELj8EN10test_utils4lessELj10EEvPKT_PS2_T2_.private_seg_size, 0
	.set _Z17sort_pairs_kernelIiLj64ELj8EN10test_utils4lessELj10EEvPKT_PS2_T2_.uses_vcc, 1
	.set _Z17sort_pairs_kernelIiLj64ELj8EN10test_utils4lessELj10EEvPKT_PS2_T2_.uses_flat_scratch, 0
	.set _Z17sort_pairs_kernelIiLj64ELj8EN10test_utils4lessELj10EEvPKT_PS2_T2_.has_dyn_sized_stack, 0
	.set _Z17sort_pairs_kernelIiLj64ELj8EN10test_utils4lessELj10EEvPKT_PS2_T2_.has_recursion, 0
	.set _Z17sort_pairs_kernelIiLj64ELj8EN10test_utils4lessELj10EEvPKT_PS2_T2_.has_indirect_call, 0
	.section	.AMDGPU.csdata,"",@progbits
; Kernel info:
; codeLenInByte = 10076
; TotalNumSgprs: 96
; NumVgprs: 87
; ScratchSize: 0
; MemoryBound: 0
; FloatMode: 240
; IeeeMode: 1
; LDSByteSize: 2052 bytes/workgroup (compile time only)
; SGPRBlocks: 11
; VGPRBlocks: 21
; NumSGPRsForWavesPerEU: 96
; NumVGPRsForWavesPerEU: 87
; Occupancy: 2
; WaveLimiterHint : 1
; COMPUTE_PGM_RSRC2:SCRATCH_EN: 0
; COMPUTE_PGM_RSRC2:USER_SGPR: 6
; COMPUTE_PGM_RSRC2:TRAP_HANDLER: 0
; COMPUTE_PGM_RSRC2:TGID_X_EN: 1
; COMPUTE_PGM_RSRC2:TGID_Y_EN: 0
; COMPUTE_PGM_RSRC2:TGID_Z_EN: 0
; COMPUTE_PGM_RSRC2:TIDIG_COMP_CNT: 0
	.section	.text._Z16sort_keys_kernelIiLj128ELj1EN10test_utils4lessELj10EEvPKT_PS2_T2_,"axG",@progbits,_Z16sort_keys_kernelIiLj128ELj1EN10test_utils4lessELj10EEvPKT_PS2_T2_,comdat
	.protected	_Z16sort_keys_kernelIiLj128ELj1EN10test_utils4lessELj10EEvPKT_PS2_T2_ ; -- Begin function _Z16sort_keys_kernelIiLj128ELj1EN10test_utils4lessELj10EEvPKT_PS2_T2_
	.globl	_Z16sort_keys_kernelIiLj128ELj1EN10test_utils4lessELj10EEvPKT_PS2_T2_
	.p2align	8
	.type	_Z16sort_keys_kernelIiLj128ELj1EN10test_utils4lessELj10EEvPKT_PS2_T2_,@function
_Z16sort_keys_kernelIiLj128ELj1EN10test_utils4lessELj10EEvPKT_PS2_T2_: ; @_Z16sort_keys_kernelIiLj128ELj1EN10test_utils4lessELj10EEvPKT_PS2_T2_
; %bb.0:
	s_load_dwordx4 s[16:19], s[4:5], 0x0
	s_lshl_b32 s22, s6, 7
	s_mov_b32 s23, 0
	s_lshl_b64 s[20:21], s[22:23], 2
	v_lshlrev_b32_e32 v3, 2, v0
	s_waitcnt lgkmcnt(0)
	s_add_u32 s0, s16, s20
	s_addc_u32 s1, s17, s21
	global_load_dword v48, v3, s[0:1]
	v_and_b32_e32 v13, 0x7c, v0
	v_and_b32_e32 v19, 0x78, v0
	v_and_b32_e32 v25, 0x70, v0
	v_and_b32_e32 v31, 0x60, v0
	v_and_b32_e32 v37, 64, v0
	v_or_b32_e32 v16, 2, v13
	v_add_u32_e32 v1, 4, v13
	v_or_b32_e32 v22, 4, v19
	v_add_u32_e32 v2, 8, v19
	;; [unrolled: 2-line block ×5, first 2 shown]
	v_and_b32_e32 v17, 3, v0
	v_sub_u32_e32 v14, v1, v16
	v_and_b32_e32 v23, 7, v0
	v_sub_u32_e32 v20, v2, v22
	;; [unrolled: 2-line block ×6, first 2 shown]
	v_sub_u32_e32 v21, v23, v20
	v_sub_u32_e32 v27, v29, v26
	;; [unrolled: 1-line block ×4, first 2 shown]
	v_or_b32_e32 v7, 1, v9
	v_and_b32_e32 v45, 1, v0
	v_cmp_ge_i32_e64 s[0:1], v17, v14
	v_cmp_ge_i32_e64 s[2:3], v23, v20
	v_cmp_ge_i32_e64 s[4:5], v29, v26
	v_cmp_ge_i32_e64 s[6:7], v35, v32
	v_cmp_ge_i32_e64 s[8:9], v41, v38
	v_sub_u32_e32 v8, v7, v9
	v_add_u32_e32 v10, -1, v45
	v_cmp_lt_i32_e32 vcc, 0, v45
	v_sub_u32_e32 v12, v16, v13
	v_cndmask_b32_e64 v14, 0, v15, s[0:1]
	v_lshlrev_b32_e32 v15, 2, v17
	v_sub_u32_e32 v18, v22, v19
	v_cndmask_b32_e64 v20, 0, v21, s[2:3]
	v_lshlrev_b32_e32 v21, 2, v23
	;; [unrolled: 3-line block ×5, first 2 shown]
	v_cndmask_b32_e32 v10, 0, v10, vcc
	v_min_i32_e32 v11, v45, v8
	v_lshl_add_u32 v15, v16, 2, v15
	v_add_u32_e32 v16, v16, v17
	v_min_i32_e32 v17, v17, v12
	v_lshl_add_u32 v21, v22, 2, v21
	v_add_u32_e32 v22, v22, v23
	;; [unrolled: 3-line block ×5, first 2 shown]
	v_min_i32_e32 v41, v41, v36
	v_sub_u32_e64 v42, v0, 64 clamp
	v_min_i32_e32 v43, 64, v0
	v_add_u32_e32 v44, v7, v45
	v_lshlrev_b32_e32 v45, 2, v45
	v_lshlrev_b32_e32 v9, 2, v9
	v_cmp_lt_i32_e32 vcc, v10, v11
	v_lshlrev_b32_e32 v13, 2, v13
	v_cmp_lt_i32_e64 s[0:1], v14, v17
	v_lshlrev_b32_e32 v19, 2, v19
	v_cmp_lt_i32_e64 s[2:3], v20, v23
	;; [unrolled: 2-line block ×5, first 2 shown]
	v_cmp_lt_i32_e64 s[10:11], v42, v43
	v_lshl_add_u32 v45, v7, 2, v45
	s_movk_i32 s22, 0x80
	v_add_u32_e32 v46, 64, v0
	v_add_u32_e32 v47, 0x100, v3
	s_branch .LBB10_2
.LBB10_1:                               ;   in Loop: Header=BB10_2 Depth=1
	s_or_b64 exec, exec, s[14:15]
	v_sub_u32_e32 v49, v46, v48
	v_lshlrev_b32_e32 v50, 2, v48
	v_lshlrev_b32_e32 v51, 2, v49
	ds_read_b32 v50, v50
	ds_read_b32 v51, v51
	v_cmp_le_i32_e64 s[12:13], 64, v48
	v_cmp_gt_i32_e64 s[14:15], s22, v49
	s_add_i32 s23, s23, 1
	s_waitcnt lgkmcnt(0)
	v_cmp_lt_i32_e64 s[16:17], v51, v50
	s_or_b64 s[12:13], s[12:13], s[16:17]
	s_and_b64 s[12:13], s[14:15], s[12:13]
	s_cmp_eq_u32 s23, 10
	v_cndmask_b32_e64 v48, v50, v51, s[12:13]
	s_cbranch_scc1 .LBB10_30
.LBB10_2:                               ; =>This Loop Header: Depth=1
                                        ;     Child Loop BB10_4 Depth 2
                                        ;     Child Loop BB10_8 Depth 2
	;; [unrolled: 1-line block ×7, first 2 shown]
	s_waitcnt vmcnt(0)
	s_barrier
	ds_write_b32 v3, v48
	v_mov_b32_e32 v48, v10
	s_waitcnt lgkmcnt(0)
	s_barrier
	s_and_saveexec_b64 s[14:15], vcc
	s_cbranch_execz .LBB10_6
; %bb.3:                                ;   in Loop: Header=BB10_2 Depth=1
	s_mov_b64 s[16:17], 0
	v_mov_b32_e32 v48, v10
	v_mov_b32_e32 v49, v11
.LBB10_4:                               ;   Parent Loop BB10_2 Depth=1
                                        ; =>  This Inner Loop Header: Depth=2
	v_sub_u32_e32 v50, v49, v48
	v_lshrrev_b32_e32 v50, 1, v50
	v_add_u32_e32 v50, v50, v48
	v_not_b32_e32 v52, v50
	v_lshl_add_u32 v51, v50, 2, v9
	v_lshl_add_u32 v52, v52, 2, v45
	ds_read_b32 v51, v51
	ds_read_b32 v52, v52
	v_add_u32_e32 v53, 1, v50
	s_waitcnt lgkmcnt(0)
	v_cmp_lt_i32_e64 s[12:13], v52, v51
	v_cndmask_b32_e64 v49, v49, v50, s[12:13]
	v_cndmask_b32_e64 v48, v53, v48, s[12:13]
	v_cmp_ge_i32_e64 s[12:13], v48, v49
	s_or_b64 s[16:17], s[12:13], s[16:17]
	s_andn2_b64 exec, exec, s[16:17]
	s_cbranch_execnz .LBB10_4
; %bb.5:                                ;   in Loop: Header=BB10_2 Depth=1
	s_or_b64 exec, exec, s[16:17]
.LBB10_6:                               ;   in Loop: Header=BB10_2 Depth=1
	s_or_b64 exec, exec, s[14:15]
	v_sub_u32_e32 v49, v44, v48
	v_lshl_add_u32 v50, v48, 2, v9
	v_lshlrev_b32_e32 v51, 2, v49
	ds_read_b32 v50, v50
	ds_read_b32 v51, v51
	v_cmp_ge_i32_e64 s[12:13], v48, v8
	v_cmp_ge_i32_e64 s[14:15], v7, v49
	s_waitcnt lgkmcnt(0)
	s_barrier
	v_cmp_lt_i32_e64 s[16:17], v51, v50
	s_or_b64 s[12:13], s[12:13], s[16:17]
	s_and_b64 s[12:13], s[14:15], s[12:13]
	v_cndmask_b32_e64 v48, v50, v51, s[12:13]
	ds_write_b32 v3, v48
	v_mov_b32_e32 v48, v14
	s_waitcnt lgkmcnt(0)
	s_barrier
	s_and_saveexec_b64 s[14:15], s[0:1]
	s_cbranch_execz .LBB10_10
; %bb.7:                                ;   in Loop: Header=BB10_2 Depth=1
	s_mov_b64 s[16:17], 0
	v_mov_b32_e32 v48, v14
	v_mov_b32_e32 v49, v17
.LBB10_8:                               ;   Parent Loop BB10_2 Depth=1
                                        ; =>  This Inner Loop Header: Depth=2
	v_sub_u32_e32 v50, v49, v48
	v_lshrrev_b32_e32 v50, 1, v50
	v_add_u32_e32 v50, v50, v48
	v_not_b32_e32 v52, v50
	v_lshl_add_u32 v51, v50, 2, v13
	v_lshl_add_u32 v52, v52, 2, v15
	ds_read_b32 v51, v51
	ds_read_b32 v52, v52
	v_add_u32_e32 v53, 1, v50
	s_waitcnt lgkmcnt(0)
	v_cmp_lt_i32_e64 s[12:13], v52, v51
	v_cndmask_b32_e64 v49, v49, v50, s[12:13]
	v_cndmask_b32_e64 v48, v53, v48, s[12:13]
	v_cmp_ge_i32_e64 s[12:13], v48, v49
	s_or_b64 s[16:17], s[12:13], s[16:17]
	s_andn2_b64 exec, exec, s[16:17]
	s_cbranch_execnz .LBB10_8
; %bb.9:                                ;   in Loop: Header=BB10_2 Depth=1
	s_or_b64 exec, exec, s[16:17]
.LBB10_10:                              ;   in Loop: Header=BB10_2 Depth=1
	s_or_b64 exec, exec, s[14:15]
	v_sub_u32_e32 v49, v16, v48
	v_lshl_add_u32 v50, v48, 2, v13
	v_lshlrev_b32_e32 v51, 2, v49
	ds_read_b32 v50, v50
	ds_read_b32 v51, v51
	v_cmp_ge_i32_e64 s[12:13], v48, v12
	v_cmp_gt_i32_e64 s[14:15], v1, v49
	s_waitcnt lgkmcnt(0)
	s_barrier
	v_cmp_lt_i32_e64 s[16:17], v51, v50
	s_or_b64 s[12:13], s[12:13], s[16:17]
	s_and_b64 s[12:13], s[14:15], s[12:13]
	v_cndmask_b32_e64 v48, v50, v51, s[12:13]
	ds_write_b32 v3, v48
	v_mov_b32_e32 v48, v20
	s_waitcnt lgkmcnt(0)
	s_barrier
	s_and_saveexec_b64 s[14:15], s[2:3]
	s_cbranch_execz .LBB10_14
; %bb.11:                               ;   in Loop: Header=BB10_2 Depth=1
	s_mov_b64 s[16:17], 0
	v_mov_b32_e32 v48, v20
	v_mov_b32_e32 v49, v23
.LBB10_12:                              ;   Parent Loop BB10_2 Depth=1
                                        ; =>  This Inner Loop Header: Depth=2
	v_sub_u32_e32 v50, v49, v48
	v_lshrrev_b32_e32 v50, 1, v50
	v_add_u32_e32 v50, v50, v48
	v_not_b32_e32 v52, v50
	v_lshl_add_u32 v51, v50, 2, v19
	v_lshl_add_u32 v52, v52, 2, v21
	ds_read_b32 v51, v51
	ds_read_b32 v52, v52
	v_add_u32_e32 v53, 1, v50
	s_waitcnt lgkmcnt(0)
	v_cmp_lt_i32_e64 s[12:13], v52, v51
	v_cndmask_b32_e64 v49, v49, v50, s[12:13]
	v_cndmask_b32_e64 v48, v53, v48, s[12:13]
	v_cmp_ge_i32_e64 s[12:13], v48, v49
	s_or_b64 s[16:17], s[12:13], s[16:17]
	s_andn2_b64 exec, exec, s[16:17]
	s_cbranch_execnz .LBB10_12
; %bb.13:                               ;   in Loop: Header=BB10_2 Depth=1
	s_or_b64 exec, exec, s[16:17]
.LBB10_14:                              ;   in Loop: Header=BB10_2 Depth=1
	s_or_b64 exec, exec, s[14:15]
	v_sub_u32_e32 v49, v22, v48
	v_lshl_add_u32 v50, v48, 2, v19
	v_lshlrev_b32_e32 v51, 2, v49
	ds_read_b32 v50, v50
	ds_read_b32 v51, v51
	v_cmp_ge_i32_e64 s[12:13], v48, v18
	v_cmp_gt_i32_e64 s[14:15], v2, v49
	s_waitcnt lgkmcnt(0)
	s_barrier
	v_cmp_lt_i32_e64 s[16:17], v51, v50
	s_or_b64 s[12:13], s[12:13], s[16:17]
	s_and_b64 s[12:13], s[14:15], s[12:13]
	v_cndmask_b32_e64 v48, v50, v51, s[12:13]
	ds_write_b32 v3, v48
	v_mov_b32_e32 v48, v26
	s_waitcnt lgkmcnt(0)
	s_barrier
	s_and_saveexec_b64 s[14:15], s[4:5]
	s_cbranch_execz .LBB10_18
; %bb.15:                               ;   in Loop: Header=BB10_2 Depth=1
	s_mov_b64 s[16:17], 0
	v_mov_b32_e32 v48, v26
	v_mov_b32_e32 v49, v29
.LBB10_16:                              ;   Parent Loop BB10_2 Depth=1
                                        ; =>  This Inner Loop Header: Depth=2
	v_sub_u32_e32 v50, v49, v48
	v_lshrrev_b32_e32 v50, 1, v50
	v_add_u32_e32 v50, v50, v48
	v_not_b32_e32 v52, v50
	v_lshl_add_u32 v51, v50, 2, v25
	v_lshl_add_u32 v52, v52, 2, v27
	ds_read_b32 v51, v51
	ds_read_b32 v52, v52
	v_add_u32_e32 v53, 1, v50
	s_waitcnt lgkmcnt(0)
	v_cmp_lt_i32_e64 s[12:13], v52, v51
	v_cndmask_b32_e64 v49, v49, v50, s[12:13]
	v_cndmask_b32_e64 v48, v53, v48, s[12:13]
	v_cmp_ge_i32_e64 s[12:13], v48, v49
	s_or_b64 s[16:17], s[12:13], s[16:17]
	s_andn2_b64 exec, exec, s[16:17]
	s_cbranch_execnz .LBB10_16
; %bb.17:                               ;   in Loop: Header=BB10_2 Depth=1
	s_or_b64 exec, exec, s[16:17]
.LBB10_18:                              ;   in Loop: Header=BB10_2 Depth=1
	;; [unrolled: 46-line block ×4, first 2 shown]
	s_or_b64 exec, exec, s[14:15]
	v_sub_u32_e32 v49, v40, v48
	v_lshl_add_u32 v50, v48, 2, v37
	v_lshlrev_b32_e32 v51, 2, v49
	ds_read_b32 v50, v50
	ds_read_b32 v51, v51
	v_cmp_ge_i32_e64 s[12:13], v48, v36
	v_cmp_gt_i32_e64 s[14:15], v6, v49
	s_waitcnt lgkmcnt(0)
	s_barrier
	v_cmp_lt_i32_e64 s[16:17], v51, v50
	s_or_b64 s[12:13], s[12:13], s[16:17]
	s_and_b64 s[12:13], s[14:15], s[12:13]
	v_cndmask_b32_e64 v48, v50, v51, s[12:13]
	ds_write_b32 v3, v48
	v_mov_b32_e32 v48, v42
	s_waitcnt lgkmcnt(0)
	s_barrier
	s_and_saveexec_b64 s[14:15], s[10:11]
	s_cbranch_execz .LBB10_1
; %bb.27:                               ;   in Loop: Header=BB10_2 Depth=1
	s_mov_b64 s[16:17], 0
	v_mov_b32_e32 v48, v42
	v_mov_b32_e32 v49, v43
.LBB10_28:                              ;   Parent Loop BB10_2 Depth=1
                                        ; =>  This Inner Loop Header: Depth=2
	v_sub_u32_e32 v50, v49, v48
	v_lshrrev_b32_e32 v50, 1, v50
	v_add_u32_e32 v50, v50, v48
	v_not_b32_e32 v52, v50
	v_lshlrev_b32_e32 v51, 2, v50
	v_lshl_add_u32 v52, v52, 2, v47
	ds_read_b32 v51, v51
	ds_read_b32 v52, v52
	v_add_u32_e32 v53, 1, v50
	s_waitcnt lgkmcnt(0)
	v_cmp_lt_i32_e64 s[12:13], v52, v51
	v_cndmask_b32_e64 v49, v49, v50, s[12:13]
	v_cndmask_b32_e64 v48, v53, v48, s[12:13]
	v_cmp_ge_i32_e64 s[12:13], v48, v49
	s_or_b64 s[16:17], s[12:13], s[16:17]
	s_andn2_b64 exec, exec, s[16:17]
	s_cbranch_execnz .LBB10_28
; %bb.29:                               ;   in Loop: Header=BB10_2 Depth=1
	s_or_b64 exec, exec, s[16:17]
	s_branch .LBB10_1
.LBB10_30:
	s_add_u32 s0, s18, s20
	s_addc_u32 s1, s19, s21
	v_lshlrev_b32_e32 v0, 2, v0
	global_store_dword v0, v48, s[0:1]
	s_endpgm
	.section	.rodata,"a",@progbits
	.p2align	6, 0x0
	.amdhsa_kernel _Z16sort_keys_kernelIiLj128ELj1EN10test_utils4lessELj10EEvPKT_PS2_T2_
		.amdhsa_group_segment_fixed_size 516
		.amdhsa_private_segment_fixed_size 0
		.amdhsa_kernarg_size 20
		.amdhsa_user_sgpr_count 6
		.amdhsa_user_sgpr_private_segment_buffer 1
		.amdhsa_user_sgpr_dispatch_ptr 0
		.amdhsa_user_sgpr_queue_ptr 0
		.amdhsa_user_sgpr_kernarg_segment_ptr 1
		.amdhsa_user_sgpr_dispatch_id 0
		.amdhsa_user_sgpr_flat_scratch_init 0
		.amdhsa_user_sgpr_private_segment_size 0
		.amdhsa_uses_dynamic_stack 0
		.amdhsa_system_sgpr_private_segment_wavefront_offset 0
		.amdhsa_system_sgpr_workgroup_id_x 1
		.amdhsa_system_sgpr_workgroup_id_y 0
		.amdhsa_system_sgpr_workgroup_id_z 0
		.amdhsa_system_sgpr_workgroup_info 0
		.amdhsa_system_vgpr_workitem_id 0
		.amdhsa_next_free_vgpr 54
		.amdhsa_next_free_sgpr 24
		.amdhsa_reserve_vcc 1
		.amdhsa_reserve_flat_scratch 0
		.amdhsa_float_round_mode_32 0
		.amdhsa_float_round_mode_16_64 0
		.amdhsa_float_denorm_mode_32 3
		.amdhsa_float_denorm_mode_16_64 3
		.amdhsa_dx10_clamp 1
		.amdhsa_ieee_mode 1
		.amdhsa_fp16_overflow 0
		.amdhsa_exception_fp_ieee_invalid_op 0
		.amdhsa_exception_fp_denorm_src 0
		.amdhsa_exception_fp_ieee_div_zero 0
		.amdhsa_exception_fp_ieee_overflow 0
		.amdhsa_exception_fp_ieee_underflow 0
		.amdhsa_exception_fp_ieee_inexact 0
		.amdhsa_exception_int_div_zero 0
	.end_amdhsa_kernel
	.section	.text._Z16sort_keys_kernelIiLj128ELj1EN10test_utils4lessELj10EEvPKT_PS2_T2_,"axG",@progbits,_Z16sort_keys_kernelIiLj128ELj1EN10test_utils4lessELj10EEvPKT_PS2_T2_,comdat
.Lfunc_end10:
	.size	_Z16sort_keys_kernelIiLj128ELj1EN10test_utils4lessELj10EEvPKT_PS2_T2_, .Lfunc_end10-_Z16sort_keys_kernelIiLj128ELj1EN10test_utils4lessELj10EEvPKT_PS2_T2_
                                        ; -- End function
	.set _Z16sort_keys_kernelIiLj128ELj1EN10test_utils4lessELj10EEvPKT_PS2_T2_.num_vgpr, 54
	.set _Z16sort_keys_kernelIiLj128ELj1EN10test_utils4lessELj10EEvPKT_PS2_T2_.num_agpr, 0
	.set _Z16sort_keys_kernelIiLj128ELj1EN10test_utils4lessELj10EEvPKT_PS2_T2_.numbered_sgpr, 24
	.set _Z16sort_keys_kernelIiLj128ELj1EN10test_utils4lessELj10EEvPKT_PS2_T2_.num_named_barrier, 0
	.set _Z16sort_keys_kernelIiLj128ELj1EN10test_utils4lessELj10EEvPKT_PS2_T2_.private_seg_size, 0
	.set _Z16sort_keys_kernelIiLj128ELj1EN10test_utils4lessELj10EEvPKT_PS2_T2_.uses_vcc, 1
	.set _Z16sort_keys_kernelIiLj128ELj1EN10test_utils4lessELj10EEvPKT_PS2_T2_.uses_flat_scratch, 0
	.set _Z16sort_keys_kernelIiLj128ELj1EN10test_utils4lessELj10EEvPKT_PS2_T2_.has_dyn_sized_stack, 0
	.set _Z16sort_keys_kernelIiLj128ELj1EN10test_utils4lessELj10EEvPKT_PS2_T2_.has_recursion, 0
	.set _Z16sort_keys_kernelIiLj128ELj1EN10test_utils4lessELj10EEvPKT_PS2_T2_.has_indirect_call, 0
	.section	.AMDGPU.csdata,"",@progbits
; Kernel info:
; codeLenInByte = 2172
; TotalNumSgprs: 28
; NumVgprs: 54
; ScratchSize: 0
; MemoryBound: 0
; FloatMode: 240
; IeeeMode: 1
; LDSByteSize: 516 bytes/workgroup (compile time only)
; SGPRBlocks: 3
; VGPRBlocks: 13
; NumSGPRsForWavesPerEU: 28
; NumVGPRsForWavesPerEU: 54
; Occupancy: 4
; WaveLimiterHint : 0
; COMPUTE_PGM_RSRC2:SCRATCH_EN: 0
; COMPUTE_PGM_RSRC2:USER_SGPR: 6
; COMPUTE_PGM_RSRC2:TRAP_HANDLER: 0
; COMPUTE_PGM_RSRC2:TGID_X_EN: 1
; COMPUTE_PGM_RSRC2:TGID_Y_EN: 0
; COMPUTE_PGM_RSRC2:TGID_Z_EN: 0
; COMPUTE_PGM_RSRC2:TIDIG_COMP_CNT: 0
	.section	.text._Z17sort_pairs_kernelIiLj128ELj1EN10test_utils4lessELj10EEvPKT_PS2_T2_,"axG",@progbits,_Z17sort_pairs_kernelIiLj128ELj1EN10test_utils4lessELj10EEvPKT_PS2_T2_,comdat
	.protected	_Z17sort_pairs_kernelIiLj128ELj1EN10test_utils4lessELj10EEvPKT_PS2_T2_ ; -- Begin function _Z17sort_pairs_kernelIiLj128ELj1EN10test_utils4lessELj10EEvPKT_PS2_T2_
	.globl	_Z17sort_pairs_kernelIiLj128ELj1EN10test_utils4lessELj10EEvPKT_PS2_T2_
	.p2align	8
	.type	_Z17sort_pairs_kernelIiLj128ELj1EN10test_utils4lessELj10EEvPKT_PS2_T2_,@function
_Z17sort_pairs_kernelIiLj128ELj1EN10test_utils4lessELj10EEvPKT_PS2_T2_: ; @_Z17sort_pairs_kernelIiLj128ELj1EN10test_utils4lessELj10EEvPKT_PS2_T2_
; %bb.0:
	s_load_dwordx4 s[16:19], s[4:5], 0x0
	s_lshl_b32 s22, s6, 7
	s_mov_b32 s23, 0
	s_lshl_b64 s[20:21], s[22:23], 2
	v_lshlrev_b32_e32 v5, 2, v0
	s_waitcnt lgkmcnt(0)
	s_add_u32 s0, s16, s20
	s_addc_u32 s1, s17, s21
	global_load_dword v53, v5, s[0:1]
	v_and_b32_e32 v1, 0x7c, v0
	v_and_b32_e32 v4, 0x78, v0
	;; [unrolled: 1-line block ×5, first 2 shown]
	v_or_b32_e32 v2, 2, v1
	v_add_u32_e32 v3, 4, v1
	v_or_b32_e32 v6, 4, v4
	v_add_u32_e32 v7, 8, v4
	;; [unrolled: 2-line block ×5, first 2 shown]
	v_and_b32_e32 v36, 3, v0
	v_sub_u32_e32 v21, v3, v2
	v_and_b32_e32 v38, 7, v0
	v_sub_u32_e32 v23, v7, v6
	;; [unrolled: 2-line block ×6, first 2 shown]
	v_sub_u32_e32 v24, v38, v23
	v_sub_u32_e32 v26, v40, v25
	;; [unrolled: 1-line block ×4, first 2 shown]
	v_and_b32_e32 v34, 1, v0
	v_or_b32_e32 v19, 1, v18
	v_cmp_ge_i32_e64 s[0:1], v36, v21
	v_cmp_ge_i32_e64 s[2:3], v38, v23
	;; [unrolled: 1-line block ×5, first 2 shown]
	v_add_u32_e32 v17, -1, v34
	v_cmp_lt_i32_e32 vcc, 0, v34
	v_sub_u32_e32 v20, v19, v18
	v_cndmask_b32_e64 v21, 0, v22, s[0:1]
	v_sub_u32_e32 v22, v2, v1
	v_cndmask_b32_e64 v23, 0, v24, s[2:3]
	;; [unrolled: 2-line block ×5, first 2 shown]
	v_sub_u32_e32 v30, v15, v14
	v_cndmask_b32_e32 v17, 0, v17, vcc
	v_min_i32_e32 v20, v34, v20
	v_min_i32_e32 v22, v36, v22
	;; [unrolled: 1-line block ×6, first 2 shown]
	v_sub_u32_e64 v31, v0, 64 clamp
	v_min_i32_e32 v32, 64, v0
	v_add_u32_e32 v33, v19, v34
	v_lshlrev_b32_e32 v34, 2, v34
	v_add_u32_e32 v35, v2, v36
	v_lshlrev_b32_e32 v36, 2, v36
	;; [unrolled: 2-line block ×6, first 2 shown]
	v_cmp_lt_i32_e32 vcc, v17, v20
	v_cmp_lt_i32_e64 s[0:1], v21, v22
	v_cmp_lt_i32_e64 s[2:3], v23, v24
	;; [unrolled: 1-line block ×6, first 2 shown]
	v_lshl_add_u32 v34, v19, 2, v34
	v_lshl_add_u32 v36, v2, 2, v36
	;; [unrolled: 1-line block ×6, first 2 shown]
	s_movk_i32 s22, 0x80
	s_waitcnt vmcnt(0)
	v_add_u32_e32 v54, 1, v53
	v_lshlrev_b32_e32 v45, 2, v18
	v_lshlrev_b32_e32 v46, 2, v1
	;; [unrolled: 1-line block ×6, first 2 shown]
	v_add_u32_e32 v51, 64, v0
	v_add_u32_e32 v52, 0x100, v5
	s_branch .LBB11_2
.LBB11_1:                               ;   in Loop: Header=BB11_2 Depth=1
	s_or_b64 exec, exec, s[14:15]
	v_sub_u32_e32 v56, v51, v55
	v_lshlrev_b32_e32 v53, 2, v55
	v_lshlrev_b32_e32 v57, 2, v56
	ds_read_b32 v53, v53
	ds_read_b32 v57, v57
	v_cmp_le_i32_e64 s[12:13], 64, v55
	v_cmp_gt_i32_e64 s[14:15], s22, v56
	s_waitcnt lgkmcnt(0)
	s_barrier
	v_cmp_lt_i32_e64 s[16:17], v57, v53
	s_or_b64 s[12:13], s[12:13], s[16:17]
	s_and_b64 s[12:13], s[14:15], s[12:13]
	v_cndmask_b32_e64 v55, v55, v56, s[12:13]
	ds_write_b32 v5, v54
	v_lshlrev_b32_e32 v54, 2, v55
	s_waitcnt lgkmcnt(0)
	s_barrier
	ds_read_b32 v54, v54
	s_add_i32 s23, s23, 1
	v_cndmask_b32_e64 v53, v53, v57, s[12:13]
	s_cmp_eq_u32 s23, 10
	s_cbranch_scc1 .LBB11_30
.LBB11_2:                               ; =>This Loop Header: Depth=1
                                        ;     Child Loop BB11_4 Depth 2
                                        ;     Child Loop BB11_8 Depth 2
	;; [unrolled: 1-line block ×7, first 2 shown]
	s_waitcnt lgkmcnt(0)
	s_barrier
	ds_write_b32 v5, v53
	v_mov_b32_e32 v53, v17
	s_waitcnt lgkmcnt(0)
	s_barrier
	s_and_saveexec_b64 s[14:15], vcc
	s_cbranch_execz .LBB11_6
; %bb.3:                                ;   in Loop: Header=BB11_2 Depth=1
	s_mov_b64 s[16:17], 0
	v_mov_b32_e32 v53, v17
	v_mov_b32_e32 v55, v20
.LBB11_4:                               ;   Parent Loop BB11_2 Depth=1
                                        ; =>  This Inner Loop Header: Depth=2
	v_sub_u32_e32 v56, v55, v53
	v_lshrrev_b32_e32 v56, 1, v56
	v_add_u32_e32 v56, v56, v53
	v_not_b32_e32 v58, v56
	v_lshl_add_u32 v57, v56, 2, v45
	v_lshl_add_u32 v58, v58, 2, v34
	ds_read_b32 v57, v57
	ds_read_b32 v58, v58
	v_add_u32_e32 v59, 1, v56
	s_waitcnt lgkmcnt(0)
	v_cmp_lt_i32_e64 s[12:13], v58, v57
	v_cndmask_b32_e64 v55, v55, v56, s[12:13]
	v_cndmask_b32_e64 v53, v59, v53, s[12:13]
	v_cmp_ge_i32_e64 s[12:13], v53, v55
	s_or_b64 s[16:17], s[12:13], s[16:17]
	s_andn2_b64 exec, exec, s[16:17]
	s_cbranch_execnz .LBB11_4
; %bb.5:                                ;   in Loop: Header=BB11_2 Depth=1
	s_or_b64 exec, exec, s[16:17]
.LBB11_6:                               ;   in Loop: Header=BB11_2 Depth=1
	s_or_b64 exec, exec, s[14:15]
	v_sub_u32_e32 v55, v33, v53
	v_lshl_add_u32 v56, v53, 2, v45
	v_lshlrev_b32_e32 v57, 2, v55
	ds_read_b32 v56, v56
	ds_read_b32 v57, v57
	v_add_u32_e32 v53, v53, v18
	v_cmp_le_i32_e64 s[14:15], v19, v53
	v_cmp_ge_i32_e64 s[12:13], v19, v55
	s_waitcnt lgkmcnt(0)
	v_cmp_lt_i32_e64 s[16:17], v57, v56
	s_or_b64 s[14:15], s[14:15], s[16:17]
	s_and_b64 s[12:13], s[12:13], s[14:15]
	v_cndmask_b32_e64 v53, v53, v55, s[12:13]
	v_lshlrev_b32_e32 v53, 2, v53
	s_barrier
	ds_write_b32 v5, v54
	s_waitcnt lgkmcnt(0)
	s_barrier
	ds_read_b32 v53, v53
	v_cndmask_b32_e64 v56, v56, v57, s[12:13]
	v_mov_b32_e32 v54, v21
	s_waitcnt lgkmcnt(0)
	s_barrier
	ds_write_b32 v5, v56
	s_waitcnt lgkmcnt(0)
	s_barrier
	s_and_saveexec_b64 s[14:15], s[0:1]
	s_cbranch_execz .LBB11_10
; %bb.7:                                ;   in Loop: Header=BB11_2 Depth=1
	s_mov_b64 s[16:17], 0
	v_mov_b32_e32 v54, v21
	v_mov_b32_e32 v55, v22
.LBB11_8:                               ;   Parent Loop BB11_2 Depth=1
                                        ; =>  This Inner Loop Header: Depth=2
	v_sub_u32_e32 v56, v55, v54
	v_lshrrev_b32_e32 v56, 1, v56
	v_add_u32_e32 v56, v56, v54
	v_not_b32_e32 v58, v56
	v_lshl_add_u32 v57, v56, 2, v46
	v_lshl_add_u32 v58, v58, 2, v36
	ds_read_b32 v57, v57
	ds_read_b32 v58, v58
	v_add_u32_e32 v59, 1, v56
	s_waitcnt lgkmcnt(0)
	v_cmp_lt_i32_e64 s[12:13], v58, v57
	v_cndmask_b32_e64 v55, v55, v56, s[12:13]
	v_cndmask_b32_e64 v54, v59, v54, s[12:13]
	v_cmp_ge_i32_e64 s[12:13], v54, v55
	s_or_b64 s[16:17], s[12:13], s[16:17]
	s_andn2_b64 exec, exec, s[16:17]
	s_cbranch_execnz .LBB11_8
; %bb.9:                                ;   in Loop: Header=BB11_2 Depth=1
	s_or_b64 exec, exec, s[16:17]
.LBB11_10:                              ;   in Loop: Header=BB11_2 Depth=1
	s_or_b64 exec, exec, s[14:15]
	v_sub_u32_e32 v55, v35, v54
	v_lshl_add_u32 v56, v54, 2, v46
	v_lshlrev_b32_e32 v57, 2, v55
	ds_read_b32 v56, v56
	ds_read_b32 v57, v57
	v_add_u32_e32 v54, v54, v1
	v_cmp_le_i32_e64 s[14:15], v2, v54
	v_cmp_gt_i32_e64 s[12:13], v3, v55
	s_waitcnt lgkmcnt(0)
	v_cmp_lt_i32_e64 s[16:17], v57, v56
	s_or_b64 s[14:15], s[14:15], s[16:17]
	s_and_b64 s[12:13], s[12:13], s[14:15]
	v_cndmask_b32_e64 v54, v54, v55, s[12:13]
	s_barrier
	ds_write_b32 v5, v53
	v_lshlrev_b32_e32 v53, 2, v54
	s_waitcnt lgkmcnt(0)
	s_barrier
	ds_read_b32 v53, v53
	v_cndmask_b32_e64 v56, v56, v57, s[12:13]
	v_mov_b32_e32 v54, v23
	s_waitcnt lgkmcnt(0)
	s_barrier
	ds_write_b32 v5, v56
	s_waitcnt lgkmcnt(0)
	s_barrier
	s_and_saveexec_b64 s[14:15], s[2:3]
	s_cbranch_execz .LBB11_14
; %bb.11:                               ;   in Loop: Header=BB11_2 Depth=1
	s_mov_b64 s[16:17], 0
	v_mov_b32_e32 v54, v23
	v_mov_b32_e32 v55, v24
.LBB11_12:                              ;   Parent Loop BB11_2 Depth=1
                                        ; =>  This Inner Loop Header: Depth=2
	v_sub_u32_e32 v56, v55, v54
	v_lshrrev_b32_e32 v56, 1, v56
	v_add_u32_e32 v56, v56, v54
	v_not_b32_e32 v58, v56
	v_lshl_add_u32 v57, v56, 2, v47
	v_lshl_add_u32 v58, v58, 2, v38
	ds_read_b32 v57, v57
	ds_read_b32 v58, v58
	v_add_u32_e32 v59, 1, v56
	s_waitcnt lgkmcnt(0)
	v_cmp_lt_i32_e64 s[12:13], v58, v57
	v_cndmask_b32_e64 v55, v55, v56, s[12:13]
	v_cndmask_b32_e64 v54, v59, v54, s[12:13]
	v_cmp_ge_i32_e64 s[12:13], v54, v55
	s_or_b64 s[16:17], s[12:13], s[16:17]
	s_andn2_b64 exec, exec, s[16:17]
	s_cbranch_execnz .LBB11_12
; %bb.13:                               ;   in Loop: Header=BB11_2 Depth=1
	s_or_b64 exec, exec, s[16:17]
.LBB11_14:                              ;   in Loop: Header=BB11_2 Depth=1
	s_or_b64 exec, exec, s[14:15]
	v_sub_u32_e32 v55, v37, v54
	v_lshl_add_u32 v56, v54, 2, v47
	v_lshlrev_b32_e32 v57, 2, v55
	ds_read_b32 v56, v56
	ds_read_b32 v57, v57
	v_add_u32_e32 v54, v54, v4
	v_cmp_le_i32_e64 s[14:15], v6, v54
	v_cmp_gt_i32_e64 s[12:13], v7, v55
	s_waitcnt lgkmcnt(0)
	v_cmp_lt_i32_e64 s[16:17], v57, v56
	s_or_b64 s[14:15], s[14:15], s[16:17]
	s_and_b64 s[12:13], s[12:13], s[14:15]
	v_cndmask_b32_e64 v54, v54, v55, s[12:13]
	s_barrier
	ds_write_b32 v5, v53
	v_lshlrev_b32_e32 v53, 2, v54
	s_waitcnt lgkmcnt(0)
	s_barrier
	ds_read_b32 v53, v53
	v_cndmask_b32_e64 v56, v56, v57, s[12:13]
	v_mov_b32_e32 v54, v25
	s_waitcnt lgkmcnt(0)
	s_barrier
	ds_write_b32 v5, v56
	s_waitcnt lgkmcnt(0)
	s_barrier
	s_and_saveexec_b64 s[14:15], s[4:5]
	s_cbranch_execz .LBB11_18
; %bb.15:                               ;   in Loop: Header=BB11_2 Depth=1
	s_mov_b64 s[16:17], 0
	v_mov_b32_e32 v54, v25
	v_mov_b32_e32 v55, v26
.LBB11_16:                              ;   Parent Loop BB11_2 Depth=1
                                        ; =>  This Inner Loop Header: Depth=2
	v_sub_u32_e32 v56, v55, v54
	v_lshrrev_b32_e32 v56, 1, v56
	v_add_u32_e32 v56, v56, v54
	v_not_b32_e32 v58, v56
	v_lshl_add_u32 v57, v56, 2, v48
	v_lshl_add_u32 v58, v58, 2, v40
	ds_read_b32 v57, v57
	ds_read_b32 v58, v58
	v_add_u32_e32 v59, 1, v56
	s_waitcnt lgkmcnt(0)
	v_cmp_lt_i32_e64 s[12:13], v58, v57
	v_cndmask_b32_e64 v55, v55, v56, s[12:13]
	v_cndmask_b32_e64 v54, v59, v54, s[12:13]
	v_cmp_ge_i32_e64 s[12:13], v54, v55
	s_or_b64 s[16:17], s[12:13], s[16:17]
	s_andn2_b64 exec, exec, s[16:17]
	s_cbranch_execnz .LBB11_16
; %bb.17:                               ;   in Loop: Header=BB11_2 Depth=1
	s_or_b64 exec, exec, s[16:17]
.LBB11_18:                              ;   in Loop: Header=BB11_2 Depth=1
	;; [unrolled: 55-line block ×4, first 2 shown]
	s_or_b64 exec, exec, s[14:15]
	v_sub_u32_e32 v55, v43, v54
	v_lshl_add_u32 v56, v54, 2, v50
	v_lshlrev_b32_e32 v57, 2, v55
	ds_read_b32 v56, v56
	ds_read_b32 v57, v57
	v_add_u32_e32 v54, v54, v14
	v_cmp_le_i32_e64 s[14:15], v15, v54
	v_cmp_gt_i32_e64 s[12:13], v16, v55
	s_waitcnt lgkmcnt(0)
	v_cmp_lt_i32_e64 s[16:17], v57, v56
	s_or_b64 s[14:15], s[14:15], s[16:17]
	s_and_b64 s[12:13], s[12:13], s[14:15]
	v_cndmask_b32_e64 v54, v54, v55, s[12:13]
	s_barrier
	ds_write_b32 v5, v53
	v_lshlrev_b32_e32 v53, 2, v54
	s_waitcnt lgkmcnt(0)
	s_barrier
	ds_read_b32 v54, v53
	v_cndmask_b32_e64 v56, v56, v57, s[12:13]
	v_mov_b32_e32 v55, v31
	s_waitcnt lgkmcnt(0)
	s_barrier
	ds_write_b32 v5, v56
	s_waitcnt lgkmcnt(0)
	s_barrier
	s_and_saveexec_b64 s[14:15], s[10:11]
	s_cbranch_execz .LBB11_1
; %bb.27:                               ;   in Loop: Header=BB11_2 Depth=1
	s_mov_b64 s[16:17], 0
	v_mov_b32_e32 v55, v31
	v_mov_b32_e32 v53, v32
.LBB11_28:                              ;   Parent Loop BB11_2 Depth=1
                                        ; =>  This Inner Loop Header: Depth=2
	v_sub_u32_e32 v56, v53, v55
	v_lshrrev_b32_e32 v56, 1, v56
	v_add_u32_e32 v56, v56, v55
	v_not_b32_e32 v58, v56
	v_lshlrev_b32_e32 v57, 2, v56
	v_lshl_add_u32 v58, v58, 2, v52
	ds_read_b32 v57, v57
	ds_read_b32 v58, v58
	v_add_u32_e32 v59, 1, v56
	s_waitcnt lgkmcnt(0)
	v_cmp_lt_i32_e64 s[12:13], v58, v57
	v_cndmask_b32_e64 v53, v53, v56, s[12:13]
	v_cndmask_b32_e64 v55, v59, v55, s[12:13]
	v_cmp_ge_i32_e64 s[12:13], v55, v53
	s_or_b64 s[16:17], s[12:13], s[16:17]
	s_andn2_b64 exec, exec, s[16:17]
	s_cbranch_execnz .LBB11_28
; %bb.29:                               ;   in Loop: Header=BB11_2 Depth=1
	s_or_b64 exec, exec, s[16:17]
	s_branch .LBB11_1
.LBB11_30:
	s_add_u32 s0, s18, s20
	s_waitcnt lgkmcnt(0)
	v_add_u32_e32 v1, v53, v54
	s_addc_u32 s1, s19, s21
	v_lshlrev_b32_e32 v0, 2, v0
	global_store_dword v0, v1, s[0:1]
	s_endpgm
	.section	.rodata,"a",@progbits
	.p2align	6, 0x0
	.amdhsa_kernel _Z17sort_pairs_kernelIiLj128ELj1EN10test_utils4lessELj10EEvPKT_PS2_T2_
		.amdhsa_group_segment_fixed_size 516
		.amdhsa_private_segment_fixed_size 0
		.amdhsa_kernarg_size 20
		.amdhsa_user_sgpr_count 6
		.amdhsa_user_sgpr_private_segment_buffer 1
		.amdhsa_user_sgpr_dispatch_ptr 0
		.amdhsa_user_sgpr_queue_ptr 0
		.amdhsa_user_sgpr_kernarg_segment_ptr 1
		.amdhsa_user_sgpr_dispatch_id 0
		.amdhsa_user_sgpr_flat_scratch_init 0
		.amdhsa_user_sgpr_private_segment_size 0
		.amdhsa_uses_dynamic_stack 0
		.amdhsa_system_sgpr_private_segment_wavefront_offset 0
		.amdhsa_system_sgpr_workgroup_id_x 1
		.amdhsa_system_sgpr_workgroup_id_y 0
		.amdhsa_system_sgpr_workgroup_id_z 0
		.amdhsa_system_sgpr_workgroup_info 0
		.amdhsa_system_vgpr_workitem_id 0
		.amdhsa_next_free_vgpr 60
		.amdhsa_next_free_sgpr 24
		.amdhsa_reserve_vcc 1
		.amdhsa_reserve_flat_scratch 0
		.amdhsa_float_round_mode_32 0
		.amdhsa_float_round_mode_16_64 0
		.amdhsa_float_denorm_mode_32 3
		.amdhsa_float_denorm_mode_16_64 3
		.amdhsa_dx10_clamp 1
		.amdhsa_ieee_mode 1
		.amdhsa_fp16_overflow 0
		.amdhsa_exception_fp_ieee_invalid_op 0
		.amdhsa_exception_fp_denorm_src 0
		.amdhsa_exception_fp_ieee_div_zero 0
		.amdhsa_exception_fp_ieee_overflow 0
		.amdhsa_exception_fp_ieee_underflow 0
		.amdhsa_exception_fp_ieee_inexact 0
		.amdhsa_exception_int_div_zero 0
	.end_amdhsa_kernel
	.section	.text._Z17sort_pairs_kernelIiLj128ELj1EN10test_utils4lessELj10EEvPKT_PS2_T2_,"axG",@progbits,_Z17sort_pairs_kernelIiLj128ELj1EN10test_utils4lessELj10EEvPKT_PS2_T2_,comdat
.Lfunc_end11:
	.size	_Z17sort_pairs_kernelIiLj128ELj1EN10test_utils4lessELj10EEvPKT_PS2_T2_, .Lfunc_end11-_Z17sort_pairs_kernelIiLj128ELj1EN10test_utils4lessELj10EEvPKT_PS2_T2_
                                        ; -- End function
	.set _Z17sort_pairs_kernelIiLj128ELj1EN10test_utils4lessELj10EEvPKT_PS2_T2_.num_vgpr, 60
	.set _Z17sort_pairs_kernelIiLj128ELj1EN10test_utils4lessELj10EEvPKT_PS2_T2_.num_agpr, 0
	.set _Z17sort_pairs_kernelIiLj128ELj1EN10test_utils4lessELj10EEvPKT_PS2_T2_.numbered_sgpr, 24
	.set _Z17sort_pairs_kernelIiLj128ELj1EN10test_utils4lessELj10EEvPKT_PS2_T2_.num_named_barrier, 0
	.set _Z17sort_pairs_kernelIiLj128ELj1EN10test_utils4lessELj10EEvPKT_PS2_T2_.private_seg_size, 0
	.set _Z17sort_pairs_kernelIiLj128ELj1EN10test_utils4lessELj10EEvPKT_PS2_T2_.uses_vcc, 1
	.set _Z17sort_pairs_kernelIiLj128ELj1EN10test_utils4lessELj10EEvPKT_PS2_T2_.uses_flat_scratch, 0
	.set _Z17sort_pairs_kernelIiLj128ELj1EN10test_utils4lessELj10EEvPKT_PS2_T2_.has_dyn_sized_stack, 0
	.set _Z17sort_pairs_kernelIiLj128ELj1EN10test_utils4lessELj10EEvPKT_PS2_T2_.has_recursion, 0
	.set _Z17sort_pairs_kernelIiLj128ELj1EN10test_utils4lessELj10EEvPKT_PS2_T2_.has_indirect_call, 0
	.section	.AMDGPU.csdata,"",@progbits
; Kernel info:
; codeLenInByte = 2516
; TotalNumSgprs: 28
; NumVgprs: 60
; ScratchSize: 0
; MemoryBound: 0
; FloatMode: 240
; IeeeMode: 1
; LDSByteSize: 516 bytes/workgroup (compile time only)
; SGPRBlocks: 3
; VGPRBlocks: 14
; NumSGPRsForWavesPerEU: 28
; NumVGPRsForWavesPerEU: 60
; Occupancy: 4
; WaveLimiterHint : 0
; COMPUTE_PGM_RSRC2:SCRATCH_EN: 0
; COMPUTE_PGM_RSRC2:USER_SGPR: 6
; COMPUTE_PGM_RSRC2:TRAP_HANDLER: 0
; COMPUTE_PGM_RSRC2:TGID_X_EN: 1
; COMPUTE_PGM_RSRC2:TGID_Y_EN: 0
; COMPUTE_PGM_RSRC2:TGID_Z_EN: 0
; COMPUTE_PGM_RSRC2:TIDIG_COMP_CNT: 0
	.section	.text._Z16sort_keys_kernelIiLj128ELj2EN10test_utils4lessELj10EEvPKT_PS2_T2_,"axG",@progbits,_Z16sort_keys_kernelIiLj128ELj2EN10test_utils4lessELj10EEvPKT_PS2_T2_,comdat
	.protected	_Z16sort_keys_kernelIiLj128ELj2EN10test_utils4lessELj10EEvPKT_PS2_T2_ ; -- Begin function _Z16sort_keys_kernelIiLj128ELj2EN10test_utils4lessELj10EEvPKT_PS2_T2_
	.globl	_Z16sort_keys_kernelIiLj128ELj2EN10test_utils4lessELj10EEvPKT_PS2_T2_
	.p2align	8
	.type	_Z16sort_keys_kernelIiLj128ELj2EN10test_utils4lessELj10EEvPKT_PS2_T2_,@function
_Z16sort_keys_kernelIiLj128ELj2EN10test_utils4lessELj10EEvPKT_PS2_T2_: ; @_Z16sort_keys_kernelIiLj128ELj2EN10test_utils4lessELj10EEvPKT_PS2_T2_
; %bb.0:
	s_load_dwordx4 s[16:19], s[4:5], 0x0
	s_lshl_b32 s22, s6, 8
	s_mov_b32 s23, 0
	s_lshl_b64 s[20:21], s[22:23], 2
	v_lshlrev_b32_e32 v10, 2, v0
	s_waitcnt lgkmcnt(0)
	s_add_u32 s0, s16, s20
	s_addc_u32 s1, s17, s21
	global_load_dword v55, v10, s[0:1]
	global_load_dword v56, v10, s[0:1] offset:512
	v_lshlrev_b32_e32 v34, 1, v0
	v_and_b32_e32 v1, 0xfc, v34
	v_and_b32_e32 v4, 0xf8, v34
	;; [unrolled: 1-line block ×6, first 2 shown]
	v_or_b32_e32 v2, 2, v1
	v_add_u32_e32 v3, 4, v1
	v_or_b32_e32 v5, 4, v4
	v_add_u32_e32 v6, 8, v4
	;; [unrolled: 2-line block ×6, first 2 shown]
	v_and_b32_e32 v36, 2, v34
	v_sub_u32_e32 v19, v3, v2
	v_and_b32_e32 v38, 6, v34
	v_sub_u32_e32 v21, v6, v5
	;; [unrolled: 2-line block ×6, first 2 shown]
	v_sub_u32_e32 v20, v36, v19
	v_sub_u32_e32 v22, v38, v21
	;; [unrolled: 1-line block ×6, first 2 shown]
	v_cmp_ge_i32_e32 vcc, v36, v19
	v_cmp_ge_i32_e64 s[0:1], v38, v21
	v_cmp_ge_i32_e64 s[2:3], v40, v23
	;; [unrolled: 1-line block ×5, first 2 shown]
	v_cndmask_b32_e32 v19, 0, v20, vcc
	v_sub_u32_e32 v20, v2, v1
	v_cndmask_b32_e64 v21, 0, v22, s[0:1]
	v_sub_u32_e32 v22, v5, v4
	v_cndmask_b32_e64 v23, 0, v24, s[2:3]
	;; [unrolled: 2-line block ×5, first 2 shown]
	v_sub_u32_e32 v30, v17, v16
	v_mov_b32_e32 v31, 0x80
	v_min_i32_e32 v20, v36, v20
	v_min_i32_e32 v22, v38, v22
	;; [unrolled: 1-line block ×6, first 2 shown]
	v_sub_u32_e64 v32, v34, v31 clamp
	v_min_i32_e32 v33, 0x80, v34
	v_add_u32_e32 v35, v2, v36
	v_lshlrev_b32_e32 v36, 2, v36
	v_add_u32_e32 v37, v5, v38
	v_lshlrev_b32_e32 v38, 2, v38
	;; [unrolled: 2-line block ×6, first 2 shown]
	v_lshlrev_b32_e32 v47, 3, v0
	v_cmp_lt_i32_e32 vcc, v19, v20
	v_cmp_lt_i32_e64 s[0:1], v21, v22
	v_cmp_lt_i32_e64 s[2:3], v23, v24
	;; [unrolled: 1-line block ×6, first 2 shown]
	v_add_u32_e32 v34, 0x80, v34
	v_lshl_add_u32 v36, v2, 2, v36
	v_lshl_add_u32 v38, v5, 2, v38
	;; [unrolled: 1-line block ×6, first 2 shown]
	s_movk_i32 s22, 0x100
	v_lshlrev_b32_e32 v48, 2, v1
	v_lshlrev_b32_e32 v49, 2, v4
	;; [unrolled: 1-line block ×6, first 2 shown]
	v_add_u32_e32 v54, 0x200, v47
	s_branch .LBB12_2
.LBB12_1:                               ;   in Loop: Header=BB12_2 Depth=1
	s_or_b64 exec, exec, s[14:15]
	v_cmp_ge_i32_e64 s[14:15], v56, v31
	s_waitcnt lgkmcnt(0)
	v_cmp_lt_i32_e64 s[16:17], v61, v59
	v_cndmask_b32_e64 v55, v55, v58, s[12:13]
	v_cmp_gt_i32_e64 s[12:13], s22, v57
	s_or_b64 s[14:15], s[14:15], s[16:17]
	s_and_b64 s[12:13], s[12:13], s[14:15]
	s_add_i32 s23, s23, 1
	s_cmp_eq_u32 s23, 10
	v_cndmask_b32_e64 v56, v59, v61, s[12:13]
	s_cbranch_scc1 .LBB12_58
.LBB12_2:                               ; =>This Loop Header: Depth=1
                                        ;     Child Loop BB12_4 Depth 2
                                        ;     Child Loop BB12_12 Depth 2
	;; [unrolled: 1-line block ×7, first 2 shown]
	s_waitcnt vmcnt(0)
	v_cmp_lt_i32_e64 s[12:13], v56, v55
	v_cndmask_b32_e64 v57, v56, v55, s[12:13]
	v_cndmask_b32_e64 v55, v55, v56, s[12:13]
	v_mov_b32_e32 v56, v19
	s_barrier
	ds_write2_b32 v47, v55, v57 offset1:1
	s_waitcnt lgkmcnt(0)
	s_barrier
	s_and_saveexec_b64 s[14:15], vcc
	s_cbranch_execz .LBB12_6
; %bb.3:                                ;   in Loop: Header=BB12_2 Depth=1
	s_mov_b64 s[16:17], 0
	v_mov_b32_e32 v56, v19
	v_mov_b32_e32 v55, v20
.LBB12_4:                               ;   Parent Loop BB12_2 Depth=1
                                        ; =>  This Inner Loop Header: Depth=2
	v_sub_u32_e32 v57, v55, v56
	v_lshrrev_b32_e32 v57, 1, v57
	v_add_u32_e32 v57, v57, v56
	v_not_b32_e32 v59, v57
	v_lshl_add_u32 v58, v57, 2, v48
	v_lshl_add_u32 v59, v59, 2, v36
	ds_read_b32 v58, v58
	ds_read_b32 v59, v59
	v_add_u32_e32 v60, 1, v57
	s_waitcnt lgkmcnt(0)
	v_cmp_lt_i32_e64 s[12:13], v59, v58
	v_cndmask_b32_e64 v55, v55, v57, s[12:13]
	v_cndmask_b32_e64 v56, v60, v56, s[12:13]
	v_cmp_ge_i32_e64 s[12:13], v56, v55
	s_or_b64 s[16:17], s[12:13], s[16:17]
	s_andn2_b64 exec, exec, s[16:17]
	s_cbranch_execnz .LBB12_4
; %bb.5:                                ;   in Loop: Header=BB12_2 Depth=1
	s_or_b64 exec, exec, s[16:17]
.LBB12_6:                               ;   in Loop: Header=BB12_2 Depth=1
	s_or_b64 exec, exec, s[14:15]
	v_sub_u32_e32 v55, v35, v56
	v_lshl_add_u32 v61, v56, 2, v48
	v_lshlrev_b32_e32 v60, 2, v55
	ds_read_b32 v57, v61
	ds_read_b32 v58, v60
	v_add_u32_e32 v56, v56, v1
	v_cmp_le_i32_e64 s[14:15], v2, v56
	v_cmp_gt_i32_e64 s[12:13], v3, v55
                                        ; implicit-def: $vgpr59
	s_waitcnt lgkmcnt(0)
	v_cmp_lt_i32_e64 s[16:17], v58, v57
	s_or_b64 s[14:15], s[14:15], s[16:17]
	s_and_b64 s[12:13], s[12:13], s[14:15]
	s_xor_b64 s[14:15], s[12:13], -1
	s_and_saveexec_b64 s[16:17], s[14:15]
	s_xor_b64 s[14:15], exec, s[16:17]
; %bb.7:                                ;   in Loop: Header=BB12_2 Depth=1
	ds_read_b32 v59, v61 offset:4
                                        ; implicit-def: $vgpr60
; %bb.8:                                ;   in Loop: Header=BB12_2 Depth=1
	s_or_saveexec_b64 s[14:15], s[14:15]
	v_mov_b32_e32 v61, v58
	s_xor_b64 exec, exec, s[14:15]
	s_cbranch_execz .LBB12_10
; %bb.9:                                ;   in Loop: Header=BB12_2 Depth=1
	ds_read_b32 v61, v60 offset:4
	s_waitcnt lgkmcnt(1)
	v_mov_b32_e32 v59, v57
.LBB12_10:                              ;   in Loop: Header=BB12_2 Depth=1
	s_or_b64 exec, exec, s[14:15]
	v_add_u32_e32 v60, 1, v56
	v_cndmask_b32_e64 v57, v57, v58, s[12:13]
	v_add_u32_e32 v58, 1, v55
	v_cndmask_b32_e64 v56, v60, v56, s[12:13]
	v_cndmask_b32_e64 v55, v55, v58, s[12:13]
	v_cmp_ge_i32_e64 s[14:15], v56, v2
	s_waitcnt lgkmcnt(0)
	v_cmp_lt_i32_e64 s[16:17], v61, v59
	v_cmp_lt_i32_e64 s[12:13], v55, v3
	s_or_b64 s[14:15], s[14:15], s[16:17]
	s_and_b64 s[12:13], s[12:13], s[14:15]
	v_cndmask_b32_e64 v55, v59, v61, s[12:13]
	s_barrier
	ds_write2_b32 v47, v57, v55 offset1:1
	v_mov_b32_e32 v55, v21
	s_waitcnt lgkmcnt(0)
	s_barrier
	s_and_saveexec_b64 s[14:15], s[0:1]
	s_cbranch_execz .LBB12_14
; %bb.11:                               ;   in Loop: Header=BB12_2 Depth=1
	s_mov_b64 s[16:17], 0
	v_mov_b32_e32 v55, v21
	v_mov_b32_e32 v56, v22
.LBB12_12:                              ;   Parent Loop BB12_2 Depth=1
                                        ; =>  This Inner Loop Header: Depth=2
	v_sub_u32_e32 v57, v56, v55
	v_lshrrev_b32_e32 v57, 1, v57
	v_add_u32_e32 v57, v57, v55
	v_not_b32_e32 v59, v57
	v_lshl_add_u32 v58, v57, 2, v49
	v_lshl_add_u32 v59, v59, 2, v38
	ds_read_b32 v58, v58
	ds_read_b32 v59, v59
	v_add_u32_e32 v60, 1, v57
	s_waitcnt lgkmcnt(0)
	v_cmp_lt_i32_e64 s[12:13], v59, v58
	v_cndmask_b32_e64 v56, v56, v57, s[12:13]
	v_cndmask_b32_e64 v55, v60, v55, s[12:13]
	v_cmp_ge_i32_e64 s[12:13], v55, v56
	s_or_b64 s[16:17], s[12:13], s[16:17]
	s_andn2_b64 exec, exec, s[16:17]
	s_cbranch_execnz .LBB12_12
; %bb.13:                               ;   in Loop: Header=BB12_2 Depth=1
	s_or_b64 exec, exec, s[16:17]
.LBB12_14:                              ;   in Loop: Header=BB12_2 Depth=1
	s_or_b64 exec, exec, s[14:15]
	v_sub_u32_e32 v56, v37, v55
	v_lshl_add_u32 v61, v55, 2, v49
	v_lshlrev_b32_e32 v60, 2, v56
	ds_read_b32 v57, v61
	ds_read_b32 v58, v60
	v_add_u32_e32 v55, v55, v4
	v_cmp_le_i32_e64 s[14:15], v5, v55
	v_cmp_gt_i32_e64 s[12:13], v6, v56
                                        ; implicit-def: $vgpr59
	s_waitcnt lgkmcnt(0)
	v_cmp_lt_i32_e64 s[16:17], v58, v57
	s_or_b64 s[14:15], s[14:15], s[16:17]
	s_and_b64 s[12:13], s[12:13], s[14:15]
	s_xor_b64 s[14:15], s[12:13], -1
	s_and_saveexec_b64 s[16:17], s[14:15]
	s_xor_b64 s[14:15], exec, s[16:17]
; %bb.15:                               ;   in Loop: Header=BB12_2 Depth=1
	ds_read_b32 v59, v61 offset:4
                                        ; implicit-def: $vgpr60
; %bb.16:                               ;   in Loop: Header=BB12_2 Depth=1
	s_or_saveexec_b64 s[14:15], s[14:15]
	v_mov_b32_e32 v61, v58
	s_xor_b64 exec, exec, s[14:15]
	s_cbranch_execz .LBB12_18
; %bb.17:                               ;   in Loop: Header=BB12_2 Depth=1
	ds_read_b32 v61, v60 offset:4
	s_waitcnt lgkmcnt(1)
	v_mov_b32_e32 v59, v57
.LBB12_18:                              ;   in Loop: Header=BB12_2 Depth=1
	s_or_b64 exec, exec, s[14:15]
	v_add_u32_e32 v60, 1, v55
	v_cndmask_b32_e64 v57, v57, v58, s[12:13]
	v_add_u32_e32 v58, 1, v56
	v_cndmask_b32_e64 v55, v60, v55, s[12:13]
	v_cndmask_b32_e64 v56, v56, v58, s[12:13]
	v_cmp_ge_i32_e64 s[14:15], v55, v5
	s_waitcnt lgkmcnt(0)
	v_cmp_lt_i32_e64 s[16:17], v61, v59
	v_cmp_lt_i32_e64 s[12:13], v56, v6
	s_or_b64 s[14:15], s[14:15], s[16:17]
	s_and_b64 s[12:13], s[12:13], s[14:15]
	v_cndmask_b32_e64 v55, v59, v61, s[12:13]
	s_barrier
	ds_write2_b32 v47, v57, v55 offset1:1
	v_mov_b32_e32 v55, v23
	s_waitcnt lgkmcnt(0)
	s_barrier
	s_and_saveexec_b64 s[14:15], s[2:3]
	s_cbranch_execz .LBB12_22
; %bb.19:                               ;   in Loop: Header=BB12_2 Depth=1
	s_mov_b64 s[16:17], 0
	v_mov_b32_e32 v55, v23
	v_mov_b32_e32 v56, v24
.LBB12_20:                              ;   Parent Loop BB12_2 Depth=1
                                        ; =>  This Inner Loop Header: Depth=2
	v_sub_u32_e32 v57, v56, v55
	v_lshrrev_b32_e32 v57, 1, v57
	v_add_u32_e32 v57, v57, v55
	v_not_b32_e32 v59, v57
	v_lshl_add_u32 v58, v57, 2, v50
	v_lshl_add_u32 v59, v59, 2, v40
	ds_read_b32 v58, v58
	ds_read_b32 v59, v59
	v_add_u32_e32 v60, 1, v57
	s_waitcnt lgkmcnt(0)
	v_cmp_lt_i32_e64 s[12:13], v59, v58
	v_cndmask_b32_e64 v56, v56, v57, s[12:13]
	v_cndmask_b32_e64 v55, v60, v55, s[12:13]
	v_cmp_ge_i32_e64 s[12:13], v55, v56
	s_or_b64 s[16:17], s[12:13], s[16:17]
	s_andn2_b64 exec, exec, s[16:17]
	s_cbranch_execnz .LBB12_20
; %bb.21:                               ;   in Loop: Header=BB12_2 Depth=1
	s_or_b64 exec, exec, s[16:17]
.LBB12_22:                              ;   in Loop: Header=BB12_2 Depth=1
	s_or_b64 exec, exec, s[14:15]
	v_sub_u32_e32 v56, v39, v55
	v_lshl_add_u32 v61, v55, 2, v50
	v_lshlrev_b32_e32 v60, 2, v56
	ds_read_b32 v57, v61
	ds_read_b32 v58, v60
	v_add_u32_e32 v55, v55, v7
	v_cmp_le_i32_e64 s[14:15], v8, v55
	v_cmp_gt_i32_e64 s[12:13], v9, v56
                                        ; implicit-def: $vgpr59
	s_waitcnt lgkmcnt(0)
	v_cmp_lt_i32_e64 s[16:17], v58, v57
	s_or_b64 s[14:15], s[14:15], s[16:17]
	s_and_b64 s[12:13], s[12:13], s[14:15]
	s_xor_b64 s[14:15], s[12:13], -1
	s_and_saveexec_b64 s[16:17], s[14:15]
	s_xor_b64 s[14:15], exec, s[16:17]
; %bb.23:                               ;   in Loop: Header=BB12_2 Depth=1
	ds_read_b32 v59, v61 offset:4
                                        ; implicit-def: $vgpr60
; %bb.24:                               ;   in Loop: Header=BB12_2 Depth=1
	s_or_saveexec_b64 s[14:15], s[14:15]
	v_mov_b32_e32 v61, v58
	s_xor_b64 exec, exec, s[14:15]
	s_cbranch_execz .LBB12_26
; %bb.25:                               ;   in Loop: Header=BB12_2 Depth=1
	ds_read_b32 v61, v60 offset:4
	s_waitcnt lgkmcnt(1)
	v_mov_b32_e32 v59, v57
.LBB12_26:                              ;   in Loop: Header=BB12_2 Depth=1
	s_or_b64 exec, exec, s[14:15]
	v_add_u32_e32 v60, 1, v55
	v_cndmask_b32_e64 v57, v57, v58, s[12:13]
	v_add_u32_e32 v58, 1, v56
	v_cndmask_b32_e64 v55, v60, v55, s[12:13]
	v_cndmask_b32_e64 v56, v56, v58, s[12:13]
	v_cmp_ge_i32_e64 s[14:15], v55, v8
	s_waitcnt lgkmcnt(0)
	v_cmp_lt_i32_e64 s[16:17], v61, v59
	v_cmp_lt_i32_e64 s[12:13], v56, v9
	s_or_b64 s[14:15], s[14:15], s[16:17]
	s_and_b64 s[12:13], s[12:13], s[14:15]
	v_cndmask_b32_e64 v55, v59, v61, s[12:13]
	s_barrier
	ds_write2_b32 v47, v57, v55 offset1:1
	v_mov_b32_e32 v55, v25
	s_waitcnt lgkmcnt(0)
	s_barrier
	s_and_saveexec_b64 s[14:15], s[4:5]
	s_cbranch_execz .LBB12_30
; %bb.27:                               ;   in Loop: Header=BB12_2 Depth=1
	s_mov_b64 s[16:17], 0
	v_mov_b32_e32 v55, v25
	v_mov_b32_e32 v56, v26
.LBB12_28:                              ;   Parent Loop BB12_2 Depth=1
                                        ; =>  This Inner Loop Header: Depth=2
	v_sub_u32_e32 v57, v56, v55
	v_lshrrev_b32_e32 v57, 1, v57
	v_add_u32_e32 v57, v57, v55
	v_not_b32_e32 v59, v57
	v_lshl_add_u32 v58, v57, 2, v51
	v_lshl_add_u32 v59, v59, 2, v42
	ds_read_b32 v58, v58
	ds_read_b32 v59, v59
	v_add_u32_e32 v60, 1, v57
	s_waitcnt lgkmcnt(0)
	v_cmp_lt_i32_e64 s[12:13], v59, v58
	v_cndmask_b32_e64 v56, v56, v57, s[12:13]
	v_cndmask_b32_e64 v55, v60, v55, s[12:13]
	v_cmp_ge_i32_e64 s[12:13], v55, v56
	s_or_b64 s[16:17], s[12:13], s[16:17]
	s_andn2_b64 exec, exec, s[16:17]
	s_cbranch_execnz .LBB12_28
; %bb.29:                               ;   in Loop: Header=BB12_2 Depth=1
	s_or_b64 exec, exec, s[16:17]
.LBB12_30:                              ;   in Loop: Header=BB12_2 Depth=1
	s_or_b64 exec, exec, s[14:15]
	v_sub_u32_e32 v56, v41, v55
	v_lshl_add_u32 v61, v55, 2, v51
	v_lshlrev_b32_e32 v60, 2, v56
	ds_read_b32 v57, v61
	ds_read_b32 v58, v60
	v_add_u32_e32 v55, v55, v10
	v_cmp_le_i32_e64 s[14:15], v11, v55
	v_cmp_gt_i32_e64 s[12:13], v12, v56
                                        ; implicit-def: $vgpr59
	s_waitcnt lgkmcnt(0)
	v_cmp_lt_i32_e64 s[16:17], v58, v57
	s_or_b64 s[14:15], s[14:15], s[16:17]
	s_and_b64 s[12:13], s[12:13], s[14:15]
	s_xor_b64 s[14:15], s[12:13], -1
	s_and_saveexec_b64 s[16:17], s[14:15]
	s_xor_b64 s[14:15], exec, s[16:17]
; %bb.31:                               ;   in Loop: Header=BB12_2 Depth=1
	ds_read_b32 v59, v61 offset:4
                                        ; implicit-def: $vgpr60
; %bb.32:                               ;   in Loop: Header=BB12_2 Depth=1
	s_or_saveexec_b64 s[14:15], s[14:15]
	v_mov_b32_e32 v61, v58
	s_xor_b64 exec, exec, s[14:15]
	s_cbranch_execz .LBB12_34
; %bb.33:                               ;   in Loop: Header=BB12_2 Depth=1
	ds_read_b32 v61, v60 offset:4
	s_waitcnt lgkmcnt(1)
	v_mov_b32_e32 v59, v57
.LBB12_34:                              ;   in Loop: Header=BB12_2 Depth=1
	s_or_b64 exec, exec, s[14:15]
	v_add_u32_e32 v60, 1, v55
	v_cndmask_b32_e64 v57, v57, v58, s[12:13]
	v_add_u32_e32 v58, 1, v56
	v_cndmask_b32_e64 v55, v60, v55, s[12:13]
	v_cndmask_b32_e64 v56, v56, v58, s[12:13]
	v_cmp_ge_i32_e64 s[14:15], v55, v11
	s_waitcnt lgkmcnt(0)
	v_cmp_lt_i32_e64 s[16:17], v61, v59
	v_cmp_lt_i32_e64 s[12:13], v56, v12
	s_or_b64 s[14:15], s[14:15], s[16:17]
	s_and_b64 s[12:13], s[12:13], s[14:15]
	v_cndmask_b32_e64 v55, v59, v61, s[12:13]
	s_barrier
	ds_write2_b32 v47, v57, v55 offset1:1
	v_mov_b32_e32 v55, v27
	s_waitcnt lgkmcnt(0)
	s_barrier
	s_and_saveexec_b64 s[14:15], s[6:7]
	s_cbranch_execz .LBB12_38
; %bb.35:                               ;   in Loop: Header=BB12_2 Depth=1
	s_mov_b64 s[16:17], 0
	v_mov_b32_e32 v55, v27
	v_mov_b32_e32 v56, v28
.LBB12_36:                              ;   Parent Loop BB12_2 Depth=1
                                        ; =>  This Inner Loop Header: Depth=2
	v_sub_u32_e32 v57, v56, v55
	v_lshrrev_b32_e32 v57, 1, v57
	v_add_u32_e32 v57, v57, v55
	v_not_b32_e32 v59, v57
	v_lshl_add_u32 v58, v57, 2, v52
	v_lshl_add_u32 v59, v59, 2, v44
	ds_read_b32 v58, v58
	ds_read_b32 v59, v59
	v_add_u32_e32 v60, 1, v57
	s_waitcnt lgkmcnt(0)
	v_cmp_lt_i32_e64 s[12:13], v59, v58
	v_cndmask_b32_e64 v56, v56, v57, s[12:13]
	v_cndmask_b32_e64 v55, v60, v55, s[12:13]
	v_cmp_ge_i32_e64 s[12:13], v55, v56
	s_or_b64 s[16:17], s[12:13], s[16:17]
	s_andn2_b64 exec, exec, s[16:17]
	s_cbranch_execnz .LBB12_36
; %bb.37:                               ;   in Loop: Header=BB12_2 Depth=1
	s_or_b64 exec, exec, s[16:17]
.LBB12_38:                              ;   in Loop: Header=BB12_2 Depth=1
	s_or_b64 exec, exec, s[14:15]
	v_sub_u32_e32 v56, v43, v55
	v_lshl_add_u32 v61, v55, 2, v52
	v_lshlrev_b32_e32 v60, 2, v56
	ds_read_b32 v57, v61
	ds_read_b32 v58, v60
	v_add_u32_e32 v55, v55, v13
	v_cmp_le_i32_e64 s[14:15], v14, v55
	v_cmp_gt_i32_e64 s[12:13], v15, v56
                                        ; implicit-def: $vgpr59
	s_waitcnt lgkmcnt(0)
	v_cmp_lt_i32_e64 s[16:17], v58, v57
	s_or_b64 s[14:15], s[14:15], s[16:17]
	s_and_b64 s[12:13], s[12:13], s[14:15]
	s_xor_b64 s[14:15], s[12:13], -1
	s_and_saveexec_b64 s[16:17], s[14:15]
	s_xor_b64 s[14:15], exec, s[16:17]
; %bb.39:                               ;   in Loop: Header=BB12_2 Depth=1
	ds_read_b32 v59, v61 offset:4
                                        ; implicit-def: $vgpr60
; %bb.40:                               ;   in Loop: Header=BB12_2 Depth=1
	s_or_saveexec_b64 s[14:15], s[14:15]
	v_mov_b32_e32 v61, v58
	s_xor_b64 exec, exec, s[14:15]
	s_cbranch_execz .LBB12_42
; %bb.41:                               ;   in Loop: Header=BB12_2 Depth=1
	ds_read_b32 v61, v60 offset:4
	s_waitcnt lgkmcnt(1)
	v_mov_b32_e32 v59, v57
.LBB12_42:                              ;   in Loop: Header=BB12_2 Depth=1
	s_or_b64 exec, exec, s[14:15]
	v_add_u32_e32 v60, 1, v55
	v_cndmask_b32_e64 v57, v57, v58, s[12:13]
	v_add_u32_e32 v58, 1, v56
	v_cndmask_b32_e64 v55, v60, v55, s[12:13]
	v_cndmask_b32_e64 v56, v56, v58, s[12:13]
	v_cmp_ge_i32_e64 s[14:15], v55, v14
	s_waitcnt lgkmcnt(0)
	v_cmp_lt_i32_e64 s[16:17], v61, v59
	v_cmp_lt_i32_e64 s[12:13], v56, v15
	s_or_b64 s[14:15], s[14:15], s[16:17]
	s_and_b64 s[12:13], s[12:13], s[14:15]
	v_cndmask_b32_e64 v55, v59, v61, s[12:13]
	s_barrier
	ds_write2_b32 v47, v57, v55 offset1:1
	v_mov_b32_e32 v55, v29
	s_waitcnt lgkmcnt(0)
	s_barrier
	s_and_saveexec_b64 s[14:15], s[8:9]
	s_cbranch_execz .LBB12_46
; %bb.43:                               ;   in Loop: Header=BB12_2 Depth=1
	s_mov_b64 s[16:17], 0
	v_mov_b32_e32 v55, v29
	v_mov_b32_e32 v56, v30
.LBB12_44:                              ;   Parent Loop BB12_2 Depth=1
                                        ; =>  This Inner Loop Header: Depth=2
	v_sub_u32_e32 v57, v56, v55
	v_lshrrev_b32_e32 v57, 1, v57
	v_add_u32_e32 v57, v57, v55
	v_not_b32_e32 v59, v57
	v_lshl_add_u32 v58, v57, 2, v53
	v_lshl_add_u32 v59, v59, 2, v46
	ds_read_b32 v58, v58
	ds_read_b32 v59, v59
	v_add_u32_e32 v60, 1, v57
	s_waitcnt lgkmcnt(0)
	v_cmp_lt_i32_e64 s[12:13], v59, v58
	v_cndmask_b32_e64 v56, v56, v57, s[12:13]
	v_cndmask_b32_e64 v55, v60, v55, s[12:13]
	v_cmp_ge_i32_e64 s[12:13], v55, v56
	s_or_b64 s[16:17], s[12:13], s[16:17]
	s_andn2_b64 exec, exec, s[16:17]
	s_cbranch_execnz .LBB12_44
; %bb.45:                               ;   in Loop: Header=BB12_2 Depth=1
	s_or_b64 exec, exec, s[16:17]
.LBB12_46:                              ;   in Loop: Header=BB12_2 Depth=1
	s_or_b64 exec, exec, s[14:15]
	v_sub_u32_e32 v56, v45, v55
	v_lshl_add_u32 v61, v55, 2, v53
	v_lshlrev_b32_e32 v60, 2, v56
	ds_read_b32 v57, v61
	ds_read_b32 v58, v60
	v_add_u32_e32 v55, v55, v16
	v_cmp_le_i32_e64 s[14:15], v17, v55
	v_cmp_gt_i32_e64 s[12:13], v18, v56
                                        ; implicit-def: $vgpr59
	s_waitcnt lgkmcnt(0)
	v_cmp_lt_i32_e64 s[16:17], v58, v57
	s_or_b64 s[14:15], s[14:15], s[16:17]
	s_and_b64 s[12:13], s[12:13], s[14:15]
	s_xor_b64 s[14:15], s[12:13], -1
	s_and_saveexec_b64 s[16:17], s[14:15]
	s_xor_b64 s[14:15], exec, s[16:17]
; %bb.47:                               ;   in Loop: Header=BB12_2 Depth=1
	ds_read_b32 v59, v61 offset:4
                                        ; implicit-def: $vgpr60
; %bb.48:                               ;   in Loop: Header=BB12_2 Depth=1
	s_or_saveexec_b64 s[14:15], s[14:15]
	v_mov_b32_e32 v61, v58
	s_xor_b64 exec, exec, s[14:15]
	s_cbranch_execz .LBB12_50
; %bb.49:                               ;   in Loop: Header=BB12_2 Depth=1
	ds_read_b32 v61, v60 offset:4
	s_waitcnt lgkmcnt(1)
	v_mov_b32_e32 v59, v57
.LBB12_50:                              ;   in Loop: Header=BB12_2 Depth=1
	s_or_b64 exec, exec, s[14:15]
	v_add_u32_e32 v60, 1, v55
	v_cndmask_b32_e64 v57, v57, v58, s[12:13]
	v_add_u32_e32 v58, 1, v56
	v_cndmask_b32_e64 v55, v60, v55, s[12:13]
	v_cndmask_b32_e64 v56, v56, v58, s[12:13]
	v_cmp_ge_i32_e64 s[14:15], v55, v17
	s_waitcnt lgkmcnt(0)
	v_cmp_lt_i32_e64 s[16:17], v61, v59
	v_cmp_lt_i32_e64 s[12:13], v56, v18
	s_or_b64 s[14:15], s[14:15], s[16:17]
	s_and_b64 s[12:13], s[12:13], s[14:15]
	v_cndmask_b32_e64 v55, v59, v61, s[12:13]
	v_mov_b32_e32 v56, v32
	s_barrier
	ds_write2_b32 v47, v57, v55 offset1:1
	s_waitcnt lgkmcnt(0)
	s_barrier
	s_and_saveexec_b64 s[14:15], s[10:11]
	s_cbranch_execz .LBB12_54
; %bb.51:                               ;   in Loop: Header=BB12_2 Depth=1
	s_mov_b64 s[16:17], 0
	v_mov_b32_e32 v56, v32
	v_mov_b32_e32 v55, v33
.LBB12_52:                              ;   Parent Loop BB12_2 Depth=1
                                        ; =>  This Inner Loop Header: Depth=2
	v_sub_u32_e32 v57, v55, v56
	v_lshrrev_b32_e32 v57, 1, v57
	v_add_u32_e32 v57, v57, v56
	v_not_b32_e32 v59, v57
	v_lshlrev_b32_e32 v58, 2, v57
	v_lshl_add_u32 v59, v59, 2, v54
	ds_read_b32 v58, v58
	ds_read_b32 v59, v59
	v_add_u32_e32 v60, 1, v57
	s_waitcnt lgkmcnt(0)
	v_cmp_lt_i32_e64 s[12:13], v59, v58
	v_cndmask_b32_e64 v55, v55, v57, s[12:13]
	v_cndmask_b32_e64 v56, v60, v56, s[12:13]
	v_cmp_ge_i32_e64 s[12:13], v56, v55
	s_or_b64 s[16:17], s[12:13], s[16:17]
	s_andn2_b64 exec, exec, s[16:17]
	s_cbranch_execnz .LBB12_52
; %bb.53:                               ;   in Loop: Header=BB12_2 Depth=1
	s_or_b64 exec, exec, s[16:17]
.LBB12_54:                              ;   in Loop: Header=BB12_2 Depth=1
	s_or_b64 exec, exec, s[14:15]
	v_sub_u32_e32 v57, v34, v56
	v_lshlrev_b32_e32 v61, 2, v56
	v_lshlrev_b32_e32 v60, 2, v57
	ds_read_b32 v55, v61
	ds_read_b32 v58, v60
	v_cmp_le_i32_e64 s[14:15], v31, v56
	v_cmp_gt_i32_e64 s[12:13], s22, v57
                                        ; implicit-def: $vgpr59
	s_waitcnt lgkmcnt(0)
	v_cmp_lt_i32_e64 s[16:17], v58, v55
	s_or_b64 s[14:15], s[14:15], s[16:17]
	s_and_b64 s[12:13], s[12:13], s[14:15]
	s_xor_b64 s[14:15], s[12:13], -1
	s_and_saveexec_b64 s[16:17], s[14:15]
	s_xor_b64 s[14:15], exec, s[16:17]
; %bb.55:                               ;   in Loop: Header=BB12_2 Depth=1
	ds_read_b32 v59, v61 offset:4
	v_add_u32_e32 v56, 1, v56
                                        ; implicit-def: $vgpr60
; %bb.56:                               ;   in Loop: Header=BB12_2 Depth=1
	s_or_saveexec_b64 s[14:15], s[14:15]
	v_mov_b32_e32 v61, v58
	s_xor_b64 exec, exec, s[14:15]
	s_cbranch_execz .LBB12_1
; %bb.57:                               ;   in Loop: Header=BB12_2 Depth=1
	ds_read_b32 v61, v60 offset:4
	v_add_u32_e32 v57, 1, v57
	s_waitcnt lgkmcnt(1)
	v_mov_b32_e32 v59, v55
	s_branch .LBB12_1
.LBB12_58:
	s_add_u32 s0, s18, s20
	s_addc_u32 s1, s19, s21
	v_lshlrev_b32_e32 v0, 2, v0
	global_store_dword v0, v55, s[0:1]
	global_store_dword v0, v56, s[0:1] offset:512
	s_endpgm
	.section	.rodata,"a",@progbits
	.p2align	6, 0x0
	.amdhsa_kernel _Z16sort_keys_kernelIiLj128ELj2EN10test_utils4lessELj10EEvPKT_PS2_T2_
		.amdhsa_group_segment_fixed_size 1028
		.amdhsa_private_segment_fixed_size 0
		.amdhsa_kernarg_size 20
		.amdhsa_user_sgpr_count 6
		.amdhsa_user_sgpr_private_segment_buffer 1
		.amdhsa_user_sgpr_dispatch_ptr 0
		.amdhsa_user_sgpr_queue_ptr 0
		.amdhsa_user_sgpr_kernarg_segment_ptr 1
		.amdhsa_user_sgpr_dispatch_id 0
		.amdhsa_user_sgpr_flat_scratch_init 0
		.amdhsa_user_sgpr_private_segment_size 0
		.amdhsa_uses_dynamic_stack 0
		.amdhsa_system_sgpr_private_segment_wavefront_offset 0
		.amdhsa_system_sgpr_workgroup_id_x 1
		.amdhsa_system_sgpr_workgroup_id_y 0
		.amdhsa_system_sgpr_workgroup_id_z 0
		.amdhsa_system_sgpr_workgroup_info 0
		.amdhsa_system_vgpr_workitem_id 0
		.amdhsa_next_free_vgpr 62
		.amdhsa_next_free_sgpr 24
		.amdhsa_reserve_vcc 1
		.amdhsa_reserve_flat_scratch 0
		.amdhsa_float_round_mode_32 0
		.amdhsa_float_round_mode_16_64 0
		.amdhsa_float_denorm_mode_32 3
		.amdhsa_float_denorm_mode_16_64 3
		.amdhsa_dx10_clamp 1
		.amdhsa_ieee_mode 1
		.amdhsa_fp16_overflow 0
		.amdhsa_exception_fp_ieee_invalid_op 0
		.amdhsa_exception_fp_denorm_src 0
		.amdhsa_exception_fp_ieee_div_zero 0
		.amdhsa_exception_fp_ieee_overflow 0
		.amdhsa_exception_fp_ieee_underflow 0
		.amdhsa_exception_fp_ieee_inexact 0
		.amdhsa_exception_int_div_zero 0
	.end_amdhsa_kernel
	.section	.text._Z16sort_keys_kernelIiLj128ELj2EN10test_utils4lessELj10EEvPKT_PS2_T2_,"axG",@progbits,_Z16sort_keys_kernelIiLj128ELj2EN10test_utils4lessELj10EEvPKT_PS2_T2_,comdat
.Lfunc_end12:
	.size	_Z16sort_keys_kernelIiLj128ELj2EN10test_utils4lessELj10EEvPKT_PS2_T2_, .Lfunc_end12-_Z16sort_keys_kernelIiLj128ELj2EN10test_utils4lessELj10EEvPKT_PS2_T2_
                                        ; -- End function
	.set _Z16sort_keys_kernelIiLj128ELj2EN10test_utils4lessELj10EEvPKT_PS2_T2_.num_vgpr, 62
	.set _Z16sort_keys_kernelIiLj128ELj2EN10test_utils4lessELj10EEvPKT_PS2_T2_.num_agpr, 0
	.set _Z16sort_keys_kernelIiLj128ELj2EN10test_utils4lessELj10EEvPKT_PS2_T2_.numbered_sgpr, 24
	.set _Z16sort_keys_kernelIiLj128ELj2EN10test_utils4lessELj10EEvPKT_PS2_T2_.num_named_barrier, 0
	.set _Z16sort_keys_kernelIiLj128ELj2EN10test_utils4lessELj10EEvPKT_PS2_T2_.private_seg_size, 0
	.set _Z16sort_keys_kernelIiLj128ELj2EN10test_utils4lessELj10EEvPKT_PS2_T2_.uses_vcc, 1
	.set _Z16sort_keys_kernelIiLj128ELj2EN10test_utils4lessELj10EEvPKT_PS2_T2_.uses_flat_scratch, 0
	.set _Z16sort_keys_kernelIiLj128ELj2EN10test_utils4lessELj10EEvPKT_PS2_T2_.has_dyn_sized_stack, 0
	.set _Z16sort_keys_kernelIiLj128ELj2EN10test_utils4lessELj10EEvPKT_PS2_T2_.has_recursion, 0
	.set _Z16sort_keys_kernelIiLj128ELj2EN10test_utils4lessELj10EEvPKT_PS2_T2_.has_indirect_call, 0
	.section	.AMDGPU.csdata,"",@progbits
; Kernel info:
; codeLenInByte = 3132
; TotalNumSgprs: 28
; NumVgprs: 62
; ScratchSize: 0
; MemoryBound: 0
; FloatMode: 240
; IeeeMode: 1
; LDSByteSize: 1028 bytes/workgroup (compile time only)
; SGPRBlocks: 3
; VGPRBlocks: 15
; NumSGPRsForWavesPerEU: 28
; NumVGPRsForWavesPerEU: 62
; Occupancy: 4
; WaveLimiterHint : 1
; COMPUTE_PGM_RSRC2:SCRATCH_EN: 0
; COMPUTE_PGM_RSRC2:USER_SGPR: 6
; COMPUTE_PGM_RSRC2:TRAP_HANDLER: 0
; COMPUTE_PGM_RSRC2:TGID_X_EN: 1
; COMPUTE_PGM_RSRC2:TGID_Y_EN: 0
; COMPUTE_PGM_RSRC2:TGID_Z_EN: 0
; COMPUTE_PGM_RSRC2:TIDIG_COMP_CNT: 0
	.section	.text._Z17sort_pairs_kernelIiLj128ELj2EN10test_utils4lessELj10EEvPKT_PS2_T2_,"axG",@progbits,_Z17sort_pairs_kernelIiLj128ELj2EN10test_utils4lessELj10EEvPKT_PS2_T2_,comdat
	.protected	_Z17sort_pairs_kernelIiLj128ELj2EN10test_utils4lessELj10EEvPKT_PS2_T2_ ; -- Begin function _Z17sort_pairs_kernelIiLj128ELj2EN10test_utils4lessELj10EEvPKT_PS2_T2_
	.globl	_Z17sort_pairs_kernelIiLj128ELj2EN10test_utils4lessELj10EEvPKT_PS2_T2_
	.p2align	8
	.type	_Z17sort_pairs_kernelIiLj128ELj2EN10test_utils4lessELj10EEvPKT_PS2_T2_,@function
_Z17sort_pairs_kernelIiLj128ELj2EN10test_utils4lessELj10EEvPKT_PS2_T2_: ; @_Z17sort_pairs_kernelIiLj128ELj2EN10test_utils4lessELj10EEvPKT_PS2_T2_
; %bb.0:
	s_load_dwordx4 s[20:23], s[4:5], 0x0
	s_lshl_b32 s26, s6, 8
	s_mov_b32 s27, 0
	s_lshl_b64 s[24:25], s[26:27], 2
	v_lshlrev_b32_e32 v7, 2, v0
	s_waitcnt lgkmcnt(0)
	s_add_u32 s0, s20, s24
	s_addc_u32 s1, s21, s25
	global_load_dword v58, v7, s[0:1]
	global_load_dword v57, v7, s[0:1] offset:512
	v_lshlrev_b32_e32 v34, 1, v0
	v_and_b32_e32 v1, 0xfc, v34
	v_and_b32_e32 v4, 0xf8, v34
	;; [unrolled: 1-line block ×6, first 2 shown]
	v_or_b32_e32 v2, 2, v1
	v_add_u32_e32 v3, 4, v1
	v_or_b32_e32 v5, 4, v4
	v_add_u32_e32 v6, 8, v4
	;; [unrolled: 2-line block ×6, first 2 shown]
	v_and_b32_e32 v36, 2, v34
	v_sub_u32_e32 v19, v3, v2
	v_and_b32_e32 v38, 6, v34
	v_sub_u32_e32 v21, v6, v5
	;; [unrolled: 2-line block ×6, first 2 shown]
	v_sub_u32_e32 v20, v36, v19
	v_sub_u32_e32 v22, v38, v21
	;; [unrolled: 1-line block ×6, first 2 shown]
	v_cmp_ge_i32_e32 vcc, v36, v19
	v_cmp_ge_i32_e64 s[0:1], v38, v21
	v_cmp_ge_i32_e64 s[2:3], v40, v23
	;; [unrolled: 1-line block ×5, first 2 shown]
	v_cndmask_b32_e32 v19, 0, v20, vcc
	v_sub_u32_e32 v20, v2, v1
	v_cndmask_b32_e64 v21, 0, v22, s[0:1]
	v_sub_u32_e32 v22, v5, v4
	v_cndmask_b32_e64 v23, 0, v24, s[2:3]
	;; [unrolled: 2-line block ×5, first 2 shown]
	v_sub_u32_e32 v30, v17, v16
	v_mov_b32_e32 v31, 0x80
	v_min_i32_e32 v20, v36, v20
	v_min_i32_e32 v22, v38, v22
	;; [unrolled: 1-line block ×6, first 2 shown]
	v_sub_u32_e64 v32, v34, v31 clamp
	v_min_i32_e32 v33, 0x80, v34
	v_add_u32_e32 v35, v2, v36
	v_lshlrev_b32_e32 v36, 2, v36
	v_add_u32_e32 v37, v5, v38
	v_lshlrev_b32_e32 v38, 2, v38
	v_add_u32_e32 v39, v8, v40
	v_lshlrev_b32_e32 v40, 2, v40
	v_add_u32_e32 v41, v11, v42
	v_lshlrev_b32_e32 v42, 2, v42
	v_add_u32_e32 v43, v14, v44
	v_lshlrev_b32_e32 v44, 2, v44
	v_add_u32_e32 v45, v17, v46
	v_lshlrev_b32_e32 v46, 2, v46
	v_lshlrev_b32_e32 v47, 3, v0
	v_cmp_lt_i32_e32 vcc, v19, v20
	v_cmp_lt_i32_e64 s[0:1], v21, v22
	v_cmp_lt_i32_e64 s[2:3], v23, v24
	;; [unrolled: 1-line block ×6, first 2 shown]
	v_add_u32_e32 v34, 0x80, v34
	v_lshl_add_u32 v36, v2, 2, v36
	v_lshl_add_u32 v38, v5, 2, v38
	;; [unrolled: 1-line block ×6, first 2 shown]
	s_movk_i32 s20, 0x100
	s_waitcnt vmcnt(1)
	v_add_u32_e32 v55, 1, v58
	s_waitcnt vmcnt(0)
	v_add_u32_e32 v56, 1, v57
	v_lshlrev_b32_e32 v48, 2, v1
	v_lshlrev_b32_e32 v49, 2, v4
	;; [unrolled: 1-line block ×6, first 2 shown]
	v_add_u32_e32 v54, 0x200, v47
	s_branch .LBB13_2
.LBB13_1:                               ;   in Loop: Header=BB13_2 Depth=1
	s_or_b64 exec, exec, s[14:15]
	v_cmp_ge_i32_e64 s[16:17], v61, v31
	s_waitcnt lgkmcnt(0)
	v_cmp_lt_i32_e64 s[18:19], v65, v62
	v_cmp_gt_i32_e64 s[14:15], s20, v60
	s_or_b64 s[16:17], s[16:17], s[18:19]
	s_and_b64 s[14:15], s[14:15], s[16:17]
	v_cndmask_b32_e64 v60, v61, v60, s[14:15]
	s_barrier
	ds_write2_b32 v47, v55, v56 offset1:1
	v_lshlrev_b32_e32 v55, 2, v64
	v_lshlrev_b32_e32 v56, 2, v60
	s_waitcnt lgkmcnt(0)
	s_barrier
	ds_read_b32 v55, v55
	ds_read_b32 v56, v56
	s_add_i32 s27, s27, 1
	v_cndmask_b32_e64 v57, v62, v65, s[14:15]
	s_cmp_eq_u32 s27, 10
	v_cndmask_b32_e64 v58, v58, v59, s[12:13]
	s_cbranch_scc1 .LBB13_58
.LBB13_2:                               ; =>This Loop Header: Depth=1
                                        ;     Child Loop BB13_4 Depth 2
                                        ;     Child Loop BB13_12 Depth 2
	;; [unrolled: 1-line block ×7, first 2 shown]
	v_cmp_lt_i32_e64 s[12:13], v57, v58
	v_cndmask_b32_e64 v59, v57, v58, s[12:13]
	v_cndmask_b32_e64 v57, v58, v57, s[12:13]
	v_mov_b32_e32 v58, v19
	s_waitcnt lgkmcnt(0)
	s_barrier
	ds_write2_b32 v47, v57, v59 offset1:1
	s_waitcnt lgkmcnt(0)
	s_barrier
	s_and_saveexec_b64 s[16:17], vcc
	s_cbranch_execz .LBB13_6
; %bb.3:                                ;   in Loop: Header=BB13_2 Depth=1
	s_mov_b64 s[18:19], 0
	v_mov_b32_e32 v58, v19
	v_mov_b32_e32 v57, v20
.LBB13_4:                               ;   Parent Loop BB13_2 Depth=1
                                        ; =>  This Inner Loop Header: Depth=2
	v_sub_u32_e32 v59, v57, v58
	v_lshrrev_b32_e32 v59, 1, v59
	v_add_u32_e32 v59, v59, v58
	v_not_b32_e32 v61, v59
	v_lshl_add_u32 v60, v59, 2, v48
	v_lshl_add_u32 v61, v61, 2, v36
	ds_read_b32 v60, v60
	ds_read_b32 v61, v61
	v_add_u32_e32 v62, 1, v59
	s_waitcnt lgkmcnt(0)
	v_cmp_lt_i32_e64 s[14:15], v61, v60
	v_cndmask_b32_e64 v57, v57, v59, s[14:15]
	v_cndmask_b32_e64 v58, v62, v58, s[14:15]
	v_cmp_ge_i32_e64 s[14:15], v58, v57
	s_or_b64 s[18:19], s[14:15], s[18:19]
	s_andn2_b64 exec, exec, s[18:19]
	s_cbranch_execnz .LBB13_4
; %bb.5:                                ;   in Loop: Header=BB13_2 Depth=1
	s_or_b64 exec, exec, s[18:19]
.LBB13_6:                               ;   in Loop: Header=BB13_2 Depth=1
	s_or_b64 exec, exec, s[16:17]
	v_sub_u32_e32 v57, v35, v58
	v_lshl_add_u32 v63, v58, 2, v48
	v_lshlrev_b32_e32 v62, 2, v57
	ds_read_b32 v59, v63
	ds_read_b32 v61, v62
	v_add_u32_e32 v58, v58, v1
	v_cmp_le_i32_e64 s[16:17], v2, v58
	v_cmp_gt_i32_e64 s[14:15], v3, v57
                                        ; implicit-def: $vgpr60
	s_waitcnt lgkmcnt(0)
	v_cmp_lt_i32_e64 s[18:19], v61, v59
	s_or_b64 s[16:17], s[16:17], s[18:19]
	s_and_b64 s[14:15], s[14:15], s[16:17]
	s_xor_b64 s[16:17], s[14:15], -1
	s_and_saveexec_b64 s[18:19], s[16:17]
	s_xor_b64 s[16:17], exec, s[18:19]
; %bb.7:                                ;   in Loop: Header=BB13_2 Depth=1
	ds_read_b32 v60, v63 offset:4
                                        ; implicit-def: $vgpr62
; %bb.8:                                ;   in Loop: Header=BB13_2 Depth=1
	s_or_saveexec_b64 s[16:17], s[16:17]
	v_mov_b32_e32 v63, v61
	s_xor_b64 exec, exec, s[16:17]
	s_cbranch_execz .LBB13_10
; %bb.9:                                ;   in Loop: Header=BB13_2 Depth=1
	ds_read_b32 v63, v62 offset:4
	s_waitcnt lgkmcnt(1)
	v_mov_b32_e32 v60, v59
.LBB13_10:                              ;   in Loop: Header=BB13_2 Depth=1
	s_or_b64 exec, exec, s[16:17]
	v_add_u32_e32 v62, 1, v58
	v_cndmask_b32_e64 v59, v59, v61, s[14:15]
	v_add_u32_e32 v61, 1, v57
	v_cndmask_b32_e64 v62, v62, v58, s[14:15]
	v_cndmask_b32_e64 v61, v57, v61, s[14:15]
	;; [unrolled: 1-line block ×3, first 2 shown]
	v_cmp_ge_i32_e64 s[14:15], v62, v2
	s_waitcnt lgkmcnt(0)
	v_cmp_lt_i32_e64 s[16:17], v63, v60
	v_cndmask_b32_e64 v58, v56, v55, s[12:13]
	v_cndmask_b32_e64 v55, v55, v56, s[12:13]
	v_cmp_lt_i32_e64 s[12:13], v61, v3
	s_or_b64 s[14:15], s[14:15], s[16:17]
	s_and_b64 s[12:13], s[12:13], s[14:15]
	v_cndmask_b32_e64 v56, v62, v61, s[12:13]
	s_barrier
	ds_write2_b32 v47, v55, v58 offset1:1
	v_lshlrev_b32_e32 v55, 2, v57
	v_lshlrev_b32_e32 v56, 2, v56
	s_waitcnt lgkmcnt(0)
	s_barrier
	ds_read_b32 v55, v55
	ds_read_b32 v56, v56
	v_cndmask_b32_e64 v60, v60, v63, s[12:13]
	v_mov_b32_e32 v58, v21
	s_waitcnt lgkmcnt(0)
	s_barrier
	ds_write2_b32 v47, v59, v60 offset1:1
	s_waitcnt lgkmcnt(0)
	s_barrier
	s_and_saveexec_b64 s[14:15], s[0:1]
	s_cbranch_execz .LBB13_14
; %bb.11:                               ;   in Loop: Header=BB13_2 Depth=1
	s_mov_b64 s[16:17], 0
	v_mov_b32_e32 v58, v21
	v_mov_b32_e32 v57, v22
.LBB13_12:                              ;   Parent Loop BB13_2 Depth=1
                                        ; =>  This Inner Loop Header: Depth=2
	v_sub_u32_e32 v59, v57, v58
	v_lshrrev_b32_e32 v59, 1, v59
	v_add_u32_e32 v59, v59, v58
	v_not_b32_e32 v61, v59
	v_lshl_add_u32 v60, v59, 2, v49
	v_lshl_add_u32 v61, v61, 2, v38
	ds_read_b32 v60, v60
	ds_read_b32 v61, v61
	v_add_u32_e32 v62, 1, v59
	s_waitcnt lgkmcnt(0)
	v_cmp_lt_i32_e64 s[12:13], v61, v60
	v_cndmask_b32_e64 v57, v57, v59, s[12:13]
	v_cndmask_b32_e64 v58, v62, v58, s[12:13]
	v_cmp_ge_i32_e64 s[12:13], v58, v57
	s_or_b64 s[16:17], s[12:13], s[16:17]
	s_andn2_b64 exec, exec, s[16:17]
	s_cbranch_execnz .LBB13_12
; %bb.13:                               ;   in Loop: Header=BB13_2 Depth=1
	s_or_b64 exec, exec, s[16:17]
.LBB13_14:                              ;   in Loop: Header=BB13_2 Depth=1
	s_or_b64 exec, exec, s[14:15]
	v_sub_u32_e32 v57, v37, v58
	v_lshl_add_u32 v63, v58, 2, v49
	v_lshlrev_b32_e32 v62, 2, v57
	ds_read_b32 v59, v63
	ds_read_b32 v60, v62
	v_add_u32_e32 v58, v58, v4
	v_cmp_le_i32_e64 s[14:15], v5, v58
	v_cmp_gt_i32_e64 s[12:13], v6, v57
                                        ; implicit-def: $vgpr61
	s_waitcnt lgkmcnt(0)
	v_cmp_lt_i32_e64 s[16:17], v60, v59
	s_or_b64 s[14:15], s[14:15], s[16:17]
	s_and_b64 s[12:13], s[12:13], s[14:15]
	s_xor_b64 s[14:15], s[12:13], -1
	s_and_saveexec_b64 s[16:17], s[14:15]
	s_xor_b64 s[14:15], exec, s[16:17]
; %bb.15:                               ;   in Loop: Header=BB13_2 Depth=1
	ds_read_b32 v61, v63 offset:4
                                        ; implicit-def: $vgpr62
; %bb.16:                               ;   in Loop: Header=BB13_2 Depth=1
	s_or_saveexec_b64 s[14:15], s[14:15]
	v_mov_b32_e32 v63, v60
	s_xor_b64 exec, exec, s[14:15]
	s_cbranch_execz .LBB13_18
; %bb.17:                               ;   in Loop: Header=BB13_2 Depth=1
	ds_read_b32 v63, v62 offset:4
	s_waitcnt lgkmcnt(1)
	v_mov_b32_e32 v61, v59
.LBB13_18:                              ;   in Loop: Header=BB13_2 Depth=1
	s_or_b64 exec, exec, s[14:15]
	v_add_u32_e32 v62, 1, v58
	v_cndmask_b32_e64 v59, v59, v60, s[12:13]
	v_add_u32_e32 v60, 1, v57
	v_cndmask_b32_e64 v62, v62, v58, s[12:13]
	v_cndmask_b32_e64 v60, v57, v60, s[12:13]
	v_cmp_ge_i32_e64 s[14:15], v62, v5
	s_waitcnt lgkmcnt(0)
	v_cmp_lt_i32_e64 s[16:17], v63, v61
	v_cndmask_b32_e64 v57, v58, v57, s[12:13]
	v_cmp_lt_i32_e64 s[12:13], v60, v6
	s_or_b64 s[14:15], s[14:15], s[16:17]
	s_and_b64 s[12:13], s[12:13], s[14:15]
	v_cndmask_b32_e64 v60, v62, v60, s[12:13]
	s_barrier
	ds_write2_b32 v47, v55, v56 offset1:1
	v_lshlrev_b32_e32 v55, 2, v57
	v_lshlrev_b32_e32 v56, 2, v60
	s_waitcnt lgkmcnt(0)
	s_barrier
	ds_read_b32 v55, v55
	ds_read_b32 v56, v56
	v_cndmask_b32_e64 v58, v61, v63, s[12:13]
	s_waitcnt lgkmcnt(0)
	s_barrier
	ds_write2_b32 v47, v59, v58 offset1:1
	v_mov_b32_e32 v58, v23
	s_waitcnt lgkmcnt(0)
	s_barrier
	s_and_saveexec_b64 s[14:15], s[2:3]
	s_cbranch_execz .LBB13_22
; %bb.19:                               ;   in Loop: Header=BB13_2 Depth=1
	s_mov_b64 s[16:17], 0
	v_mov_b32_e32 v58, v23
	v_mov_b32_e32 v57, v24
.LBB13_20:                              ;   Parent Loop BB13_2 Depth=1
                                        ; =>  This Inner Loop Header: Depth=2
	v_sub_u32_e32 v59, v57, v58
	v_lshrrev_b32_e32 v59, 1, v59
	v_add_u32_e32 v59, v59, v58
	v_not_b32_e32 v61, v59
	v_lshl_add_u32 v60, v59, 2, v50
	v_lshl_add_u32 v61, v61, 2, v40
	ds_read_b32 v60, v60
	ds_read_b32 v61, v61
	v_add_u32_e32 v62, 1, v59
	s_waitcnt lgkmcnt(0)
	v_cmp_lt_i32_e64 s[12:13], v61, v60
	v_cndmask_b32_e64 v57, v57, v59, s[12:13]
	v_cndmask_b32_e64 v58, v62, v58, s[12:13]
	v_cmp_ge_i32_e64 s[12:13], v58, v57
	s_or_b64 s[16:17], s[12:13], s[16:17]
	s_andn2_b64 exec, exec, s[16:17]
	s_cbranch_execnz .LBB13_20
; %bb.21:                               ;   in Loop: Header=BB13_2 Depth=1
	s_or_b64 exec, exec, s[16:17]
.LBB13_22:                              ;   in Loop: Header=BB13_2 Depth=1
	s_or_b64 exec, exec, s[14:15]
	v_sub_u32_e32 v57, v39, v58
	v_lshl_add_u32 v63, v58, 2, v50
	v_lshlrev_b32_e32 v62, 2, v57
	ds_read_b32 v59, v63
	ds_read_b32 v60, v62
	v_add_u32_e32 v58, v58, v7
	v_cmp_le_i32_e64 s[14:15], v8, v58
	v_cmp_gt_i32_e64 s[12:13], v9, v57
                                        ; implicit-def: $vgpr61
	s_waitcnt lgkmcnt(0)
	v_cmp_lt_i32_e64 s[16:17], v60, v59
	s_or_b64 s[14:15], s[14:15], s[16:17]
	s_and_b64 s[12:13], s[12:13], s[14:15]
	s_xor_b64 s[14:15], s[12:13], -1
	s_and_saveexec_b64 s[16:17], s[14:15]
	s_xor_b64 s[14:15], exec, s[16:17]
; %bb.23:                               ;   in Loop: Header=BB13_2 Depth=1
	ds_read_b32 v61, v63 offset:4
                                        ; implicit-def: $vgpr62
; %bb.24:                               ;   in Loop: Header=BB13_2 Depth=1
	s_or_saveexec_b64 s[14:15], s[14:15]
	v_mov_b32_e32 v63, v60
	s_xor_b64 exec, exec, s[14:15]
	s_cbranch_execz .LBB13_26
; %bb.25:                               ;   in Loop: Header=BB13_2 Depth=1
	ds_read_b32 v63, v62 offset:4
	s_waitcnt lgkmcnt(1)
	v_mov_b32_e32 v61, v59
.LBB13_26:                              ;   in Loop: Header=BB13_2 Depth=1
	s_or_b64 exec, exec, s[14:15]
	v_add_u32_e32 v62, 1, v58
	v_cndmask_b32_e64 v59, v59, v60, s[12:13]
	v_add_u32_e32 v60, 1, v57
	v_cndmask_b32_e64 v62, v62, v58, s[12:13]
	v_cndmask_b32_e64 v60, v57, v60, s[12:13]
	v_cmp_ge_i32_e64 s[14:15], v62, v8
	s_waitcnt lgkmcnt(0)
	v_cmp_lt_i32_e64 s[16:17], v63, v61
	v_cndmask_b32_e64 v57, v58, v57, s[12:13]
	v_cmp_lt_i32_e64 s[12:13], v60, v9
	s_or_b64 s[14:15], s[14:15], s[16:17]
	s_and_b64 s[12:13], s[12:13], s[14:15]
	v_cndmask_b32_e64 v60, v62, v60, s[12:13]
	s_barrier
	ds_write2_b32 v47, v55, v56 offset1:1
	v_lshlrev_b32_e32 v55, 2, v57
	v_lshlrev_b32_e32 v56, 2, v60
	s_waitcnt lgkmcnt(0)
	s_barrier
	ds_read_b32 v55, v55
	ds_read_b32 v56, v56
	v_cndmask_b32_e64 v58, v61, v63, s[12:13]
	s_waitcnt lgkmcnt(0)
	s_barrier
	ds_write2_b32 v47, v59, v58 offset1:1
	v_mov_b32_e32 v58, v25
	s_waitcnt lgkmcnt(0)
	s_barrier
	s_and_saveexec_b64 s[14:15], s[4:5]
	s_cbranch_execz .LBB13_30
; %bb.27:                               ;   in Loop: Header=BB13_2 Depth=1
	s_mov_b64 s[16:17], 0
	v_mov_b32_e32 v58, v25
	v_mov_b32_e32 v57, v26
.LBB13_28:                              ;   Parent Loop BB13_2 Depth=1
                                        ; =>  This Inner Loop Header: Depth=2
	v_sub_u32_e32 v59, v57, v58
	v_lshrrev_b32_e32 v59, 1, v59
	v_add_u32_e32 v59, v59, v58
	v_not_b32_e32 v61, v59
	v_lshl_add_u32 v60, v59, 2, v51
	v_lshl_add_u32 v61, v61, 2, v42
	ds_read_b32 v60, v60
	ds_read_b32 v61, v61
	v_add_u32_e32 v62, 1, v59
	s_waitcnt lgkmcnt(0)
	v_cmp_lt_i32_e64 s[12:13], v61, v60
	v_cndmask_b32_e64 v57, v57, v59, s[12:13]
	v_cndmask_b32_e64 v58, v62, v58, s[12:13]
	v_cmp_ge_i32_e64 s[12:13], v58, v57
	s_or_b64 s[16:17], s[12:13], s[16:17]
	s_andn2_b64 exec, exec, s[16:17]
	s_cbranch_execnz .LBB13_28
; %bb.29:                               ;   in Loop: Header=BB13_2 Depth=1
	s_or_b64 exec, exec, s[16:17]
.LBB13_30:                              ;   in Loop: Header=BB13_2 Depth=1
	s_or_b64 exec, exec, s[14:15]
	v_sub_u32_e32 v57, v41, v58
	v_lshl_add_u32 v63, v58, 2, v51
	v_lshlrev_b32_e32 v62, 2, v57
	ds_read_b32 v59, v63
	ds_read_b32 v60, v62
	v_add_u32_e32 v58, v58, v10
	v_cmp_le_i32_e64 s[14:15], v11, v58
	v_cmp_gt_i32_e64 s[12:13], v12, v57
                                        ; implicit-def: $vgpr61
	s_waitcnt lgkmcnt(0)
	v_cmp_lt_i32_e64 s[16:17], v60, v59
	s_or_b64 s[14:15], s[14:15], s[16:17]
	s_and_b64 s[12:13], s[12:13], s[14:15]
	s_xor_b64 s[14:15], s[12:13], -1
	s_and_saveexec_b64 s[16:17], s[14:15]
	s_xor_b64 s[14:15], exec, s[16:17]
; %bb.31:                               ;   in Loop: Header=BB13_2 Depth=1
	ds_read_b32 v61, v63 offset:4
                                        ; implicit-def: $vgpr62
; %bb.32:                               ;   in Loop: Header=BB13_2 Depth=1
	s_or_saveexec_b64 s[14:15], s[14:15]
	v_mov_b32_e32 v63, v60
	s_xor_b64 exec, exec, s[14:15]
	s_cbranch_execz .LBB13_34
; %bb.33:                               ;   in Loop: Header=BB13_2 Depth=1
	ds_read_b32 v63, v62 offset:4
	s_waitcnt lgkmcnt(1)
	v_mov_b32_e32 v61, v59
.LBB13_34:                              ;   in Loop: Header=BB13_2 Depth=1
	s_or_b64 exec, exec, s[14:15]
	v_add_u32_e32 v62, 1, v58
	v_cndmask_b32_e64 v59, v59, v60, s[12:13]
	v_add_u32_e32 v60, 1, v57
	v_cndmask_b32_e64 v62, v62, v58, s[12:13]
	v_cndmask_b32_e64 v60, v57, v60, s[12:13]
	v_cmp_ge_i32_e64 s[14:15], v62, v11
	s_waitcnt lgkmcnt(0)
	v_cmp_lt_i32_e64 s[16:17], v63, v61
	v_cndmask_b32_e64 v57, v58, v57, s[12:13]
	v_cmp_lt_i32_e64 s[12:13], v60, v12
	s_or_b64 s[14:15], s[14:15], s[16:17]
	s_and_b64 s[12:13], s[12:13], s[14:15]
	v_cndmask_b32_e64 v60, v62, v60, s[12:13]
	s_barrier
	ds_write2_b32 v47, v55, v56 offset1:1
	v_lshlrev_b32_e32 v55, 2, v57
	v_lshlrev_b32_e32 v56, 2, v60
	s_waitcnt lgkmcnt(0)
	s_barrier
	ds_read_b32 v55, v55
	ds_read_b32 v56, v56
	v_cndmask_b32_e64 v58, v61, v63, s[12:13]
	s_waitcnt lgkmcnt(0)
	s_barrier
	ds_write2_b32 v47, v59, v58 offset1:1
	v_mov_b32_e32 v58, v27
	s_waitcnt lgkmcnt(0)
	s_barrier
	s_and_saveexec_b64 s[14:15], s[6:7]
	s_cbranch_execz .LBB13_38
; %bb.35:                               ;   in Loop: Header=BB13_2 Depth=1
	s_mov_b64 s[16:17], 0
	v_mov_b32_e32 v58, v27
	v_mov_b32_e32 v57, v28
.LBB13_36:                              ;   Parent Loop BB13_2 Depth=1
                                        ; =>  This Inner Loop Header: Depth=2
	v_sub_u32_e32 v59, v57, v58
	v_lshrrev_b32_e32 v59, 1, v59
	v_add_u32_e32 v59, v59, v58
	v_not_b32_e32 v61, v59
	v_lshl_add_u32 v60, v59, 2, v52
	v_lshl_add_u32 v61, v61, 2, v44
	ds_read_b32 v60, v60
	ds_read_b32 v61, v61
	v_add_u32_e32 v62, 1, v59
	s_waitcnt lgkmcnt(0)
	v_cmp_lt_i32_e64 s[12:13], v61, v60
	v_cndmask_b32_e64 v57, v57, v59, s[12:13]
	v_cndmask_b32_e64 v58, v62, v58, s[12:13]
	v_cmp_ge_i32_e64 s[12:13], v58, v57
	s_or_b64 s[16:17], s[12:13], s[16:17]
	s_andn2_b64 exec, exec, s[16:17]
	s_cbranch_execnz .LBB13_36
; %bb.37:                               ;   in Loop: Header=BB13_2 Depth=1
	s_or_b64 exec, exec, s[16:17]
.LBB13_38:                              ;   in Loop: Header=BB13_2 Depth=1
	s_or_b64 exec, exec, s[14:15]
	v_sub_u32_e32 v57, v43, v58
	v_lshl_add_u32 v63, v58, 2, v52
	v_lshlrev_b32_e32 v62, 2, v57
	ds_read_b32 v59, v63
	ds_read_b32 v60, v62
	v_add_u32_e32 v58, v58, v13
	v_cmp_le_i32_e64 s[14:15], v14, v58
	v_cmp_gt_i32_e64 s[12:13], v15, v57
                                        ; implicit-def: $vgpr61
	s_waitcnt lgkmcnt(0)
	v_cmp_lt_i32_e64 s[16:17], v60, v59
	s_or_b64 s[14:15], s[14:15], s[16:17]
	s_and_b64 s[12:13], s[12:13], s[14:15]
	s_xor_b64 s[14:15], s[12:13], -1
	s_and_saveexec_b64 s[16:17], s[14:15]
	s_xor_b64 s[14:15], exec, s[16:17]
; %bb.39:                               ;   in Loop: Header=BB13_2 Depth=1
	ds_read_b32 v61, v63 offset:4
                                        ; implicit-def: $vgpr62
; %bb.40:                               ;   in Loop: Header=BB13_2 Depth=1
	s_or_saveexec_b64 s[14:15], s[14:15]
	v_mov_b32_e32 v63, v60
	s_xor_b64 exec, exec, s[14:15]
	s_cbranch_execz .LBB13_42
; %bb.41:                               ;   in Loop: Header=BB13_2 Depth=1
	ds_read_b32 v63, v62 offset:4
	s_waitcnt lgkmcnt(1)
	v_mov_b32_e32 v61, v59
.LBB13_42:                              ;   in Loop: Header=BB13_2 Depth=1
	s_or_b64 exec, exec, s[14:15]
	v_add_u32_e32 v62, 1, v58
	v_cndmask_b32_e64 v59, v59, v60, s[12:13]
	v_add_u32_e32 v60, 1, v57
	v_cndmask_b32_e64 v62, v62, v58, s[12:13]
	v_cndmask_b32_e64 v60, v57, v60, s[12:13]
	v_cmp_ge_i32_e64 s[14:15], v62, v14
	s_waitcnt lgkmcnt(0)
	v_cmp_lt_i32_e64 s[16:17], v63, v61
	v_cndmask_b32_e64 v57, v58, v57, s[12:13]
	v_cmp_lt_i32_e64 s[12:13], v60, v15
	s_or_b64 s[14:15], s[14:15], s[16:17]
	s_and_b64 s[12:13], s[12:13], s[14:15]
	v_cndmask_b32_e64 v60, v62, v60, s[12:13]
	s_barrier
	ds_write2_b32 v47, v55, v56 offset1:1
	v_lshlrev_b32_e32 v55, 2, v57
	v_lshlrev_b32_e32 v56, 2, v60
	s_waitcnt lgkmcnt(0)
	s_barrier
	ds_read_b32 v55, v55
	ds_read_b32 v56, v56
	v_cndmask_b32_e64 v58, v61, v63, s[12:13]
	s_waitcnt lgkmcnt(0)
	s_barrier
	ds_write2_b32 v47, v59, v58 offset1:1
	v_mov_b32_e32 v58, v29
	s_waitcnt lgkmcnt(0)
	s_barrier
	s_and_saveexec_b64 s[14:15], s[8:9]
	s_cbranch_execz .LBB13_46
; %bb.43:                               ;   in Loop: Header=BB13_2 Depth=1
	s_mov_b64 s[16:17], 0
	v_mov_b32_e32 v58, v29
	v_mov_b32_e32 v57, v30
.LBB13_44:                              ;   Parent Loop BB13_2 Depth=1
                                        ; =>  This Inner Loop Header: Depth=2
	v_sub_u32_e32 v59, v57, v58
	v_lshrrev_b32_e32 v59, 1, v59
	v_add_u32_e32 v59, v59, v58
	v_not_b32_e32 v61, v59
	v_lshl_add_u32 v60, v59, 2, v53
	v_lshl_add_u32 v61, v61, 2, v46
	ds_read_b32 v60, v60
	ds_read_b32 v61, v61
	v_add_u32_e32 v62, 1, v59
	s_waitcnt lgkmcnt(0)
	v_cmp_lt_i32_e64 s[12:13], v61, v60
	v_cndmask_b32_e64 v57, v57, v59, s[12:13]
	v_cndmask_b32_e64 v58, v62, v58, s[12:13]
	v_cmp_ge_i32_e64 s[12:13], v58, v57
	s_or_b64 s[16:17], s[12:13], s[16:17]
	s_andn2_b64 exec, exec, s[16:17]
	s_cbranch_execnz .LBB13_44
; %bb.45:                               ;   in Loop: Header=BB13_2 Depth=1
	s_or_b64 exec, exec, s[16:17]
.LBB13_46:                              ;   in Loop: Header=BB13_2 Depth=1
	s_or_b64 exec, exec, s[14:15]
	v_sub_u32_e32 v57, v45, v58
	v_lshl_add_u32 v63, v58, 2, v53
	v_lshlrev_b32_e32 v62, 2, v57
	ds_read_b32 v59, v63
	ds_read_b32 v60, v62
	v_add_u32_e32 v58, v58, v16
	v_cmp_le_i32_e64 s[14:15], v17, v58
	v_cmp_gt_i32_e64 s[12:13], v18, v57
                                        ; implicit-def: $vgpr61
	s_waitcnt lgkmcnt(0)
	v_cmp_lt_i32_e64 s[16:17], v60, v59
	s_or_b64 s[14:15], s[14:15], s[16:17]
	s_and_b64 s[12:13], s[12:13], s[14:15]
	s_xor_b64 s[14:15], s[12:13], -1
	s_and_saveexec_b64 s[16:17], s[14:15]
	s_xor_b64 s[14:15], exec, s[16:17]
; %bb.47:                               ;   in Loop: Header=BB13_2 Depth=1
	ds_read_b32 v61, v63 offset:4
                                        ; implicit-def: $vgpr62
; %bb.48:                               ;   in Loop: Header=BB13_2 Depth=1
	s_or_saveexec_b64 s[14:15], s[14:15]
	v_mov_b32_e32 v63, v60
	s_xor_b64 exec, exec, s[14:15]
	s_cbranch_execz .LBB13_50
; %bb.49:                               ;   in Loop: Header=BB13_2 Depth=1
	ds_read_b32 v63, v62 offset:4
	s_waitcnt lgkmcnt(1)
	v_mov_b32_e32 v61, v59
.LBB13_50:                              ;   in Loop: Header=BB13_2 Depth=1
	s_or_b64 exec, exec, s[14:15]
	v_add_u32_e32 v62, 1, v58
	v_cndmask_b32_e64 v59, v59, v60, s[12:13]
	v_add_u32_e32 v60, 1, v57
	v_cndmask_b32_e64 v62, v62, v58, s[12:13]
	v_cndmask_b32_e64 v60, v57, v60, s[12:13]
	v_cmp_ge_i32_e64 s[14:15], v62, v17
	s_waitcnt lgkmcnt(0)
	v_cmp_lt_i32_e64 s[16:17], v63, v61
	v_cndmask_b32_e64 v57, v58, v57, s[12:13]
	v_cmp_lt_i32_e64 s[12:13], v60, v18
	s_or_b64 s[14:15], s[14:15], s[16:17]
	s_and_b64 s[12:13], s[12:13], s[14:15]
	v_cndmask_b32_e64 v60, v62, v60, s[12:13]
	s_barrier
	ds_write2_b32 v47, v55, v56 offset1:1
	v_lshlrev_b32_e32 v55, 2, v57
	v_lshlrev_b32_e32 v56, 2, v60
	s_waitcnt lgkmcnt(0)
	s_barrier
	ds_read_b32 v55, v55
	ds_read_b32 v56, v56
	v_cndmask_b32_e64 v58, v61, v63, s[12:13]
	v_mov_b32_e32 v57, v32
	s_waitcnt lgkmcnt(0)
	s_barrier
	ds_write2_b32 v47, v59, v58 offset1:1
	s_waitcnt lgkmcnt(0)
	s_barrier
	s_and_saveexec_b64 s[14:15], s[10:11]
	s_cbranch_execz .LBB13_54
; %bb.51:                               ;   in Loop: Header=BB13_2 Depth=1
	s_mov_b64 s[16:17], 0
	v_mov_b32_e32 v57, v32
	v_mov_b32_e32 v58, v33
.LBB13_52:                              ;   Parent Loop BB13_2 Depth=1
                                        ; =>  This Inner Loop Header: Depth=2
	v_sub_u32_e32 v59, v58, v57
	v_lshrrev_b32_e32 v59, 1, v59
	v_add_u32_e32 v59, v59, v57
	v_not_b32_e32 v61, v59
	v_lshlrev_b32_e32 v60, 2, v59
	v_lshl_add_u32 v61, v61, 2, v54
	ds_read_b32 v60, v60
	ds_read_b32 v61, v61
	v_add_u32_e32 v62, 1, v59
	s_waitcnt lgkmcnt(0)
	v_cmp_lt_i32_e64 s[12:13], v61, v60
	v_cndmask_b32_e64 v58, v58, v59, s[12:13]
	v_cndmask_b32_e64 v57, v62, v57, s[12:13]
	v_cmp_ge_i32_e64 s[12:13], v57, v58
	s_or_b64 s[16:17], s[12:13], s[16:17]
	s_andn2_b64 exec, exec, s[16:17]
	s_cbranch_execnz .LBB13_52
; %bb.53:                               ;   in Loop: Header=BB13_2 Depth=1
	s_or_b64 exec, exec, s[16:17]
.LBB13_54:                              ;   in Loop: Header=BB13_2 Depth=1
	s_or_b64 exec, exec, s[14:15]
	v_sub_u32_e32 v60, v34, v57
	v_lshlrev_b32_e32 v64, 2, v57
	v_lshlrev_b32_e32 v63, 2, v60
	ds_read_b32 v58, v64
	ds_read_b32 v59, v63
	v_cmp_le_i32_e64 s[14:15], v31, v57
	v_cmp_gt_i32_e64 s[12:13], s20, v60
                                        ; implicit-def: $vgpr62
                                        ; implicit-def: $vgpr61
	s_waitcnt lgkmcnt(0)
	v_cmp_lt_i32_e64 s[16:17], v59, v58
	s_or_b64 s[14:15], s[14:15], s[16:17]
	s_and_b64 s[12:13], s[12:13], s[14:15]
	s_xor_b64 s[14:15], s[12:13], -1
	s_and_saveexec_b64 s[16:17], s[14:15]
	s_xor_b64 s[14:15], exec, s[16:17]
; %bb.55:                               ;   in Loop: Header=BB13_2 Depth=1
	ds_read_b32 v62, v64 offset:4
	v_add_u32_e32 v61, 1, v57
                                        ; implicit-def: $vgpr63
; %bb.56:                               ;   in Loop: Header=BB13_2 Depth=1
	s_or_saveexec_b64 s[14:15], s[14:15]
	v_mov_b32_e32 v64, v57
	v_mov_b32_e32 v65, v59
	s_xor_b64 exec, exec, s[14:15]
	s_cbranch_execz .LBB13_1
; %bb.57:                               ;   in Loop: Header=BB13_2 Depth=1
	ds_read_b32 v65, v63 offset:4
	s_waitcnt lgkmcnt(1)
	v_add_u32_e32 v62, 1, v60
	v_mov_b32_e32 v64, v60
	v_mov_b32_e32 v61, v57
	;; [unrolled: 1-line block ×4, first 2 shown]
	s_branch .LBB13_1
.LBB13_58:
	s_add_u32 s0, s22, s24
	s_waitcnt lgkmcnt(1)
	v_add_u32_e32 v1, v58, v55
	s_addc_u32 s1, s23, s25
	v_lshlrev_b32_e32 v0, 2, v0
	s_waitcnt lgkmcnt(0)
	v_add_u32_e32 v2, v57, v56
	global_store_dword v0, v1, s[0:1]
	global_store_dword v0, v2, s[0:1] offset:512
	s_endpgm
	.section	.rodata,"a",@progbits
	.p2align	6, 0x0
	.amdhsa_kernel _Z17sort_pairs_kernelIiLj128ELj2EN10test_utils4lessELj10EEvPKT_PS2_T2_
		.amdhsa_group_segment_fixed_size 1028
		.amdhsa_private_segment_fixed_size 0
		.amdhsa_kernarg_size 20
		.amdhsa_user_sgpr_count 6
		.amdhsa_user_sgpr_private_segment_buffer 1
		.amdhsa_user_sgpr_dispatch_ptr 0
		.amdhsa_user_sgpr_queue_ptr 0
		.amdhsa_user_sgpr_kernarg_segment_ptr 1
		.amdhsa_user_sgpr_dispatch_id 0
		.amdhsa_user_sgpr_flat_scratch_init 0
		.amdhsa_user_sgpr_private_segment_size 0
		.amdhsa_uses_dynamic_stack 0
		.amdhsa_system_sgpr_private_segment_wavefront_offset 0
		.amdhsa_system_sgpr_workgroup_id_x 1
		.amdhsa_system_sgpr_workgroup_id_y 0
		.amdhsa_system_sgpr_workgroup_id_z 0
		.amdhsa_system_sgpr_workgroup_info 0
		.amdhsa_system_vgpr_workitem_id 0
		.amdhsa_next_free_vgpr 66
		.amdhsa_next_free_sgpr 28
		.amdhsa_reserve_vcc 1
		.amdhsa_reserve_flat_scratch 0
		.amdhsa_float_round_mode_32 0
		.amdhsa_float_round_mode_16_64 0
		.amdhsa_float_denorm_mode_32 3
		.amdhsa_float_denorm_mode_16_64 3
		.amdhsa_dx10_clamp 1
		.amdhsa_ieee_mode 1
		.amdhsa_fp16_overflow 0
		.amdhsa_exception_fp_ieee_invalid_op 0
		.amdhsa_exception_fp_denorm_src 0
		.amdhsa_exception_fp_ieee_div_zero 0
		.amdhsa_exception_fp_ieee_overflow 0
		.amdhsa_exception_fp_ieee_underflow 0
		.amdhsa_exception_fp_ieee_inexact 0
		.amdhsa_exception_int_div_zero 0
	.end_amdhsa_kernel
	.section	.text._Z17sort_pairs_kernelIiLj128ELj2EN10test_utils4lessELj10EEvPKT_PS2_T2_,"axG",@progbits,_Z17sort_pairs_kernelIiLj128ELj2EN10test_utils4lessELj10EEvPKT_PS2_T2_,comdat
.Lfunc_end13:
	.size	_Z17sort_pairs_kernelIiLj128ELj2EN10test_utils4lessELj10EEvPKT_PS2_T2_, .Lfunc_end13-_Z17sort_pairs_kernelIiLj128ELj2EN10test_utils4lessELj10EEvPKT_PS2_T2_
                                        ; -- End function
	.set _Z17sort_pairs_kernelIiLj128ELj2EN10test_utils4lessELj10EEvPKT_PS2_T2_.num_vgpr, 66
	.set _Z17sort_pairs_kernelIiLj128ELj2EN10test_utils4lessELj10EEvPKT_PS2_T2_.num_agpr, 0
	.set _Z17sort_pairs_kernelIiLj128ELj2EN10test_utils4lessELj10EEvPKT_PS2_T2_.numbered_sgpr, 28
	.set _Z17sort_pairs_kernelIiLj128ELj2EN10test_utils4lessELj10EEvPKT_PS2_T2_.num_named_barrier, 0
	.set _Z17sort_pairs_kernelIiLj128ELj2EN10test_utils4lessELj10EEvPKT_PS2_T2_.private_seg_size, 0
	.set _Z17sort_pairs_kernelIiLj128ELj2EN10test_utils4lessELj10EEvPKT_PS2_T2_.uses_vcc, 1
	.set _Z17sort_pairs_kernelIiLj128ELj2EN10test_utils4lessELj10EEvPKT_PS2_T2_.uses_flat_scratch, 0
	.set _Z17sort_pairs_kernelIiLj128ELj2EN10test_utils4lessELj10EEvPKT_PS2_T2_.has_dyn_sized_stack, 0
	.set _Z17sort_pairs_kernelIiLj128ELj2EN10test_utils4lessELj10EEvPKT_PS2_T2_.has_recursion, 0
	.set _Z17sort_pairs_kernelIiLj128ELj2EN10test_utils4lessELj10EEvPKT_PS2_T2_.has_indirect_call, 0
	.section	.AMDGPU.csdata,"",@progbits
; Kernel info:
; codeLenInByte = 3632
; TotalNumSgprs: 32
; NumVgprs: 66
; ScratchSize: 0
; MemoryBound: 0
; FloatMode: 240
; IeeeMode: 1
; LDSByteSize: 1028 bytes/workgroup (compile time only)
; SGPRBlocks: 3
; VGPRBlocks: 16
; NumSGPRsForWavesPerEU: 32
; NumVGPRsForWavesPerEU: 66
; Occupancy: 3
; WaveLimiterHint : 1
; COMPUTE_PGM_RSRC2:SCRATCH_EN: 0
; COMPUTE_PGM_RSRC2:USER_SGPR: 6
; COMPUTE_PGM_RSRC2:TRAP_HANDLER: 0
; COMPUTE_PGM_RSRC2:TGID_X_EN: 1
; COMPUTE_PGM_RSRC2:TGID_Y_EN: 0
; COMPUTE_PGM_RSRC2:TGID_Z_EN: 0
; COMPUTE_PGM_RSRC2:TIDIG_COMP_CNT: 0
	.section	.text._Z16sort_keys_kernelIiLj128ELj3EN10test_utils4lessELj10EEvPKT_PS2_T2_,"axG",@progbits,_Z16sort_keys_kernelIiLj128ELj3EN10test_utils4lessELj10EEvPKT_PS2_T2_,comdat
	.protected	_Z16sort_keys_kernelIiLj128ELj3EN10test_utils4lessELj10EEvPKT_PS2_T2_ ; -- Begin function _Z16sort_keys_kernelIiLj128ELj3EN10test_utils4lessELj10EEvPKT_PS2_T2_
	.globl	_Z16sort_keys_kernelIiLj128ELj3EN10test_utils4lessELj10EEvPKT_PS2_T2_
	.p2align	8
	.type	_Z16sort_keys_kernelIiLj128ELj3EN10test_utils4lessELj10EEvPKT_PS2_T2_,@function
_Z16sort_keys_kernelIiLj128ELj3EN10test_utils4lessELj10EEvPKT_PS2_T2_: ; @_Z16sort_keys_kernelIiLj128ELj3EN10test_utils4lessELj10EEvPKT_PS2_T2_
; %bb.0:
	s_load_dwordx4 s[20:23], s[4:5], 0x0
	s_mul_i32 s26, s6, 0x180
	s_mov_b32 s27, 0
	s_lshl_b64 s[24:25], s[26:27], 2
	v_lshlrev_b32_e32 v12, 2, v0
	s_waitcnt lgkmcnt(0)
	s_add_u32 s0, s20, s24
	s_addc_u32 s1, s21, s25
	global_load_dword v62, v12, s[0:1]
	global_load_dword v63, v12, s[0:1] offset:512
	global_load_dword v64, v12, s[0:1] offset:1024
	v_and_b32_e32 v1, 0x7e, v0
	v_and_b32_e32 v3, 0x7c, v0
	v_and_b32_e32 v5, 0x78, v0
	v_and_b32_e32 v7, 0x70, v0
	v_and_b32_e32 v9, 0x60, v0
	v_and_b32_e32 v11, 64, v0
	v_mul_u32_u24_e32 v13, 3, v1
	v_mul_u32_u24_e32 v19, 3, v3
	;; [unrolled: 1-line block ×6, first 2 shown]
	v_and_b32_e32 v1, 1, v0
	v_min_u32_e32 v17, 0x17d, v13
	v_min_u32_e32 v2, 0x17a, v13
	;; [unrolled: 1-line block ×12, first 2 shown]
	v_cmp_eq_u32_e32 vcc, 1, v1
	v_add_u32_e32 v1, 3, v17
	v_add_u32_e32 v2, 6, v2
	v_and_b32_e32 v24, 3, v0
	v_add_u32_e32 v3, 6, v23
	v_add_u32_e32 v4, 12, v4
	v_and_b32_e32 v30, 7, v0
	v_add_u32_e32 v5, 12, v29
	v_add_u32_e32 v6, 24, v6
	;; [unrolled: 1-line block ×3, first 2 shown]
	v_and_b32_e32 v36, 15, v0
	v_add_u32_e32 v8, 24, v35
	v_add_u32_e32 v9, 0x60, v9
	v_and_b32_e32 v42, 31, v0
	v_add_u32_e32 v10, 48, v41
	v_add_u32_e32 v11, 0xc0, v11
	v_and_b32_e32 v48, 63, v0
	v_add_u32_e32 v12, 0x60, v47
	v_cndmask_b32_e64 v18, 0, 3, vcc
	v_sub_u32_e32 v14, v2, v1
	v_mul_u32_u24_e32 v22, 3, v24
	v_sub_u32_e32 v20, v4, v3
	v_mul_u32_u24_e32 v28, 3, v30
	;; [unrolled: 2-line block ×5, first 2 shown]
	v_sub_u32_e32 v44, v11, v12
	v_sub_u32_e32 v15, v18, v14
	;; [unrolled: 1-line block ×7, first 2 shown]
	v_min_u32_e32 v13, 0x180, v13
	v_cmp_ge_i32_e32 vcc, v18, v14
	v_min_u32_e32 v19, 0x180, v19
	v_cmp_ge_i32_e64 s[0:1], v22, v20
	v_min_u32_e32 v25, 0x180, v25
	v_cmp_ge_i32_e64 s[2:3], v28, v26
	;; [unrolled: 2-line block ×5, first 2 shown]
	v_cndmask_b32_e32 v14, 0, v15, vcc
	v_sub_u32_e32 v15, v1, v13
	v_cndmask_b32_e64 v20, 0, v21, s[0:1]
	v_sub_u32_e32 v21, v3, v19
	v_cndmask_b32_e64 v26, 0, v27, s[2:3]
	;; [unrolled: 2-line block ×5, first 2 shown]
	v_sub_u32_e32 v45, v12, v43
	v_mov_b32_e32 v49, 0xc0
	v_mul_u32_u24_e32 v50, 3, v0
	v_min_i32_e32 v15, v18, v15
	v_lshlrev_b32_e32 v16, 2, v18
	v_min_i32_e32 v21, v22, v21
	v_lshlrev_b32_e32 v22, 2, v22
	v_min_i32_e32 v27, v28, v27
	v_lshlrev_b32_e32 v28, 2, v28
	v_min_i32_e32 v33, v34, v33
	v_lshlrev_b32_e32 v34, 2, v34
	v_min_i32_e32 v39, v40, v39
	v_lshlrev_b32_e32 v40, 2, v40
	v_min_i32_e32 v45, v46, v45
	v_lshlrev_b32_e32 v46, 2, v46
	v_sub_u32_e64 v51, v50, v49 clamp
	v_min_i32_e32 v52, 0xc0, v50
	s_movk_i32 s20, 0x180
	v_cmp_lt_i32_e32 vcc, v14, v15
	v_lshl_add_u32 v16, v17, 2, v16
	v_add_u32_e32 v17, v17, v18
	v_add_u32_e32 v18, v1, v18
	v_cmp_lt_i32_e64 s[0:1], v20, v21
	v_lshl_add_u32 v22, v23, 2, v22
	v_mad_u32_u24 v23, v24, 3, v23
	v_mad_u32_u24 v24, v24, 3, v3
	v_cmp_lt_i32_e64 s[2:3], v26, v27
	v_lshl_add_u32 v28, v29, 2, v28
	v_mad_u32_u24 v29, v30, 3, v29
	v_mad_u32_u24 v30, v30, 3, v5
	;; [unrolled: 4-line block ×5, first 2 shown]
	v_cmp_lt_i32_e64 s[10:11], v51, v52
	v_mul_u32_u24_e32 v53, 12, v0
	v_lshlrev_b32_e32 v54, 2, v13
	v_lshlrev_b32_e32 v55, 2, v19
	;; [unrolled: 1-line block ×6, first 2 shown]
	v_mad_u32_u24 v60, v0, 3, v49
	v_lshlrev_b32_e32 v61, 2, v50
	s_branch .LBB14_2
.LBB14_1:                               ;   in Loop: Header=BB14_2 Depth=1
	s_or_b64 exec, exec, s[16:17]
	v_cndmask_b32_e64 v62, v62, v63, s[12:13]
	v_cndmask_b32_e64 v63, v65, v66, s[14:15]
	v_cmp_ge_i32_e64 s[14:15], v69, v49
	s_waitcnt lgkmcnt(0)
	v_cmp_lt_i32_e64 s[16:17], v70, v64
	v_cmp_gt_i32_e64 s[12:13], s20, v67
	s_or_b64 s[14:15], s[14:15], s[16:17]
	s_and_b64 s[12:13], s[12:13], s[14:15]
	s_add_i32 s27, s27, 1
	s_cmp_eq_u32 s27, 10
	v_cndmask_b32_e64 v64, v64, v70, s[12:13]
	s_cbranch_scc1 .LBB14_86
.LBB14_2:                               ; =>This Loop Header: Depth=1
                                        ;     Child Loop BB14_4 Depth 2
                                        ;     Child Loop BB14_16 Depth 2
                                        ;     Child Loop BB14_28 Depth 2
                                        ;     Child Loop BB14_40 Depth 2
                                        ;     Child Loop BB14_52 Depth 2
                                        ;     Child Loop BB14_64 Depth 2
                                        ;     Child Loop BB14_76 Depth 2
	s_waitcnt vmcnt(1)
	v_cmp_lt_i32_e64 s[12:13], v63, v62
	v_cndmask_b32_e64 v65, v62, v63, s[12:13]
	v_cndmask_b32_e64 v66, v63, v62, s[12:13]
	v_min_i32_e32 v67, v63, v62
	v_max_i32_e32 v62, v63, v62
	s_waitcnt vmcnt(0)
	v_cmp_lt_i32_e64 s[12:13], v64, v62
	v_cndmask_b32_e64 v63, v64, v62, s[12:13]
	v_cndmask_b32_e64 v66, v66, v64, s[12:13]
	v_min_i32_e32 v62, v64, v62
	v_cmp_lt_i32_e64 s[12:13], v64, v67
	v_cndmask_b32_e64 v62, v65, v62, s[12:13]
	v_cndmask_b32_e64 v64, v66, v67, s[12:13]
	s_barrier
	ds_write2_b32 v53, v62, v64 offset1:1
	ds_write_b32 v53, v63 offset:8
	v_mov_b32_e32 v64, v14
	s_waitcnt lgkmcnt(0)
	s_barrier
	s_and_saveexec_b64 s[14:15], vcc
	s_cbranch_execz .LBB14_6
; %bb.3:                                ;   in Loop: Header=BB14_2 Depth=1
	s_mov_b64 s[16:17], 0
	v_mov_b32_e32 v64, v14
	v_mov_b32_e32 v62, v15
.LBB14_4:                               ;   Parent Loop BB14_2 Depth=1
                                        ; =>  This Inner Loop Header: Depth=2
	v_sub_u32_e32 v63, v62, v64
	v_lshrrev_b32_e32 v63, 1, v63
	v_add_u32_e32 v63, v63, v64
	v_not_b32_e32 v66, v63
	v_lshl_add_u32 v65, v63, 2, v54
	v_lshl_add_u32 v66, v66, 2, v16
	ds_read_b32 v65, v65
	ds_read_b32 v66, v66 offset:12
	v_add_u32_e32 v67, 1, v63
	s_waitcnt lgkmcnt(0)
	v_cmp_lt_i32_e64 s[12:13], v66, v65
	v_cndmask_b32_e64 v62, v62, v63, s[12:13]
	v_cndmask_b32_e64 v64, v67, v64, s[12:13]
	v_cmp_ge_i32_e64 s[12:13], v64, v62
	s_or_b64 s[16:17], s[12:13], s[16:17]
	s_andn2_b64 exec, exec, s[16:17]
	s_cbranch_execnz .LBB14_4
; %bb.5:                                ;   in Loop: Header=BB14_2 Depth=1
	s_or_b64 exec, exec, s[16:17]
.LBB14_6:                               ;   in Loop: Header=BB14_2 Depth=1
	s_or_b64 exec, exec, s[14:15]
	v_lshl_add_u32 v65, v64, 2, v54
	v_sub_u32_e32 v62, v17, v64
	v_lshlrev_b32_e32 v68, 2, v62
	ds_read_b32 v62, v65
	ds_read_b32 v63, v68 offset:12
	v_add_u32_e32 v66, v64, v13
	v_sub_u32_e32 v67, v18, v64
	v_cmp_le_i32_e64 s[14:15], v1, v66
	v_cmp_gt_i32_e64 s[12:13], v2, v67
	s_waitcnt lgkmcnt(0)
	v_cmp_lt_i32_e64 s[16:17], v63, v62
	s_or_b64 s[14:15], s[14:15], s[16:17]
	s_and_b64 s[12:13], s[12:13], s[14:15]
	s_xor_b64 s[14:15], s[12:13], -1
                                        ; implicit-def: $vgpr64
	s_and_saveexec_b64 s[16:17], s[14:15]
	s_xor_b64 s[14:15], exec, s[16:17]
; %bb.7:                                ;   in Loop: Header=BB14_2 Depth=1
	ds_read_b32 v64, v65 offset:4
                                        ; implicit-def: $vgpr68
; %bb.8:                                ;   in Loop: Header=BB14_2 Depth=1
	s_or_saveexec_b64 s[14:15], s[14:15]
	v_mov_b32_e32 v65, v63
	s_xor_b64 exec, exec, s[14:15]
	s_cbranch_execz .LBB14_10
; %bb.9:                                ;   in Loop: Header=BB14_2 Depth=1
	ds_read_b32 v65, v68 offset:16
	s_waitcnt lgkmcnt(1)
	v_mov_b32_e32 v64, v62
.LBB14_10:                              ;   in Loop: Header=BB14_2 Depth=1
	s_or_b64 exec, exec, s[14:15]
	v_add_u32_e32 v69, 1, v66
	v_add_u32_e32 v68, 1, v67
	v_cndmask_b32_e64 v66, v69, v66, s[12:13]
	v_cndmask_b32_e64 v67, v67, v68, s[12:13]
	v_cmp_ge_i32_e64 s[16:17], v66, v1
	s_waitcnt lgkmcnt(0)
	v_cmp_lt_i32_e64 s[18:19], v65, v64
	v_cmp_lt_i32_e64 s[14:15], v67, v2
	s_or_b64 s[16:17], s[16:17], s[18:19]
	s_and_b64 s[14:15], s[14:15], s[16:17]
	s_xor_b64 s[16:17], s[14:15], -1
                                        ; implicit-def: $vgpr68
	s_and_saveexec_b64 s[18:19], s[16:17]
	s_xor_b64 s[16:17], exec, s[18:19]
; %bb.11:                               ;   in Loop: Header=BB14_2 Depth=1
	v_lshlrev_b32_e32 v68, 2, v66
	ds_read_b32 v68, v68 offset:4
; %bb.12:                               ;   in Loop: Header=BB14_2 Depth=1
	s_or_saveexec_b64 s[16:17], s[16:17]
	v_mov_b32_e32 v69, v65
	s_xor_b64 exec, exec, s[16:17]
	s_cbranch_execz .LBB14_14
; %bb.13:                               ;   in Loop: Header=BB14_2 Depth=1
	s_waitcnt lgkmcnt(0)
	v_lshlrev_b32_e32 v68, 2, v67
	ds_read_b32 v69, v68 offset:4
	v_mov_b32_e32 v68, v64
.LBB14_14:                              ;   in Loop: Header=BB14_2 Depth=1
	s_or_b64 exec, exec, s[16:17]
	v_add_u32_e32 v70, 1, v66
	v_cndmask_b32_e64 v64, v64, v65, s[14:15]
	v_add_u32_e32 v65, 1, v67
	v_cndmask_b32_e64 v66, v70, v66, s[14:15]
	v_cndmask_b32_e64 v65, v67, v65, s[14:15]
	v_cmp_ge_i32_e64 s[14:15], v66, v1
	s_waitcnt lgkmcnt(0)
	v_cmp_lt_i32_e64 s[16:17], v69, v68
	v_cndmask_b32_e64 v62, v62, v63, s[12:13]
	v_cmp_lt_i32_e64 s[12:13], v65, v2
	s_or_b64 s[14:15], s[14:15], s[16:17]
	s_and_b64 s[12:13], s[12:13], s[14:15]
	v_cndmask_b32_e64 v63, v68, v69, s[12:13]
	s_barrier
	ds_write2_b32 v53, v62, v64 offset1:1
	ds_write_b32 v53, v63 offset:8
	v_mov_b32_e32 v64, v20
	s_waitcnt lgkmcnt(0)
	s_barrier
	s_and_saveexec_b64 s[14:15], s[0:1]
	s_cbranch_execz .LBB14_18
; %bb.15:                               ;   in Loop: Header=BB14_2 Depth=1
	s_mov_b64 s[16:17], 0
	v_mov_b32_e32 v64, v20
	v_mov_b32_e32 v62, v21
.LBB14_16:                              ;   Parent Loop BB14_2 Depth=1
                                        ; =>  This Inner Loop Header: Depth=2
	v_sub_u32_e32 v63, v62, v64
	v_lshrrev_b32_e32 v63, 1, v63
	v_add_u32_e32 v63, v63, v64
	v_not_b32_e32 v66, v63
	v_lshl_add_u32 v65, v63, 2, v55
	v_lshl_add_u32 v66, v66, 2, v22
	ds_read_b32 v65, v65
	ds_read_b32 v66, v66 offset:24
	v_add_u32_e32 v67, 1, v63
	s_waitcnt lgkmcnt(0)
	v_cmp_lt_i32_e64 s[12:13], v66, v65
	v_cndmask_b32_e64 v62, v62, v63, s[12:13]
	v_cndmask_b32_e64 v64, v67, v64, s[12:13]
	v_cmp_ge_i32_e64 s[12:13], v64, v62
	s_or_b64 s[16:17], s[12:13], s[16:17]
	s_andn2_b64 exec, exec, s[16:17]
	s_cbranch_execnz .LBB14_16
; %bb.17:                               ;   in Loop: Header=BB14_2 Depth=1
	s_or_b64 exec, exec, s[16:17]
.LBB14_18:                              ;   in Loop: Header=BB14_2 Depth=1
	s_or_b64 exec, exec, s[14:15]
	v_lshl_add_u32 v65, v64, 2, v55
	v_sub_u32_e32 v62, v23, v64
	v_lshlrev_b32_e32 v68, 2, v62
	ds_read_b32 v62, v65
	ds_read_b32 v63, v68 offset:24
	v_add_u32_e32 v66, v64, v19
	v_sub_u32_e32 v67, v24, v64
	v_cmp_le_i32_e64 s[14:15], v3, v66
	v_cmp_gt_i32_e64 s[12:13], v4, v67
	s_waitcnt lgkmcnt(0)
	v_cmp_lt_i32_e64 s[16:17], v63, v62
	s_or_b64 s[14:15], s[14:15], s[16:17]
	s_and_b64 s[12:13], s[12:13], s[14:15]
	s_xor_b64 s[14:15], s[12:13], -1
                                        ; implicit-def: $vgpr64
	s_and_saveexec_b64 s[16:17], s[14:15]
	s_xor_b64 s[14:15], exec, s[16:17]
; %bb.19:                               ;   in Loop: Header=BB14_2 Depth=1
	ds_read_b32 v64, v65 offset:4
                                        ; implicit-def: $vgpr68
; %bb.20:                               ;   in Loop: Header=BB14_2 Depth=1
	s_or_saveexec_b64 s[14:15], s[14:15]
	v_mov_b32_e32 v65, v63
	s_xor_b64 exec, exec, s[14:15]
	s_cbranch_execz .LBB14_22
; %bb.21:                               ;   in Loop: Header=BB14_2 Depth=1
	ds_read_b32 v65, v68 offset:28
	s_waitcnt lgkmcnt(1)
	v_mov_b32_e32 v64, v62
.LBB14_22:                              ;   in Loop: Header=BB14_2 Depth=1
	s_or_b64 exec, exec, s[14:15]
	v_add_u32_e32 v69, 1, v66
	v_add_u32_e32 v68, 1, v67
	v_cndmask_b32_e64 v66, v69, v66, s[12:13]
	v_cndmask_b32_e64 v67, v67, v68, s[12:13]
	v_cmp_ge_i32_e64 s[16:17], v66, v3
	s_waitcnt lgkmcnt(0)
	v_cmp_lt_i32_e64 s[18:19], v65, v64
	v_cmp_lt_i32_e64 s[14:15], v67, v4
	s_or_b64 s[16:17], s[16:17], s[18:19]
	s_and_b64 s[14:15], s[14:15], s[16:17]
	s_xor_b64 s[16:17], s[14:15], -1
                                        ; implicit-def: $vgpr68
	s_and_saveexec_b64 s[18:19], s[16:17]
	s_xor_b64 s[16:17], exec, s[18:19]
; %bb.23:                               ;   in Loop: Header=BB14_2 Depth=1
	v_lshlrev_b32_e32 v68, 2, v66
	ds_read_b32 v68, v68 offset:4
; %bb.24:                               ;   in Loop: Header=BB14_2 Depth=1
	s_or_saveexec_b64 s[16:17], s[16:17]
	v_mov_b32_e32 v69, v65
	s_xor_b64 exec, exec, s[16:17]
	s_cbranch_execz .LBB14_26
; %bb.25:                               ;   in Loop: Header=BB14_2 Depth=1
	s_waitcnt lgkmcnt(0)
	v_lshlrev_b32_e32 v68, 2, v67
	ds_read_b32 v69, v68 offset:4
	v_mov_b32_e32 v68, v64
.LBB14_26:                              ;   in Loop: Header=BB14_2 Depth=1
	s_or_b64 exec, exec, s[16:17]
	v_add_u32_e32 v70, 1, v66
	v_cndmask_b32_e64 v64, v64, v65, s[14:15]
	v_add_u32_e32 v65, 1, v67
	v_cndmask_b32_e64 v66, v70, v66, s[14:15]
	v_cndmask_b32_e64 v65, v67, v65, s[14:15]
	v_cmp_ge_i32_e64 s[14:15], v66, v3
	s_waitcnt lgkmcnt(0)
	v_cmp_lt_i32_e64 s[16:17], v69, v68
	v_cndmask_b32_e64 v62, v62, v63, s[12:13]
	v_cmp_lt_i32_e64 s[12:13], v65, v4
	s_or_b64 s[14:15], s[14:15], s[16:17]
	s_and_b64 s[12:13], s[12:13], s[14:15]
	v_cndmask_b32_e64 v63, v68, v69, s[12:13]
	s_barrier
	ds_write2_b32 v53, v62, v64 offset1:1
	ds_write_b32 v53, v63 offset:8
	v_mov_b32_e32 v64, v26
	s_waitcnt lgkmcnt(0)
	s_barrier
	s_and_saveexec_b64 s[14:15], s[2:3]
	s_cbranch_execz .LBB14_30
; %bb.27:                               ;   in Loop: Header=BB14_2 Depth=1
	s_mov_b64 s[16:17], 0
	v_mov_b32_e32 v64, v26
	v_mov_b32_e32 v62, v27
.LBB14_28:                              ;   Parent Loop BB14_2 Depth=1
                                        ; =>  This Inner Loop Header: Depth=2
	v_sub_u32_e32 v63, v62, v64
	v_lshrrev_b32_e32 v63, 1, v63
	v_add_u32_e32 v63, v63, v64
	v_not_b32_e32 v66, v63
	v_lshl_add_u32 v65, v63, 2, v56
	v_lshl_add_u32 v66, v66, 2, v28
	ds_read_b32 v65, v65
	ds_read_b32 v66, v66 offset:48
	v_add_u32_e32 v67, 1, v63
	s_waitcnt lgkmcnt(0)
	v_cmp_lt_i32_e64 s[12:13], v66, v65
	v_cndmask_b32_e64 v62, v62, v63, s[12:13]
	v_cndmask_b32_e64 v64, v67, v64, s[12:13]
	v_cmp_ge_i32_e64 s[12:13], v64, v62
	s_or_b64 s[16:17], s[12:13], s[16:17]
	s_andn2_b64 exec, exec, s[16:17]
	s_cbranch_execnz .LBB14_28
; %bb.29:                               ;   in Loop: Header=BB14_2 Depth=1
	s_or_b64 exec, exec, s[16:17]
.LBB14_30:                              ;   in Loop: Header=BB14_2 Depth=1
	s_or_b64 exec, exec, s[14:15]
	v_lshl_add_u32 v65, v64, 2, v56
	v_sub_u32_e32 v62, v29, v64
	v_lshlrev_b32_e32 v68, 2, v62
	ds_read_b32 v62, v65
	ds_read_b32 v63, v68 offset:48
	v_add_u32_e32 v66, v64, v25
	v_sub_u32_e32 v67, v30, v64
	v_cmp_le_i32_e64 s[14:15], v5, v66
	v_cmp_gt_i32_e64 s[12:13], v6, v67
	s_waitcnt lgkmcnt(0)
	v_cmp_lt_i32_e64 s[16:17], v63, v62
	s_or_b64 s[14:15], s[14:15], s[16:17]
	s_and_b64 s[12:13], s[12:13], s[14:15]
	s_xor_b64 s[14:15], s[12:13], -1
                                        ; implicit-def: $vgpr64
	s_and_saveexec_b64 s[16:17], s[14:15]
	s_xor_b64 s[14:15], exec, s[16:17]
; %bb.31:                               ;   in Loop: Header=BB14_2 Depth=1
	ds_read_b32 v64, v65 offset:4
                                        ; implicit-def: $vgpr68
; %bb.32:                               ;   in Loop: Header=BB14_2 Depth=1
	s_or_saveexec_b64 s[14:15], s[14:15]
	v_mov_b32_e32 v65, v63
	s_xor_b64 exec, exec, s[14:15]
	s_cbranch_execz .LBB14_34
; %bb.33:                               ;   in Loop: Header=BB14_2 Depth=1
	ds_read_b32 v65, v68 offset:52
	s_waitcnt lgkmcnt(1)
	v_mov_b32_e32 v64, v62
.LBB14_34:                              ;   in Loop: Header=BB14_2 Depth=1
	s_or_b64 exec, exec, s[14:15]
	v_add_u32_e32 v69, 1, v66
	v_add_u32_e32 v68, 1, v67
	v_cndmask_b32_e64 v66, v69, v66, s[12:13]
	v_cndmask_b32_e64 v67, v67, v68, s[12:13]
	v_cmp_ge_i32_e64 s[16:17], v66, v5
	s_waitcnt lgkmcnt(0)
	v_cmp_lt_i32_e64 s[18:19], v65, v64
	v_cmp_lt_i32_e64 s[14:15], v67, v6
	s_or_b64 s[16:17], s[16:17], s[18:19]
	s_and_b64 s[14:15], s[14:15], s[16:17]
	s_xor_b64 s[16:17], s[14:15], -1
                                        ; implicit-def: $vgpr68
	s_and_saveexec_b64 s[18:19], s[16:17]
	s_xor_b64 s[16:17], exec, s[18:19]
; %bb.35:                               ;   in Loop: Header=BB14_2 Depth=1
	v_lshlrev_b32_e32 v68, 2, v66
	ds_read_b32 v68, v68 offset:4
; %bb.36:                               ;   in Loop: Header=BB14_2 Depth=1
	s_or_saveexec_b64 s[16:17], s[16:17]
	v_mov_b32_e32 v69, v65
	s_xor_b64 exec, exec, s[16:17]
	s_cbranch_execz .LBB14_38
; %bb.37:                               ;   in Loop: Header=BB14_2 Depth=1
	s_waitcnt lgkmcnt(0)
	v_lshlrev_b32_e32 v68, 2, v67
	ds_read_b32 v69, v68 offset:4
	v_mov_b32_e32 v68, v64
.LBB14_38:                              ;   in Loop: Header=BB14_2 Depth=1
	s_or_b64 exec, exec, s[16:17]
	v_add_u32_e32 v70, 1, v66
	v_cndmask_b32_e64 v64, v64, v65, s[14:15]
	v_add_u32_e32 v65, 1, v67
	v_cndmask_b32_e64 v66, v70, v66, s[14:15]
	v_cndmask_b32_e64 v65, v67, v65, s[14:15]
	v_cmp_ge_i32_e64 s[14:15], v66, v5
	s_waitcnt lgkmcnt(0)
	v_cmp_lt_i32_e64 s[16:17], v69, v68
	v_cndmask_b32_e64 v62, v62, v63, s[12:13]
	v_cmp_lt_i32_e64 s[12:13], v65, v6
	s_or_b64 s[14:15], s[14:15], s[16:17]
	s_and_b64 s[12:13], s[12:13], s[14:15]
	v_cndmask_b32_e64 v63, v68, v69, s[12:13]
	s_barrier
	ds_write2_b32 v53, v62, v64 offset1:1
	ds_write_b32 v53, v63 offset:8
	v_mov_b32_e32 v64, v32
	s_waitcnt lgkmcnt(0)
	s_barrier
	s_and_saveexec_b64 s[14:15], s[4:5]
	s_cbranch_execz .LBB14_42
; %bb.39:                               ;   in Loop: Header=BB14_2 Depth=1
	s_mov_b64 s[16:17], 0
	v_mov_b32_e32 v64, v32
	v_mov_b32_e32 v62, v33
.LBB14_40:                              ;   Parent Loop BB14_2 Depth=1
                                        ; =>  This Inner Loop Header: Depth=2
	v_sub_u32_e32 v63, v62, v64
	v_lshrrev_b32_e32 v63, 1, v63
	v_add_u32_e32 v63, v63, v64
	v_not_b32_e32 v66, v63
	v_lshl_add_u32 v65, v63, 2, v57
	v_lshl_add_u32 v66, v66, 2, v34
	ds_read_b32 v65, v65
	ds_read_b32 v66, v66 offset:96
	v_add_u32_e32 v67, 1, v63
	s_waitcnt lgkmcnt(0)
	v_cmp_lt_i32_e64 s[12:13], v66, v65
	v_cndmask_b32_e64 v62, v62, v63, s[12:13]
	v_cndmask_b32_e64 v64, v67, v64, s[12:13]
	v_cmp_ge_i32_e64 s[12:13], v64, v62
	s_or_b64 s[16:17], s[12:13], s[16:17]
	s_andn2_b64 exec, exec, s[16:17]
	s_cbranch_execnz .LBB14_40
; %bb.41:                               ;   in Loop: Header=BB14_2 Depth=1
	s_or_b64 exec, exec, s[16:17]
.LBB14_42:                              ;   in Loop: Header=BB14_2 Depth=1
	s_or_b64 exec, exec, s[14:15]
	v_lshl_add_u32 v65, v64, 2, v57
	v_sub_u32_e32 v62, v35, v64
	v_lshlrev_b32_e32 v68, 2, v62
	ds_read_b32 v62, v65
	ds_read_b32 v63, v68 offset:96
	v_add_u32_e32 v66, v64, v31
	v_sub_u32_e32 v67, v36, v64
	v_cmp_le_i32_e64 s[14:15], v8, v66
	v_cmp_gt_i32_e64 s[12:13], v7, v67
	s_waitcnt lgkmcnt(0)
	v_cmp_lt_i32_e64 s[16:17], v63, v62
	s_or_b64 s[14:15], s[14:15], s[16:17]
	s_and_b64 s[12:13], s[12:13], s[14:15]
	s_xor_b64 s[14:15], s[12:13], -1
                                        ; implicit-def: $vgpr64
	s_and_saveexec_b64 s[16:17], s[14:15]
	s_xor_b64 s[14:15], exec, s[16:17]
; %bb.43:                               ;   in Loop: Header=BB14_2 Depth=1
	ds_read_b32 v64, v65 offset:4
                                        ; implicit-def: $vgpr68
; %bb.44:                               ;   in Loop: Header=BB14_2 Depth=1
	s_or_saveexec_b64 s[14:15], s[14:15]
	v_mov_b32_e32 v65, v63
	s_xor_b64 exec, exec, s[14:15]
	s_cbranch_execz .LBB14_46
; %bb.45:                               ;   in Loop: Header=BB14_2 Depth=1
	ds_read_b32 v65, v68 offset:100
	s_waitcnt lgkmcnt(1)
	v_mov_b32_e32 v64, v62
.LBB14_46:                              ;   in Loop: Header=BB14_2 Depth=1
	s_or_b64 exec, exec, s[14:15]
	v_add_u32_e32 v69, 1, v66
	v_add_u32_e32 v68, 1, v67
	v_cndmask_b32_e64 v66, v69, v66, s[12:13]
	v_cndmask_b32_e64 v67, v67, v68, s[12:13]
	v_cmp_ge_i32_e64 s[16:17], v66, v8
	s_waitcnt lgkmcnt(0)
	v_cmp_lt_i32_e64 s[18:19], v65, v64
	v_cmp_lt_i32_e64 s[14:15], v67, v7
	s_or_b64 s[16:17], s[16:17], s[18:19]
	s_and_b64 s[14:15], s[14:15], s[16:17]
	s_xor_b64 s[16:17], s[14:15], -1
                                        ; implicit-def: $vgpr68
	s_and_saveexec_b64 s[18:19], s[16:17]
	s_xor_b64 s[16:17], exec, s[18:19]
; %bb.47:                               ;   in Loop: Header=BB14_2 Depth=1
	v_lshlrev_b32_e32 v68, 2, v66
	ds_read_b32 v68, v68 offset:4
; %bb.48:                               ;   in Loop: Header=BB14_2 Depth=1
	s_or_saveexec_b64 s[16:17], s[16:17]
	v_mov_b32_e32 v69, v65
	s_xor_b64 exec, exec, s[16:17]
	s_cbranch_execz .LBB14_50
; %bb.49:                               ;   in Loop: Header=BB14_2 Depth=1
	s_waitcnt lgkmcnt(0)
	v_lshlrev_b32_e32 v68, 2, v67
	ds_read_b32 v69, v68 offset:4
	v_mov_b32_e32 v68, v64
.LBB14_50:                              ;   in Loop: Header=BB14_2 Depth=1
	s_or_b64 exec, exec, s[16:17]
	v_add_u32_e32 v70, 1, v66
	v_cndmask_b32_e64 v64, v64, v65, s[14:15]
	v_add_u32_e32 v65, 1, v67
	v_cndmask_b32_e64 v66, v70, v66, s[14:15]
	v_cndmask_b32_e64 v65, v67, v65, s[14:15]
	v_cmp_ge_i32_e64 s[14:15], v66, v8
	s_waitcnt lgkmcnt(0)
	v_cmp_lt_i32_e64 s[16:17], v69, v68
	v_cndmask_b32_e64 v62, v62, v63, s[12:13]
	v_cmp_lt_i32_e64 s[12:13], v65, v7
	s_or_b64 s[14:15], s[14:15], s[16:17]
	s_and_b64 s[12:13], s[12:13], s[14:15]
	v_cndmask_b32_e64 v63, v68, v69, s[12:13]
	s_barrier
	ds_write2_b32 v53, v62, v64 offset1:1
	ds_write_b32 v53, v63 offset:8
	v_mov_b32_e32 v64, v38
	s_waitcnt lgkmcnt(0)
	s_barrier
	s_and_saveexec_b64 s[14:15], s[6:7]
	s_cbranch_execz .LBB14_54
; %bb.51:                               ;   in Loop: Header=BB14_2 Depth=1
	s_mov_b64 s[16:17], 0
	v_mov_b32_e32 v64, v38
	v_mov_b32_e32 v62, v39
.LBB14_52:                              ;   Parent Loop BB14_2 Depth=1
                                        ; =>  This Inner Loop Header: Depth=2
	v_sub_u32_e32 v63, v62, v64
	v_lshrrev_b32_e32 v63, 1, v63
	v_add_u32_e32 v63, v63, v64
	v_not_b32_e32 v66, v63
	v_lshl_add_u32 v65, v63, 2, v58
	v_lshl_add_u32 v66, v66, 2, v40
	ds_read_b32 v65, v65
	ds_read_b32 v66, v66 offset:192
	v_add_u32_e32 v67, 1, v63
	s_waitcnt lgkmcnt(0)
	v_cmp_lt_i32_e64 s[12:13], v66, v65
	v_cndmask_b32_e64 v62, v62, v63, s[12:13]
	v_cndmask_b32_e64 v64, v67, v64, s[12:13]
	v_cmp_ge_i32_e64 s[12:13], v64, v62
	s_or_b64 s[16:17], s[12:13], s[16:17]
	s_andn2_b64 exec, exec, s[16:17]
	s_cbranch_execnz .LBB14_52
; %bb.53:                               ;   in Loop: Header=BB14_2 Depth=1
	s_or_b64 exec, exec, s[16:17]
.LBB14_54:                              ;   in Loop: Header=BB14_2 Depth=1
	s_or_b64 exec, exec, s[14:15]
	v_lshl_add_u32 v65, v64, 2, v58
	v_sub_u32_e32 v62, v41, v64
	v_lshlrev_b32_e32 v68, 2, v62
	ds_read_b32 v62, v65
	ds_read_b32 v63, v68 offset:192
	v_add_u32_e32 v66, v64, v37
	v_sub_u32_e32 v67, v42, v64
	v_cmp_le_i32_e64 s[14:15], v10, v66
	v_cmp_gt_i32_e64 s[12:13], v9, v67
	s_waitcnt lgkmcnt(0)
	v_cmp_lt_i32_e64 s[16:17], v63, v62
	s_or_b64 s[14:15], s[14:15], s[16:17]
	s_and_b64 s[12:13], s[12:13], s[14:15]
	s_xor_b64 s[14:15], s[12:13], -1
                                        ; implicit-def: $vgpr64
	s_and_saveexec_b64 s[16:17], s[14:15]
	s_xor_b64 s[14:15], exec, s[16:17]
; %bb.55:                               ;   in Loop: Header=BB14_2 Depth=1
	ds_read_b32 v64, v65 offset:4
                                        ; implicit-def: $vgpr68
; %bb.56:                               ;   in Loop: Header=BB14_2 Depth=1
	s_or_saveexec_b64 s[14:15], s[14:15]
	v_mov_b32_e32 v65, v63
	s_xor_b64 exec, exec, s[14:15]
	s_cbranch_execz .LBB14_58
; %bb.57:                               ;   in Loop: Header=BB14_2 Depth=1
	ds_read_b32 v65, v68 offset:196
	s_waitcnt lgkmcnt(1)
	v_mov_b32_e32 v64, v62
.LBB14_58:                              ;   in Loop: Header=BB14_2 Depth=1
	s_or_b64 exec, exec, s[14:15]
	v_add_u32_e32 v69, 1, v66
	v_add_u32_e32 v68, 1, v67
	v_cndmask_b32_e64 v66, v69, v66, s[12:13]
	v_cndmask_b32_e64 v67, v67, v68, s[12:13]
	v_cmp_ge_i32_e64 s[16:17], v66, v10
	s_waitcnt lgkmcnt(0)
	v_cmp_lt_i32_e64 s[18:19], v65, v64
	v_cmp_lt_i32_e64 s[14:15], v67, v9
	s_or_b64 s[16:17], s[16:17], s[18:19]
	s_and_b64 s[14:15], s[14:15], s[16:17]
	s_xor_b64 s[16:17], s[14:15], -1
                                        ; implicit-def: $vgpr68
	s_and_saveexec_b64 s[18:19], s[16:17]
	s_xor_b64 s[16:17], exec, s[18:19]
; %bb.59:                               ;   in Loop: Header=BB14_2 Depth=1
	v_lshlrev_b32_e32 v68, 2, v66
	ds_read_b32 v68, v68 offset:4
; %bb.60:                               ;   in Loop: Header=BB14_2 Depth=1
	s_or_saveexec_b64 s[16:17], s[16:17]
	v_mov_b32_e32 v69, v65
	s_xor_b64 exec, exec, s[16:17]
	s_cbranch_execz .LBB14_62
; %bb.61:                               ;   in Loop: Header=BB14_2 Depth=1
	s_waitcnt lgkmcnt(0)
	v_lshlrev_b32_e32 v68, 2, v67
	ds_read_b32 v69, v68 offset:4
	v_mov_b32_e32 v68, v64
.LBB14_62:                              ;   in Loop: Header=BB14_2 Depth=1
	s_or_b64 exec, exec, s[16:17]
	v_add_u32_e32 v70, 1, v66
	v_cndmask_b32_e64 v64, v64, v65, s[14:15]
	v_add_u32_e32 v65, 1, v67
	v_cndmask_b32_e64 v66, v70, v66, s[14:15]
	v_cndmask_b32_e64 v65, v67, v65, s[14:15]
	v_cmp_ge_i32_e64 s[14:15], v66, v10
	s_waitcnt lgkmcnt(0)
	v_cmp_lt_i32_e64 s[16:17], v69, v68
	v_cndmask_b32_e64 v62, v62, v63, s[12:13]
	v_cmp_lt_i32_e64 s[12:13], v65, v9
	s_or_b64 s[14:15], s[14:15], s[16:17]
	s_and_b64 s[12:13], s[12:13], s[14:15]
	v_cndmask_b32_e64 v63, v68, v69, s[12:13]
	s_barrier
	ds_write2_b32 v53, v62, v64 offset1:1
	ds_write_b32 v53, v63 offset:8
	v_mov_b32_e32 v64, v44
	s_waitcnt lgkmcnt(0)
	s_barrier
	s_and_saveexec_b64 s[14:15], s[8:9]
	s_cbranch_execz .LBB14_66
; %bb.63:                               ;   in Loop: Header=BB14_2 Depth=1
	s_mov_b64 s[16:17], 0
	v_mov_b32_e32 v64, v44
	v_mov_b32_e32 v62, v45
.LBB14_64:                              ;   Parent Loop BB14_2 Depth=1
                                        ; =>  This Inner Loop Header: Depth=2
	v_sub_u32_e32 v63, v62, v64
	v_lshrrev_b32_e32 v63, 1, v63
	v_add_u32_e32 v63, v63, v64
	v_not_b32_e32 v66, v63
	v_lshl_add_u32 v65, v63, 2, v59
	v_lshl_add_u32 v66, v66, 2, v46
	ds_read_b32 v65, v65
	ds_read_b32 v66, v66 offset:384
	v_add_u32_e32 v67, 1, v63
	s_waitcnt lgkmcnt(0)
	v_cmp_lt_i32_e64 s[12:13], v66, v65
	v_cndmask_b32_e64 v62, v62, v63, s[12:13]
	v_cndmask_b32_e64 v64, v67, v64, s[12:13]
	v_cmp_ge_i32_e64 s[12:13], v64, v62
	s_or_b64 s[16:17], s[12:13], s[16:17]
	s_andn2_b64 exec, exec, s[16:17]
	s_cbranch_execnz .LBB14_64
; %bb.65:                               ;   in Loop: Header=BB14_2 Depth=1
	s_or_b64 exec, exec, s[16:17]
.LBB14_66:                              ;   in Loop: Header=BB14_2 Depth=1
	s_or_b64 exec, exec, s[14:15]
	v_lshl_add_u32 v65, v64, 2, v59
	v_sub_u32_e32 v62, v47, v64
	v_lshlrev_b32_e32 v68, 2, v62
	ds_read_b32 v62, v65
	ds_read_b32 v63, v68 offset:384
	v_add_u32_e32 v66, v64, v43
	v_sub_u32_e32 v67, v48, v64
	v_cmp_le_i32_e64 s[14:15], v12, v66
	v_cmp_gt_i32_e64 s[12:13], v11, v67
	s_waitcnt lgkmcnt(0)
	v_cmp_lt_i32_e64 s[16:17], v63, v62
	s_or_b64 s[14:15], s[14:15], s[16:17]
	s_and_b64 s[12:13], s[12:13], s[14:15]
	s_xor_b64 s[14:15], s[12:13], -1
                                        ; implicit-def: $vgpr64
	s_and_saveexec_b64 s[16:17], s[14:15]
	s_xor_b64 s[14:15], exec, s[16:17]
; %bb.67:                               ;   in Loop: Header=BB14_2 Depth=1
	ds_read_b32 v64, v65 offset:4
                                        ; implicit-def: $vgpr68
; %bb.68:                               ;   in Loop: Header=BB14_2 Depth=1
	s_or_saveexec_b64 s[14:15], s[14:15]
	v_mov_b32_e32 v65, v63
	s_xor_b64 exec, exec, s[14:15]
	s_cbranch_execz .LBB14_70
; %bb.69:                               ;   in Loop: Header=BB14_2 Depth=1
	ds_read_b32 v65, v68 offset:388
	s_waitcnt lgkmcnt(1)
	v_mov_b32_e32 v64, v62
.LBB14_70:                              ;   in Loop: Header=BB14_2 Depth=1
	s_or_b64 exec, exec, s[14:15]
	v_add_u32_e32 v69, 1, v66
	v_add_u32_e32 v68, 1, v67
	v_cndmask_b32_e64 v66, v69, v66, s[12:13]
	v_cndmask_b32_e64 v67, v67, v68, s[12:13]
	v_cmp_ge_i32_e64 s[16:17], v66, v12
	s_waitcnt lgkmcnt(0)
	v_cmp_lt_i32_e64 s[18:19], v65, v64
	v_cmp_lt_i32_e64 s[14:15], v67, v11
	s_or_b64 s[16:17], s[16:17], s[18:19]
	s_and_b64 s[14:15], s[14:15], s[16:17]
	s_xor_b64 s[16:17], s[14:15], -1
                                        ; implicit-def: $vgpr68
	s_and_saveexec_b64 s[18:19], s[16:17]
	s_xor_b64 s[16:17], exec, s[18:19]
; %bb.71:                               ;   in Loop: Header=BB14_2 Depth=1
	v_lshlrev_b32_e32 v68, 2, v66
	ds_read_b32 v68, v68 offset:4
; %bb.72:                               ;   in Loop: Header=BB14_2 Depth=1
	s_or_saveexec_b64 s[16:17], s[16:17]
	v_mov_b32_e32 v69, v65
	s_xor_b64 exec, exec, s[16:17]
	s_cbranch_execz .LBB14_74
; %bb.73:                               ;   in Loop: Header=BB14_2 Depth=1
	s_waitcnt lgkmcnt(0)
	v_lshlrev_b32_e32 v68, 2, v67
	ds_read_b32 v69, v68 offset:4
	v_mov_b32_e32 v68, v64
.LBB14_74:                              ;   in Loop: Header=BB14_2 Depth=1
	s_or_b64 exec, exec, s[16:17]
	v_add_u32_e32 v70, 1, v66
	v_cndmask_b32_e64 v64, v64, v65, s[14:15]
	v_add_u32_e32 v65, 1, v67
	v_cndmask_b32_e64 v66, v70, v66, s[14:15]
	v_cndmask_b32_e64 v65, v67, v65, s[14:15]
	v_cmp_ge_i32_e64 s[14:15], v66, v12
	s_waitcnt lgkmcnt(0)
	v_cmp_lt_i32_e64 s[16:17], v69, v68
	v_cndmask_b32_e64 v62, v62, v63, s[12:13]
	v_cmp_lt_i32_e64 s[12:13], v65, v11
	s_or_b64 s[14:15], s[14:15], s[16:17]
	s_and_b64 s[12:13], s[12:13], s[14:15]
	v_cndmask_b32_e64 v63, v68, v69, s[12:13]
	s_barrier
	ds_write2_b32 v53, v62, v64 offset1:1
	ds_write_b32 v53, v63 offset:8
	v_mov_b32_e32 v64, v51
	s_waitcnt lgkmcnt(0)
	s_barrier
	s_and_saveexec_b64 s[14:15], s[10:11]
	s_cbranch_execz .LBB14_78
; %bb.75:                               ;   in Loop: Header=BB14_2 Depth=1
	s_mov_b64 s[16:17], 0
	v_mov_b32_e32 v64, v51
	v_mov_b32_e32 v62, v52
.LBB14_76:                              ;   Parent Loop BB14_2 Depth=1
                                        ; =>  This Inner Loop Header: Depth=2
	v_sub_u32_e32 v63, v62, v64
	v_lshrrev_b32_e32 v63, 1, v63
	v_add_u32_e32 v63, v63, v64
	v_not_b32_e32 v66, v63
	v_lshlrev_b32_e32 v65, 2, v63
	v_lshl_add_u32 v66, v66, 2, v61
	ds_read_b32 v65, v65
	ds_read_b32 v66, v66 offset:768
	v_add_u32_e32 v67, 1, v63
	s_waitcnt lgkmcnt(0)
	v_cmp_lt_i32_e64 s[12:13], v66, v65
	v_cndmask_b32_e64 v62, v62, v63, s[12:13]
	v_cndmask_b32_e64 v64, v67, v64, s[12:13]
	v_cmp_ge_i32_e64 s[12:13], v64, v62
	s_or_b64 s[16:17], s[12:13], s[16:17]
	s_andn2_b64 exec, exec, s[16:17]
	s_cbranch_execnz .LBB14_76
; %bb.77:                               ;   in Loop: Header=BB14_2 Depth=1
	s_or_b64 exec, exec, s[16:17]
.LBB14_78:                              ;   in Loop: Header=BB14_2 Depth=1
	s_or_b64 exec, exec, s[14:15]
	v_lshlrev_b32_e32 v66, 2, v64
	v_sub_u32_e32 v62, v50, v64
	v_lshlrev_b32_e32 v68, 2, v62
	ds_read_b32 v62, v66
	ds_read_b32 v63, v68 offset:768
	v_sub_u32_e32 v67, v60, v64
	v_cmp_le_i32_e64 s[14:15], v49, v64
	v_cmp_gt_i32_e64 s[12:13], s20, v67
                                        ; implicit-def: $vgpr65
	s_waitcnt lgkmcnt(0)
	v_cmp_lt_i32_e64 s[16:17], v63, v62
	s_or_b64 s[14:15], s[14:15], s[16:17]
	s_and_b64 s[12:13], s[12:13], s[14:15]
	s_xor_b64 s[14:15], s[12:13], -1
	s_and_saveexec_b64 s[16:17], s[14:15]
	s_xor_b64 s[14:15], exec, s[16:17]
; %bb.79:                               ;   in Loop: Header=BB14_2 Depth=1
	ds_read_b32 v65, v66 offset:4
                                        ; implicit-def: $vgpr68
; %bb.80:                               ;   in Loop: Header=BB14_2 Depth=1
	s_or_saveexec_b64 s[14:15], s[14:15]
	v_mov_b32_e32 v66, v63
	s_xor_b64 exec, exec, s[14:15]
	s_cbranch_execz .LBB14_82
; %bb.81:                               ;   in Loop: Header=BB14_2 Depth=1
	ds_read_b32 v66, v68 offset:772
	s_waitcnt lgkmcnt(1)
	v_mov_b32_e32 v65, v62
.LBB14_82:                              ;   in Loop: Header=BB14_2 Depth=1
	s_or_b64 exec, exec, s[14:15]
	v_add_u32_e32 v68, 1, v67
	v_add_u32_e32 v69, 1, v64
	v_cndmask_b32_e64 v67, v67, v68, s[12:13]
	v_cndmask_b32_e64 v68, v69, v64, s[12:13]
	v_cmp_ge_i32_e64 s[16:17], v68, v49
	s_waitcnt lgkmcnt(0)
	v_cmp_lt_i32_e64 s[18:19], v66, v65
	v_cmp_gt_i32_e64 s[14:15], s20, v67
	s_or_b64 s[16:17], s[16:17], s[18:19]
	s_and_b64 s[14:15], s[14:15], s[16:17]
	s_xor_b64 s[16:17], s[14:15], -1
                                        ; implicit-def: $vgpr64
                                        ; implicit-def: $vgpr69
	s_and_saveexec_b64 s[18:19], s[16:17]
	s_xor_b64 s[16:17], exec, s[18:19]
; %bb.83:                               ;   in Loop: Header=BB14_2 Depth=1
	v_lshlrev_b32_e32 v64, 2, v68
	ds_read_b32 v64, v64 offset:4
	v_add_u32_e32 v69, 1, v68
                                        ; implicit-def: $vgpr68
; %bb.84:                               ;   in Loop: Header=BB14_2 Depth=1
	s_or_saveexec_b64 s[16:17], s[16:17]
	v_mov_b32_e32 v70, v66
	s_xor_b64 exec, exec, s[16:17]
	s_cbranch_execz .LBB14_1
; %bb.85:                               ;   in Loop: Header=BB14_2 Depth=1
	s_waitcnt lgkmcnt(0)
	v_lshlrev_b32_e32 v64, 2, v67
	ds_read_b32 v70, v64 offset:4
	v_add_u32_e32 v67, 1, v67
	v_mov_b32_e32 v69, v68
	v_mov_b32_e32 v64, v65
	s_branch .LBB14_1
.LBB14_86:
	s_add_u32 s0, s22, s24
	s_addc_u32 s1, s23, s25
	v_lshlrev_b32_e32 v0, 2, v0
	global_store_dword v0, v62, s[0:1]
	global_store_dword v0, v63, s[0:1] offset:512
	global_store_dword v0, v64, s[0:1] offset:1024
	s_endpgm
	.section	.rodata,"a",@progbits
	.p2align	6, 0x0
	.amdhsa_kernel _Z16sort_keys_kernelIiLj128ELj3EN10test_utils4lessELj10EEvPKT_PS2_T2_
		.amdhsa_group_segment_fixed_size 1540
		.amdhsa_private_segment_fixed_size 0
		.amdhsa_kernarg_size 20
		.amdhsa_user_sgpr_count 6
		.amdhsa_user_sgpr_private_segment_buffer 1
		.amdhsa_user_sgpr_dispatch_ptr 0
		.amdhsa_user_sgpr_queue_ptr 0
		.amdhsa_user_sgpr_kernarg_segment_ptr 1
		.amdhsa_user_sgpr_dispatch_id 0
		.amdhsa_user_sgpr_flat_scratch_init 0
		.amdhsa_user_sgpr_private_segment_size 0
		.amdhsa_uses_dynamic_stack 0
		.amdhsa_system_sgpr_private_segment_wavefront_offset 0
		.amdhsa_system_sgpr_workgroup_id_x 1
		.amdhsa_system_sgpr_workgroup_id_y 0
		.amdhsa_system_sgpr_workgroup_id_z 0
		.amdhsa_system_sgpr_workgroup_info 0
		.amdhsa_system_vgpr_workitem_id 0
		.amdhsa_next_free_vgpr 71
		.amdhsa_next_free_sgpr 28
		.amdhsa_reserve_vcc 1
		.amdhsa_reserve_flat_scratch 0
		.amdhsa_float_round_mode_32 0
		.amdhsa_float_round_mode_16_64 0
		.amdhsa_float_denorm_mode_32 3
		.amdhsa_float_denorm_mode_16_64 3
		.amdhsa_dx10_clamp 1
		.amdhsa_ieee_mode 1
		.amdhsa_fp16_overflow 0
		.amdhsa_exception_fp_ieee_invalid_op 0
		.amdhsa_exception_fp_denorm_src 0
		.amdhsa_exception_fp_ieee_div_zero 0
		.amdhsa_exception_fp_ieee_overflow 0
		.amdhsa_exception_fp_ieee_underflow 0
		.amdhsa_exception_fp_ieee_inexact 0
		.amdhsa_exception_int_div_zero 0
	.end_amdhsa_kernel
	.section	.text._Z16sort_keys_kernelIiLj128ELj3EN10test_utils4lessELj10EEvPKT_PS2_T2_,"axG",@progbits,_Z16sort_keys_kernelIiLj128ELj3EN10test_utils4lessELj10EEvPKT_PS2_T2_,comdat
.Lfunc_end14:
	.size	_Z16sort_keys_kernelIiLj128ELj3EN10test_utils4lessELj10EEvPKT_PS2_T2_, .Lfunc_end14-_Z16sort_keys_kernelIiLj128ELj3EN10test_utils4lessELj10EEvPKT_PS2_T2_
                                        ; -- End function
	.set _Z16sort_keys_kernelIiLj128ELj3EN10test_utils4lessELj10EEvPKT_PS2_T2_.num_vgpr, 71
	.set _Z16sort_keys_kernelIiLj128ELj3EN10test_utils4lessELj10EEvPKT_PS2_T2_.num_agpr, 0
	.set _Z16sort_keys_kernelIiLj128ELj3EN10test_utils4lessELj10EEvPKT_PS2_T2_.numbered_sgpr, 28
	.set _Z16sort_keys_kernelIiLj128ELj3EN10test_utils4lessELj10EEvPKT_PS2_T2_.num_named_barrier, 0
	.set _Z16sort_keys_kernelIiLj128ELj3EN10test_utils4lessELj10EEvPKT_PS2_T2_.private_seg_size, 0
	.set _Z16sort_keys_kernelIiLj128ELj3EN10test_utils4lessELj10EEvPKT_PS2_T2_.uses_vcc, 1
	.set _Z16sort_keys_kernelIiLj128ELj3EN10test_utils4lessELj10EEvPKT_PS2_T2_.uses_flat_scratch, 0
	.set _Z16sort_keys_kernelIiLj128ELj3EN10test_utils4lessELj10EEvPKT_PS2_T2_.has_dyn_sized_stack, 0
	.set _Z16sort_keys_kernelIiLj128ELj3EN10test_utils4lessELj10EEvPKT_PS2_T2_.has_recursion, 0
	.set _Z16sort_keys_kernelIiLj128ELj3EN10test_utils4lessELj10EEvPKT_PS2_T2_.has_indirect_call, 0
	.section	.AMDGPU.csdata,"",@progbits
; Kernel info:
; codeLenInByte = 4488
; TotalNumSgprs: 32
; NumVgprs: 71
; ScratchSize: 0
; MemoryBound: 0
; FloatMode: 240
; IeeeMode: 1
; LDSByteSize: 1540 bytes/workgroup (compile time only)
; SGPRBlocks: 3
; VGPRBlocks: 17
; NumSGPRsForWavesPerEU: 32
; NumVGPRsForWavesPerEU: 71
; Occupancy: 3
; WaveLimiterHint : 1
; COMPUTE_PGM_RSRC2:SCRATCH_EN: 0
; COMPUTE_PGM_RSRC2:USER_SGPR: 6
; COMPUTE_PGM_RSRC2:TRAP_HANDLER: 0
; COMPUTE_PGM_RSRC2:TGID_X_EN: 1
; COMPUTE_PGM_RSRC2:TGID_Y_EN: 0
; COMPUTE_PGM_RSRC2:TGID_Z_EN: 0
; COMPUTE_PGM_RSRC2:TIDIG_COMP_CNT: 0
	.section	.text._Z17sort_pairs_kernelIiLj128ELj3EN10test_utils4lessELj10EEvPKT_PS2_T2_,"axG",@progbits,_Z17sort_pairs_kernelIiLj128ELj3EN10test_utils4lessELj10EEvPKT_PS2_T2_,comdat
	.protected	_Z17sort_pairs_kernelIiLj128ELj3EN10test_utils4lessELj10EEvPKT_PS2_T2_ ; -- Begin function _Z17sort_pairs_kernelIiLj128ELj3EN10test_utils4lessELj10EEvPKT_PS2_T2_
	.globl	_Z17sort_pairs_kernelIiLj128ELj3EN10test_utils4lessELj10EEvPKT_PS2_T2_
	.p2align	8
	.type	_Z17sort_pairs_kernelIiLj128ELj3EN10test_utils4lessELj10EEvPKT_PS2_T2_,@function
_Z17sort_pairs_kernelIiLj128ELj3EN10test_utils4lessELj10EEvPKT_PS2_T2_: ; @_Z17sort_pairs_kernelIiLj128ELj3EN10test_utils4lessELj10EEvPKT_PS2_T2_
; %bb.0:
	s_load_dwordx4 s[24:27], s[4:5], 0x0
	s_mul_i32 s30, s6, 0x180
	s_mov_b32 s31, 0
	s_lshl_b64 s[28:29], s[30:31], 2
	v_lshlrev_b32_e32 v10, 2, v0
	s_waitcnt lgkmcnt(0)
	s_add_u32 s0, s24, s28
	s_addc_u32 s1, s25, s29
	global_load_dword v66, v10, s[0:1]
	global_load_dword v67, v10, s[0:1] offset:512
	global_load_dword v65, v10, s[0:1] offset:1024
	v_and_b32_e32 v1, 0x7e, v0
	v_and_b32_e32 v3, 0x7c, v0
	;; [unrolled: 1-line block ×6, first 2 shown]
	v_mul_u32_u24_e32 v13, 3, v1
	v_mul_u32_u24_e32 v19, 3, v3
	;; [unrolled: 1-line block ×6, first 2 shown]
	v_and_b32_e32 v1, 1, v0
	v_min_u32_e32 v17, 0x17d, v13
	v_min_u32_e32 v2, 0x17a, v13
	v_min_u32_e32 v23, 0x17a, v19
	v_min_u32_e32 v4, 0x174, v19
	v_min_u32_e32 v29, 0x174, v25
	v_min_u32_e32 v6, 0x168, v25
	v_min_u32_e32 v7, 0x150, v31
	v_min_u32_e32 v35, 0x168, v31
	v_min_u32_e32 v9, 0x120, v37
	v_min_u32_e32 v41, 0x150, v37
	v_min_u32_e32 v11, 0xc0, v43
	v_min_u32_e32 v47, 0x120, v43
	v_cmp_eq_u32_e32 vcc, 1, v1
	v_add_u32_e32 v1, 3, v17
	v_add_u32_e32 v2, 6, v2
	v_and_b32_e32 v24, 3, v0
	v_add_u32_e32 v3, 6, v23
	v_add_u32_e32 v4, 12, v4
	v_and_b32_e32 v30, 7, v0
	v_add_u32_e32 v5, 12, v29
	v_add_u32_e32 v6, 24, v6
	;; [unrolled: 1-line block ×3, first 2 shown]
	v_and_b32_e32 v36, 15, v0
	v_add_u32_e32 v8, 24, v35
	v_add_u32_e32 v9, 0x60, v9
	v_and_b32_e32 v42, 31, v0
	v_add_u32_e32 v10, 48, v41
	v_add_u32_e32 v11, 0xc0, v11
	v_and_b32_e32 v48, 63, v0
	v_add_u32_e32 v12, 0x60, v47
	v_cndmask_b32_e64 v18, 0, 3, vcc
	v_sub_u32_e32 v14, v2, v1
	v_mul_u32_u24_e32 v22, 3, v24
	v_sub_u32_e32 v20, v4, v3
	v_mul_u32_u24_e32 v28, 3, v30
	;; [unrolled: 2-line block ×5, first 2 shown]
	v_sub_u32_e32 v44, v11, v12
	v_sub_u32_e32 v15, v18, v14
	;; [unrolled: 1-line block ×7, first 2 shown]
	v_min_u32_e32 v13, 0x180, v13
	v_cmp_ge_i32_e32 vcc, v18, v14
	v_min_u32_e32 v19, 0x180, v19
	v_cmp_ge_i32_e64 s[0:1], v22, v20
	v_min_u32_e32 v25, 0x180, v25
	v_cmp_ge_i32_e64 s[2:3], v28, v26
	;; [unrolled: 2-line block ×5, first 2 shown]
	v_cndmask_b32_e32 v14, 0, v15, vcc
	v_sub_u32_e32 v15, v1, v13
	v_cndmask_b32_e64 v20, 0, v21, s[0:1]
	v_sub_u32_e32 v21, v3, v19
	v_cndmask_b32_e64 v26, 0, v27, s[2:3]
	;; [unrolled: 2-line block ×5, first 2 shown]
	v_sub_u32_e32 v45, v12, v43
	v_mov_b32_e32 v49, 0xc0
	v_mul_u32_u24_e32 v50, 3, v0
	v_min_i32_e32 v15, v18, v15
	v_lshlrev_b32_e32 v16, 2, v18
	v_min_i32_e32 v21, v22, v21
	v_lshlrev_b32_e32 v22, 2, v22
	;; [unrolled: 2-line block ×6, first 2 shown]
	v_sub_u32_e64 v51, v50, v49 clamp
	v_min_i32_e32 v52, 0xc0, v50
	s_movk_i32 s30, 0x180
	v_cmp_lt_i32_e32 vcc, v14, v15
	v_lshl_add_u32 v16, v17, 2, v16
	v_add_u32_e32 v17, v17, v18
	v_add_u32_e32 v18, v1, v18
	v_cmp_lt_i32_e64 s[0:1], v20, v21
	v_lshl_add_u32 v22, v23, 2, v22
	v_mad_u32_u24 v23, v24, 3, v23
	v_mad_u32_u24 v24, v24, 3, v3
	v_cmp_lt_i32_e64 s[2:3], v26, v27
	v_lshl_add_u32 v28, v29, 2, v28
	v_mad_u32_u24 v29, v30, 3, v29
	v_mad_u32_u24 v30, v30, 3, v5
	;; [unrolled: 4-line block ×5, first 2 shown]
	v_cmp_lt_i32_e64 s[10:11], v51, v52
	s_waitcnt vmcnt(2)
	v_add_u32_e32 v62, 1, v66
	s_waitcnt vmcnt(1)
	v_add_u32_e32 v64, 1, v67
	;; [unrolled: 2-line block ×3, first 2 shown]
	v_mul_u32_u24_e32 v53, 12, v0
	v_lshlrev_b32_e32 v54, 2, v13
	v_lshlrev_b32_e32 v55, 2, v19
	;; [unrolled: 1-line block ×6, first 2 shown]
	v_mad_u32_u24 v60, v0, 3, v49
	v_lshlrev_b32_e32 v61, 2, v50
	s_branch .LBB15_2
.LBB15_1:                               ;   in Loop: Header=BB15_2 Depth=1
	s_or_b64 exec, exec, s[16:17]
	v_cmp_ge_i32_e64 s[18:19], v72, v49
	s_waitcnt lgkmcnt(0)
	v_cmp_lt_i32_e64 s[20:21], v76, v73
	v_cmp_gt_i32_e64 s[16:17], s30, v71
	s_or_b64 s[18:19], s[18:19], s[20:21]
	v_cndmask_b32_e64 v69, v65, v69, s[12:13]
	s_and_b64 s[16:17], s[16:17], s[18:19]
	v_cndmask_b32_e64 v71, v72, v71, s[16:17]
	s_barrier
	ds_write2_b32 v53, v62, v63 offset1:1
	ds_write_b32 v53, v64 offset:8
	v_lshlrev_b32_e32 v62, 2, v69
	v_lshlrev_b32_e32 v63, 2, v74
	s_waitcnt lgkmcnt(0)
	s_barrier
	v_lshlrev_b32_e32 v69, 2, v71
	ds_read_b32 v62, v62
	ds_read_b32 v64, v63
	;; [unrolled: 1-line block ×3, first 2 shown]
	s_add_i32 s31, s31, 1
	v_cndmask_b32_e64 v65, v73, v76, s[16:17]
	v_cndmask_b32_e64 v66, v66, v67, s[12:13]
	s_cmp_eq_u32 s31, 10
	v_cndmask_b32_e64 v67, v68, v70, s[14:15]
	s_cbranch_scc1 .LBB15_86
.LBB15_2:                               ; =>This Loop Header: Depth=1
                                        ;     Child Loop BB15_4 Depth 2
                                        ;     Child Loop BB15_16 Depth 2
	;; [unrolled: 1-line block ×7, first 2 shown]
	v_cmp_lt_i32_e64 s[12:13], v67, v66
	v_cndmask_b32_e64 v68, v66, v67, s[12:13]
	v_cndmask_b32_e64 v69, v67, v66, s[12:13]
	v_max_i32_e32 v66, v67, v66
	v_cmp_lt_i32_e64 s[14:15], v65, v66
	v_cndmask_b32_e64 v67, v65, v66, s[14:15]
	v_cndmask_b32_e64 v69, v69, v65, s[14:15]
	v_min_i32_e32 v65, v65, v66
	v_cmp_lt_i32_e64 s[16:17], v65, v68
	v_cndmask_b32_e64 v66, v69, v68, s[16:17]
	v_cndmask_b32_e64 v65, v68, v65, s[16:17]
	v_mov_b32_e32 v68, v14
	s_waitcnt lgkmcnt(0)
	s_barrier
	ds_write2_b32 v53, v65, v66 offset1:1
	ds_write_b32 v53, v67 offset:8
	s_waitcnt lgkmcnt(0)
	s_barrier
	s_and_saveexec_b64 s[20:21], vcc
	s_cbranch_execz .LBB15_6
; %bb.3:                                ;   in Loop: Header=BB15_2 Depth=1
	s_mov_b64 s[22:23], 0
	v_mov_b32_e32 v68, v14
	v_mov_b32_e32 v65, v15
.LBB15_4:                               ;   Parent Loop BB15_2 Depth=1
                                        ; =>  This Inner Loop Header: Depth=2
	v_sub_u32_e32 v66, v65, v68
	v_lshrrev_b32_e32 v66, 1, v66
	v_add_u32_e32 v66, v66, v68
	v_not_b32_e32 v69, v66
	v_lshl_add_u32 v67, v66, 2, v54
	v_lshl_add_u32 v69, v69, 2, v16
	ds_read_b32 v67, v67
	ds_read_b32 v69, v69 offset:12
	v_add_u32_e32 v70, 1, v66
	s_waitcnt lgkmcnt(0)
	v_cmp_lt_i32_e64 s[18:19], v69, v67
	v_cndmask_b32_e64 v65, v65, v66, s[18:19]
	v_cndmask_b32_e64 v68, v70, v68, s[18:19]
	v_cmp_ge_i32_e64 s[18:19], v68, v65
	s_or_b64 s[22:23], s[18:19], s[22:23]
	s_andn2_b64 exec, exec, s[22:23]
	s_cbranch_execnz .LBB15_4
; %bb.5:                                ;   in Loop: Header=BB15_2 Depth=1
	s_or_b64 exec, exec, s[22:23]
.LBB15_6:                               ;   in Loop: Header=BB15_2 Depth=1
	s_or_b64 exec, exec, s[20:21]
	v_lshl_add_u32 v70, v68, 2, v54
	v_sub_u32_e32 v65, v17, v68
	v_lshlrev_b32_e32 v71, 2, v65
	ds_read_b32 v65, v70
	ds_read_b32 v67, v71 offset:12
	v_add_u32_e32 v66, v68, v13
	v_sub_u32_e32 v68, v18, v68
	v_cmp_le_i32_e64 s[20:21], v1, v66
	v_cmp_gt_i32_e64 s[18:19], v2, v68
	s_waitcnt lgkmcnt(0)
	v_cmp_lt_i32_e64 s[22:23], v67, v65
	s_or_b64 s[20:21], s[20:21], s[22:23]
	s_and_b64 s[18:19], s[18:19], s[20:21]
	s_xor_b64 s[20:21], s[18:19], -1
                                        ; implicit-def: $vgpr69
	s_and_saveexec_b64 s[22:23], s[20:21]
	s_xor_b64 s[20:21], exec, s[22:23]
; %bb.7:                                ;   in Loop: Header=BB15_2 Depth=1
	ds_read_b32 v69, v70 offset:4
                                        ; implicit-def: $vgpr71
; %bb.8:                                ;   in Loop: Header=BB15_2 Depth=1
	s_or_saveexec_b64 s[20:21], s[20:21]
	v_mov_b32_e32 v70, v67
	s_xor_b64 exec, exec, s[20:21]
	s_cbranch_execz .LBB15_10
; %bb.9:                                ;   in Loop: Header=BB15_2 Depth=1
	ds_read_b32 v70, v71 offset:16
	s_waitcnt lgkmcnt(1)
	v_mov_b32_e32 v69, v65
.LBB15_10:                              ;   in Loop: Header=BB15_2 Depth=1
	s_or_b64 exec, exec, s[20:21]
	v_add_u32_e32 v73, 1, v66
	v_add_u32_e32 v71, 1, v68
	v_cndmask_b32_e64 v73, v73, v66, s[18:19]
	v_cndmask_b32_e64 v72, v68, v71, s[18:19]
	v_cmp_ge_i32_e64 s[22:23], v73, v1
	s_waitcnt lgkmcnt(0)
	v_cmp_lt_i32_e64 s[24:25], v70, v69
	v_cmp_lt_i32_e64 s[20:21], v72, v2
	s_or_b64 s[22:23], s[22:23], s[24:25]
	s_and_b64 s[20:21], s[20:21], s[22:23]
	s_xor_b64 s[22:23], s[20:21], -1
                                        ; implicit-def: $vgpr71
	s_and_saveexec_b64 s[24:25], s[22:23]
	s_xor_b64 s[22:23], exec, s[24:25]
; %bb.11:                               ;   in Loop: Header=BB15_2 Depth=1
	v_lshlrev_b32_e32 v71, 2, v73
	ds_read_b32 v71, v71 offset:4
; %bb.12:                               ;   in Loop: Header=BB15_2 Depth=1
	s_or_saveexec_b64 s[22:23], s[22:23]
	v_mov_b32_e32 v74, v70
	s_xor_b64 exec, exec, s[22:23]
	s_cbranch_execz .LBB15_14
; %bb.13:                               ;   in Loop: Header=BB15_2 Depth=1
	s_waitcnt lgkmcnt(0)
	v_lshlrev_b32_e32 v71, 2, v72
	ds_read_b32 v74, v71 offset:4
	v_mov_b32_e32 v71, v69
.LBB15_14:                              ;   in Loop: Header=BB15_2 Depth=1
	s_or_b64 exec, exec, s[22:23]
	v_add_u32_e32 v75, 1, v73
	v_cndmask_b32_e64 v65, v65, v67, s[18:19]
	v_cndmask_b32_e64 v67, v62, v64, s[12:13]
	;; [unrolled: 1-line block ×4, first 2 shown]
	v_add_u32_e32 v70, 1, v72
	v_cndmask_b32_e64 v75, v75, v73, s[20:21]
	v_cndmask_b32_e64 v64, v63, v62, s[14:15]
	v_cndmask_b32_e64 v62, v62, v63, s[14:15]
	v_cndmask_b32_e64 v70, v72, v70, s[20:21]
	v_cndmask_b32_e64 v63, v62, v67, s[16:17]
	v_cndmask_b32_e64 v62, v67, v62, s[16:17]
	v_cmp_ge_i32_e64 s[14:15], v75, v1
	s_waitcnt lgkmcnt(0)
	v_cmp_lt_i32_e64 s[16:17], v74, v71
	v_cmp_lt_i32_e64 s[12:13], v70, v2
	s_or_b64 s[14:15], s[14:15], s[16:17]
	s_and_b64 s[12:13], s[12:13], s[14:15]
	v_cndmask_b32_e64 v72, v73, v72, s[20:21]
	v_cndmask_b32_e64 v66, v66, v68, s[18:19]
	;; [unrolled: 1-line block ×3, first 2 shown]
	s_barrier
	ds_write2_b32 v53, v62, v63 offset1:1
	ds_write_b32 v53, v64 offset:8
	v_lshlrev_b32_e32 v62, 2, v66
	v_lshlrev_b32_e32 v63, 2, v72
	;; [unrolled: 1-line block ×3, first 2 shown]
	s_waitcnt lgkmcnt(0)
	s_barrier
	ds_read_b32 v62, v62
	ds_read_b32 v63, v63
	;; [unrolled: 1-line block ×3, first 2 shown]
	v_mov_b32_e32 v68, v20
	v_cndmask_b32_e64 v67, v71, v74, s[12:13]
	s_waitcnt lgkmcnt(0)
	s_barrier
	ds_write2_b32 v53, v65, v69 offset1:1
	ds_write_b32 v53, v67 offset:8
	s_waitcnt lgkmcnt(0)
	s_barrier
	s_and_saveexec_b64 s[14:15], s[0:1]
	s_cbranch_execz .LBB15_18
; %bb.15:                               ;   in Loop: Header=BB15_2 Depth=1
	s_mov_b64 s[16:17], 0
	v_mov_b32_e32 v68, v20
	v_mov_b32_e32 v65, v21
.LBB15_16:                              ;   Parent Loop BB15_2 Depth=1
                                        ; =>  This Inner Loop Header: Depth=2
	v_sub_u32_e32 v66, v65, v68
	v_lshrrev_b32_e32 v66, 1, v66
	v_add_u32_e32 v66, v66, v68
	v_not_b32_e32 v69, v66
	v_lshl_add_u32 v67, v66, 2, v55
	v_lshl_add_u32 v69, v69, 2, v22
	ds_read_b32 v67, v67
	ds_read_b32 v69, v69 offset:24
	v_add_u32_e32 v70, 1, v66
	s_waitcnt lgkmcnt(0)
	v_cmp_lt_i32_e64 s[12:13], v69, v67
	v_cndmask_b32_e64 v65, v65, v66, s[12:13]
	v_cndmask_b32_e64 v68, v70, v68, s[12:13]
	v_cmp_ge_i32_e64 s[12:13], v68, v65
	s_or_b64 s[16:17], s[12:13], s[16:17]
	s_andn2_b64 exec, exec, s[16:17]
	s_cbranch_execnz .LBB15_16
; %bb.17:                               ;   in Loop: Header=BB15_2 Depth=1
	s_or_b64 exec, exec, s[16:17]
.LBB15_18:                              ;   in Loop: Header=BB15_2 Depth=1
	s_or_b64 exec, exec, s[14:15]
	v_lshl_add_u32 v70, v68, 2, v55
	v_sub_u32_e32 v65, v23, v68
	v_lshlrev_b32_e32 v71, 2, v65
	ds_read_b32 v65, v70
	ds_read_b32 v67, v71 offset:24
	v_add_u32_e32 v66, v68, v19
	v_sub_u32_e32 v68, v24, v68
	v_cmp_le_i32_e64 s[14:15], v3, v66
	v_cmp_gt_i32_e64 s[12:13], v4, v68
	s_waitcnt lgkmcnt(0)
	v_cmp_lt_i32_e64 s[16:17], v67, v65
	s_or_b64 s[14:15], s[14:15], s[16:17]
	s_and_b64 s[12:13], s[12:13], s[14:15]
	s_xor_b64 s[14:15], s[12:13], -1
                                        ; implicit-def: $vgpr69
	s_and_saveexec_b64 s[16:17], s[14:15]
	s_xor_b64 s[14:15], exec, s[16:17]
; %bb.19:                               ;   in Loop: Header=BB15_2 Depth=1
	ds_read_b32 v69, v70 offset:4
                                        ; implicit-def: $vgpr71
; %bb.20:                               ;   in Loop: Header=BB15_2 Depth=1
	s_or_saveexec_b64 s[14:15], s[14:15]
	v_mov_b32_e32 v70, v67
	s_xor_b64 exec, exec, s[14:15]
	s_cbranch_execz .LBB15_22
; %bb.21:                               ;   in Loop: Header=BB15_2 Depth=1
	ds_read_b32 v70, v71 offset:28
	s_waitcnt lgkmcnt(1)
	v_mov_b32_e32 v69, v65
.LBB15_22:                              ;   in Loop: Header=BB15_2 Depth=1
	s_or_b64 exec, exec, s[14:15]
	v_add_u32_e32 v72, 1, v66
	v_add_u32_e32 v71, 1, v68
	v_cndmask_b32_e64 v72, v72, v66, s[12:13]
	v_cndmask_b32_e64 v71, v68, v71, s[12:13]
	v_cmp_ge_i32_e64 s[16:17], v72, v3
	s_waitcnt lgkmcnt(0)
	v_cmp_lt_i32_e64 s[18:19], v70, v69
	v_cmp_lt_i32_e64 s[14:15], v71, v4
	s_or_b64 s[16:17], s[16:17], s[18:19]
	s_and_b64 s[14:15], s[14:15], s[16:17]
	s_xor_b64 s[16:17], s[14:15], -1
                                        ; implicit-def: $vgpr73
	s_and_saveexec_b64 s[18:19], s[16:17]
	s_xor_b64 s[16:17], exec, s[18:19]
; %bb.23:                               ;   in Loop: Header=BB15_2 Depth=1
	v_lshlrev_b32_e32 v73, 2, v72
	ds_read_b32 v73, v73 offset:4
; %bb.24:                               ;   in Loop: Header=BB15_2 Depth=1
	s_or_saveexec_b64 s[16:17], s[16:17]
	v_mov_b32_e32 v74, v70
	s_xor_b64 exec, exec, s[16:17]
	s_cbranch_execz .LBB15_26
; %bb.25:                               ;   in Loop: Header=BB15_2 Depth=1
	s_waitcnt lgkmcnt(0)
	v_lshlrev_b32_e32 v73, 2, v71
	ds_read_b32 v74, v73 offset:4
	v_mov_b32_e32 v73, v69
.LBB15_26:                              ;   in Loop: Header=BB15_2 Depth=1
	s_or_b64 exec, exec, s[16:17]
	v_add_u32_e32 v75, 1, v72
	v_cndmask_b32_e64 v69, v69, v70, s[14:15]
	v_add_u32_e32 v70, 1, v71
	v_cndmask_b32_e64 v75, v75, v72, s[14:15]
	v_cndmask_b32_e64 v70, v71, v70, s[14:15]
	;; [unrolled: 1-line block ×3, first 2 shown]
	v_cmp_ge_i32_e64 s[14:15], v75, v3
	s_waitcnt lgkmcnt(0)
	v_cmp_lt_i32_e64 s[16:17], v74, v73
	v_cndmask_b32_e64 v65, v65, v67, s[12:13]
	v_cndmask_b32_e64 v66, v66, v68, s[12:13]
	v_cmp_lt_i32_e64 s[12:13], v70, v4
	s_or_b64 s[14:15], s[14:15], s[16:17]
	s_and_b64 s[12:13], s[12:13], s[14:15]
	v_cndmask_b32_e64 v68, v75, v70, s[12:13]
	s_barrier
	ds_write2_b32 v53, v62, v63 offset1:1
	ds_write_b32 v53, v64 offset:8
	v_lshlrev_b32_e32 v62, 2, v66
	v_lshlrev_b32_e32 v63, 2, v71
	;; [unrolled: 1-line block ×3, first 2 shown]
	s_waitcnt lgkmcnt(0)
	s_barrier
	ds_read_b32 v62, v62
	ds_read_b32 v63, v63
	;; [unrolled: 1-line block ×3, first 2 shown]
	v_mov_b32_e32 v68, v26
	v_cndmask_b32_e64 v67, v73, v74, s[12:13]
	s_waitcnt lgkmcnt(0)
	s_barrier
	ds_write2_b32 v53, v65, v69 offset1:1
	ds_write_b32 v53, v67 offset:8
	s_waitcnt lgkmcnt(0)
	s_barrier
	s_and_saveexec_b64 s[14:15], s[2:3]
	s_cbranch_execz .LBB15_30
; %bb.27:                               ;   in Loop: Header=BB15_2 Depth=1
	s_mov_b64 s[16:17], 0
	v_mov_b32_e32 v68, v26
	v_mov_b32_e32 v65, v27
.LBB15_28:                              ;   Parent Loop BB15_2 Depth=1
                                        ; =>  This Inner Loop Header: Depth=2
	v_sub_u32_e32 v66, v65, v68
	v_lshrrev_b32_e32 v66, 1, v66
	v_add_u32_e32 v66, v66, v68
	v_not_b32_e32 v69, v66
	v_lshl_add_u32 v67, v66, 2, v56
	v_lshl_add_u32 v69, v69, 2, v28
	ds_read_b32 v67, v67
	ds_read_b32 v69, v69 offset:48
	v_add_u32_e32 v70, 1, v66
	s_waitcnt lgkmcnt(0)
	v_cmp_lt_i32_e64 s[12:13], v69, v67
	v_cndmask_b32_e64 v65, v65, v66, s[12:13]
	v_cndmask_b32_e64 v68, v70, v68, s[12:13]
	v_cmp_ge_i32_e64 s[12:13], v68, v65
	s_or_b64 s[16:17], s[12:13], s[16:17]
	s_andn2_b64 exec, exec, s[16:17]
	s_cbranch_execnz .LBB15_28
; %bb.29:                               ;   in Loop: Header=BB15_2 Depth=1
	s_or_b64 exec, exec, s[16:17]
.LBB15_30:                              ;   in Loop: Header=BB15_2 Depth=1
	s_or_b64 exec, exec, s[14:15]
	v_lshl_add_u32 v70, v68, 2, v56
	v_sub_u32_e32 v65, v29, v68
	v_lshlrev_b32_e32 v71, 2, v65
	ds_read_b32 v65, v70
	ds_read_b32 v67, v71 offset:48
	v_add_u32_e32 v66, v68, v25
	v_sub_u32_e32 v68, v30, v68
	v_cmp_le_i32_e64 s[14:15], v5, v66
	v_cmp_gt_i32_e64 s[12:13], v6, v68
	s_waitcnt lgkmcnt(0)
	v_cmp_lt_i32_e64 s[16:17], v67, v65
	s_or_b64 s[14:15], s[14:15], s[16:17]
	s_and_b64 s[12:13], s[12:13], s[14:15]
	s_xor_b64 s[14:15], s[12:13], -1
                                        ; implicit-def: $vgpr69
	s_and_saveexec_b64 s[16:17], s[14:15]
	s_xor_b64 s[14:15], exec, s[16:17]
; %bb.31:                               ;   in Loop: Header=BB15_2 Depth=1
	ds_read_b32 v69, v70 offset:4
                                        ; implicit-def: $vgpr71
; %bb.32:                               ;   in Loop: Header=BB15_2 Depth=1
	s_or_saveexec_b64 s[14:15], s[14:15]
	v_mov_b32_e32 v70, v67
	s_xor_b64 exec, exec, s[14:15]
	s_cbranch_execz .LBB15_34
; %bb.33:                               ;   in Loop: Header=BB15_2 Depth=1
	ds_read_b32 v70, v71 offset:52
	s_waitcnt lgkmcnt(1)
	v_mov_b32_e32 v69, v65
.LBB15_34:                              ;   in Loop: Header=BB15_2 Depth=1
	s_or_b64 exec, exec, s[14:15]
	v_add_u32_e32 v72, 1, v66
	v_add_u32_e32 v71, 1, v68
	v_cndmask_b32_e64 v72, v72, v66, s[12:13]
	v_cndmask_b32_e64 v71, v68, v71, s[12:13]
	v_cmp_ge_i32_e64 s[16:17], v72, v5
	s_waitcnt lgkmcnt(0)
	v_cmp_lt_i32_e64 s[18:19], v70, v69
	v_cmp_lt_i32_e64 s[14:15], v71, v6
	s_or_b64 s[16:17], s[16:17], s[18:19]
	s_and_b64 s[14:15], s[14:15], s[16:17]
	s_xor_b64 s[16:17], s[14:15], -1
                                        ; implicit-def: $vgpr73
	s_and_saveexec_b64 s[18:19], s[16:17]
	s_xor_b64 s[16:17], exec, s[18:19]
; %bb.35:                               ;   in Loop: Header=BB15_2 Depth=1
	v_lshlrev_b32_e32 v73, 2, v72
	ds_read_b32 v73, v73 offset:4
; %bb.36:                               ;   in Loop: Header=BB15_2 Depth=1
	s_or_saveexec_b64 s[16:17], s[16:17]
	v_mov_b32_e32 v74, v70
	s_xor_b64 exec, exec, s[16:17]
	s_cbranch_execz .LBB15_38
; %bb.37:                               ;   in Loop: Header=BB15_2 Depth=1
	s_waitcnt lgkmcnt(0)
	v_lshlrev_b32_e32 v73, 2, v71
	ds_read_b32 v74, v73 offset:4
	v_mov_b32_e32 v73, v69
.LBB15_38:                              ;   in Loop: Header=BB15_2 Depth=1
	s_or_b64 exec, exec, s[16:17]
	v_add_u32_e32 v75, 1, v72
	v_cndmask_b32_e64 v69, v69, v70, s[14:15]
	v_add_u32_e32 v70, 1, v71
	v_cndmask_b32_e64 v75, v75, v72, s[14:15]
	v_cndmask_b32_e64 v70, v71, v70, s[14:15]
	;; [unrolled: 1-line block ×3, first 2 shown]
	v_cmp_ge_i32_e64 s[14:15], v75, v5
	s_waitcnt lgkmcnt(0)
	v_cmp_lt_i32_e64 s[16:17], v74, v73
	v_cndmask_b32_e64 v65, v65, v67, s[12:13]
	v_cndmask_b32_e64 v66, v66, v68, s[12:13]
	v_cmp_lt_i32_e64 s[12:13], v70, v6
	s_or_b64 s[14:15], s[14:15], s[16:17]
	s_and_b64 s[12:13], s[12:13], s[14:15]
	v_cndmask_b32_e64 v68, v75, v70, s[12:13]
	s_barrier
	ds_write2_b32 v53, v62, v63 offset1:1
	ds_write_b32 v53, v64 offset:8
	v_lshlrev_b32_e32 v62, 2, v66
	v_lshlrev_b32_e32 v63, 2, v71
	;; [unrolled: 1-line block ×3, first 2 shown]
	s_waitcnt lgkmcnt(0)
	s_barrier
	ds_read_b32 v62, v62
	ds_read_b32 v63, v63
	ds_read_b32 v64, v64
	v_mov_b32_e32 v68, v32
	v_cndmask_b32_e64 v67, v73, v74, s[12:13]
	s_waitcnt lgkmcnt(0)
	s_barrier
	ds_write2_b32 v53, v65, v69 offset1:1
	ds_write_b32 v53, v67 offset:8
	s_waitcnt lgkmcnt(0)
	s_barrier
	s_and_saveexec_b64 s[14:15], s[4:5]
	s_cbranch_execz .LBB15_42
; %bb.39:                               ;   in Loop: Header=BB15_2 Depth=1
	s_mov_b64 s[16:17], 0
	v_mov_b32_e32 v68, v32
	v_mov_b32_e32 v65, v33
.LBB15_40:                              ;   Parent Loop BB15_2 Depth=1
                                        ; =>  This Inner Loop Header: Depth=2
	v_sub_u32_e32 v66, v65, v68
	v_lshrrev_b32_e32 v66, 1, v66
	v_add_u32_e32 v66, v66, v68
	v_not_b32_e32 v69, v66
	v_lshl_add_u32 v67, v66, 2, v57
	v_lshl_add_u32 v69, v69, 2, v34
	ds_read_b32 v67, v67
	ds_read_b32 v69, v69 offset:96
	v_add_u32_e32 v70, 1, v66
	s_waitcnt lgkmcnt(0)
	v_cmp_lt_i32_e64 s[12:13], v69, v67
	v_cndmask_b32_e64 v65, v65, v66, s[12:13]
	v_cndmask_b32_e64 v68, v70, v68, s[12:13]
	v_cmp_ge_i32_e64 s[12:13], v68, v65
	s_or_b64 s[16:17], s[12:13], s[16:17]
	s_andn2_b64 exec, exec, s[16:17]
	s_cbranch_execnz .LBB15_40
; %bb.41:                               ;   in Loop: Header=BB15_2 Depth=1
	s_or_b64 exec, exec, s[16:17]
.LBB15_42:                              ;   in Loop: Header=BB15_2 Depth=1
	s_or_b64 exec, exec, s[14:15]
	v_lshl_add_u32 v70, v68, 2, v57
	v_sub_u32_e32 v65, v35, v68
	v_lshlrev_b32_e32 v71, 2, v65
	ds_read_b32 v65, v70
	ds_read_b32 v67, v71 offset:96
	v_add_u32_e32 v66, v68, v31
	v_sub_u32_e32 v68, v36, v68
	v_cmp_le_i32_e64 s[14:15], v8, v66
	v_cmp_gt_i32_e64 s[12:13], v7, v68
	s_waitcnt lgkmcnt(0)
	v_cmp_lt_i32_e64 s[16:17], v67, v65
	s_or_b64 s[14:15], s[14:15], s[16:17]
	s_and_b64 s[12:13], s[12:13], s[14:15]
	s_xor_b64 s[14:15], s[12:13], -1
                                        ; implicit-def: $vgpr69
	s_and_saveexec_b64 s[16:17], s[14:15]
	s_xor_b64 s[14:15], exec, s[16:17]
; %bb.43:                               ;   in Loop: Header=BB15_2 Depth=1
	ds_read_b32 v69, v70 offset:4
                                        ; implicit-def: $vgpr71
; %bb.44:                               ;   in Loop: Header=BB15_2 Depth=1
	s_or_saveexec_b64 s[14:15], s[14:15]
	v_mov_b32_e32 v70, v67
	s_xor_b64 exec, exec, s[14:15]
	s_cbranch_execz .LBB15_46
; %bb.45:                               ;   in Loop: Header=BB15_2 Depth=1
	ds_read_b32 v70, v71 offset:100
	s_waitcnt lgkmcnt(1)
	v_mov_b32_e32 v69, v65
.LBB15_46:                              ;   in Loop: Header=BB15_2 Depth=1
	s_or_b64 exec, exec, s[14:15]
	v_add_u32_e32 v72, 1, v66
	v_add_u32_e32 v71, 1, v68
	v_cndmask_b32_e64 v72, v72, v66, s[12:13]
	v_cndmask_b32_e64 v71, v68, v71, s[12:13]
	v_cmp_ge_i32_e64 s[16:17], v72, v8
	s_waitcnt lgkmcnt(0)
	v_cmp_lt_i32_e64 s[18:19], v70, v69
	v_cmp_lt_i32_e64 s[14:15], v71, v7
	s_or_b64 s[16:17], s[16:17], s[18:19]
	s_and_b64 s[14:15], s[14:15], s[16:17]
	s_xor_b64 s[16:17], s[14:15], -1
                                        ; implicit-def: $vgpr73
	s_and_saveexec_b64 s[18:19], s[16:17]
	s_xor_b64 s[16:17], exec, s[18:19]
; %bb.47:                               ;   in Loop: Header=BB15_2 Depth=1
	v_lshlrev_b32_e32 v73, 2, v72
	ds_read_b32 v73, v73 offset:4
; %bb.48:                               ;   in Loop: Header=BB15_2 Depth=1
	s_or_saveexec_b64 s[16:17], s[16:17]
	v_mov_b32_e32 v74, v70
	s_xor_b64 exec, exec, s[16:17]
	s_cbranch_execz .LBB15_50
; %bb.49:                               ;   in Loop: Header=BB15_2 Depth=1
	s_waitcnt lgkmcnt(0)
	v_lshlrev_b32_e32 v73, 2, v71
	ds_read_b32 v74, v73 offset:4
	v_mov_b32_e32 v73, v69
.LBB15_50:                              ;   in Loop: Header=BB15_2 Depth=1
	s_or_b64 exec, exec, s[16:17]
	v_add_u32_e32 v75, 1, v72
	v_cndmask_b32_e64 v69, v69, v70, s[14:15]
	v_add_u32_e32 v70, 1, v71
	v_cndmask_b32_e64 v75, v75, v72, s[14:15]
	v_cndmask_b32_e64 v70, v71, v70, s[14:15]
	;; [unrolled: 1-line block ×3, first 2 shown]
	v_cmp_ge_i32_e64 s[14:15], v75, v8
	s_waitcnt lgkmcnt(0)
	v_cmp_lt_i32_e64 s[16:17], v74, v73
	v_cndmask_b32_e64 v65, v65, v67, s[12:13]
	v_cndmask_b32_e64 v66, v66, v68, s[12:13]
	v_cmp_lt_i32_e64 s[12:13], v70, v7
	s_or_b64 s[14:15], s[14:15], s[16:17]
	s_and_b64 s[12:13], s[12:13], s[14:15]
	v_cndmask_b32_e64 v68, v75, v70, s[12:13]
	s_barrier
	ds_write2_b32 v53, v62, v63 offset1:1
	ds_write_b32 v53, v64 offset:8
	v_lshlrev_b32_e32 v62, 2, v66
	v_lshlrev_b32_e32 v63, 2, v71
	;; [unrolled: 1-line block ×3, first 2 shown]
	s_waitcnt lgkmcnt(0)
	s_barrier
	ds_read_b32 v62, v62
	ds_read_b32 v63, v63
	;; [unrolled: 1-line block ×3, first 2 shown]
	v_mov_b32_e32 v68, v38
	v_cndmask_b32_e64 v67, v73, v74, s[12:13]
	s_waitcnt lgkmcnt(0)
	s_barrier
	ds_write2_b32 v53, v65, v69 offset1:1
	ds_write_b32 v53, v67 offset:8
	s_waitcnt lgkmcnt(0)
	s_barrier
	s_and_saveexec_b64 s[14:15], s[6:7]
	s_cbranch_execz .LBB15_54
; %bb.51:                               ;   in Loop: Header=BB15_2 Depth=1
	s_mov_b64 s[16:17], 0
	v_mov_b32_e32 v68, v38
	v_mov_b32_e32 v65, v39
.LBB15_52:                              ;   Parent Loop BB15_2 Depth=1
                                        ; =>  This Inner Loop Header: Depth=2
	v_sub_u32_e32 v66, v65, v68
	v_lshrrev_b32_e32 v66, 1, v66
	v_add_u32_e32 v66, v66, v68
	v_not_b32_e32 v69, v66
	v_lshl_add_u32 v67, v66, 2, v58
	v_lshl_add_u32 v69, v69, 2, v40
	ds_read_b32 v67, v67
	ds_read_b32 v69, v69 offset:192
	v_add_u32_e32 v70, 1, v66
	s_waitcnt lgkmcnt(0)
	v_cmp_lt_i32_e64 s[12:13], v69, v67
	v_cndmask_b32_e64 v65, v65, v66, s[12:13]
	v_cndmask_b32_e64 v68, v70, v68, s[12:13]
	v_cmp_ge_i32_e64 s[12:13], v68, v65
	s_or_b64 s[16:17], s[12:13], s[16:17]
	s_andn2_b64 exec, exec, s[16:17]
	s_cbranch_execnz .LBB15_52
; %bb.53:                               ;   in Loop: Header=BB15_2 Depth=1
	s_or_b64 exec, exec, s[16:17]
.LBB15_54:                              ;   in Loop: Header=BB15_2 Depth=1
	s_or_b64 exec, exec, s[14:15]
	v_lshl_add_u32 v70, v68, 2, v58
	v_sub_u32_e32 v65, v41, v68
	v_lshlrev_b32_e32 v71, 2, v65
	ds_read_b32 v65, v70
	ds_read_b32 v67, v71 offset:192
	v_add_u32_e32 v66, v68, v37
	v_sub_u32_e32 v68, v42, v68
	v_cmp_le_i32_e64 s[14:15], v10, v66
	v_cmp_gt_i32_e64 s[12:13], v9, v68
	s_waitcnt lgkmcnt(0)
	v_cmp_lt_i32_e64 s[16:17], v67, v65
	s_or_b64 s[14:15], s[14:15], s[16:17]
	s_and_b64 s[12:13], s[12:13], s[14:15]
	s_xor_b64 s[14:15], s[12:13], -1
                                        ; implicit-def: $vgpr69
	s_and_saveexec_b64 s[16:17], s[14:15]
	s_xor_b64 s[14:15], exec, s[16:17]
; %bb.55:                               ;   in Loop: Header=BB15_2 Depth=1
	ds_read_b32 v69, v70 offset:4
                                        ; implicit-def: $vgpr71
; %bb.56:                               ;   in Loop: Header=BB15_2 Depth=1
	s_or_saveexec_b64 s[14:15], s[14:15]
	v_mov_b32_e32 v70, v67
	s_xor_b64 exec, exec, s[14:15]
	s_cbranch_execz .LBB15_58
; %bb.57:                               ;   in Loop: Header=BB15_2 Depth=1
	ds_read_b32 v70, v71 offset:196
	s_waitcnt lgkmcnt(1)
	v_mov_b32_e32 v69, v65
.LBB15_58:                              ;   in Loop: Header=BB15_2 Depth=1
	s_or_b64 exec, exec, s[14:15]
	v_add_u32_e32 v72, 1, v66
	v_add_u32_e32 v71, 1, v68
	v_cndmask_b32_e64 v72, v72, v66, s[12:13]
	v_cndmask_b32_e64 v71, v68, v71, s[12:13]
	v_cmp_ge_i32_e64 s[16:17], v72, v10
	s_waitcnt lgkmcnt(0)
	v_cmp_lt_i32_e64 s[18:19], v70, v69
	v_cmp_lt_i32_e64 s[14:15], v71, v9
	s_or_b64 s[16:17], s[16:17], s[18:19]
	s_and_b64 s[14:15], s[14:15], s[16:17]
	s_xor_b64 s[16:17], s[14:15], -1
                                        ; implicit-def: $vgpr73
	s_and_saveexec_b64 s[18:19], s[16:17]
	s_xor_b64 s[16:17], exec, s[18:19]
; %bb.59:                               ;   in Loop: Header=BB15_2 Depth=1
	v_lshlrev_b32_e32 v73, 2, v72
	ds_read_b32 v73, v73 offset:4
; %bb.60:                               ;   in Loop: Header=BB15_2 Depth=1
	s_or_saveexec_b64 s[16:17], s[16:17]
	v_mov_b32_e32 v74, v70
	s_xor_b64 exec, exec, s[16:17]
	s_cbranch_execz .LBB15_62
; %bb.61:                               ;   in Loop: Header=BB15_2 Depth=1
	s_waitcnt lgkmcnt(0)
	v_lshlrev_b32_e32 v73, 2, v71
	ds_read_b32 v74, v73 offset:4
	v_mov_b32_e32 v73, v69
.LBB15_62:                              ;   in Loop: Header=BB15_2 Depth=1
	s_or_b64 exec, exec, s[16:17]
	v_add_u32_e32 v75, 1, v72
	v_cndmask_b32_e64 v69, v69, v70, s[14:15]
	v_add_u32_e32 v70, 1, v71
	v_cndmask_b32_e64 v75, v75, v72, s[14:15]
	v_cndmask_b32_e64 v70, v71, v70, s[14:15]
	;; [unrolled: 1-line block ×3, first 2 shown]
	v_cmp_ge_i32_e64 s[14:15], v75, v10
	s_waitcnt lgkmcnt(0)
	v_cmp_lt_i32_e64 s[16:17], v74, v73
	v_cndmask_b32_e64 v65, v65, v67, s[12:13]
	v_cndmask_b32_e64 v66, v66, v68, s[12:13]
	v_cmp_lt_i32_e64 s[12:13], v70, v9
	s_or_b64 s[14:15], s[14:15], s[16:17]
	s_and_b64 s[12:13], s[12:13], s[14:15]
	v_cndmask_b32_e64 v68, v75, v70, s[12:13]
	s_barrier
	ds_write2_b32 v53, v62, v63 offset1:1
	ds_write_b32 v53, v64 offset:8
	v_lshlrev_b32_e32 v62, 2, v66
	v_lshlrev_b32_e32 v63, 2, v71
	;; [unrolled: 1-line block ×3, first 2 shown]
	s_waitcnt lgkmcnt(0)
	s_barrier
	ds_read_b32 v62, v62
	ds_read_b32 v63, v63
	;; [unrolled: 1-line block ×3, first 2 shown]
	v_mov_b32_e32 v68, v44
	v_cndmask_b32_e64 v67, v73, v74, s[12:13]
	s_waitcnt lgkmcnt(0)
	s_barrier
	ds_write2_b32 v53, v65, v69 offset1:1
	ds_write_b32 v53, v67 offset:8
	s_waitcnt lgkmcnt(0)
	s_barrier
	s_and_saveexec_b64 s[14:15], s[8:9]
	s_cbranch_execz .LBB15_66
; %bb.63:                               ;   in Loop: Header=BB15_2 Depth=1
	s_mov_b64 s[16:17], 0
	v_mov_b32_e32 v68, v44
	v_mov_b32_e32 v65, v45
.LBB15_64:                              ;   Parent Loop BB15_2 Depth=1
                                        ; =>  This Inner Loop Header: Depth=2
	v_sub_u32_e32 v66, v65, v68
	v_lshrrev_b32_e32 v66, 1, v66
	v_add_u32_e32 v66, v66, v68
	v_not_b32_e32 v69, v66
	v_lshl_add_u32 v67, v66, 2, v59
	v_lshl_add_u32 v69, v69, 2, v46
	ds_read_b32 v67, v67
	ds_read_b32 v69, v69 offset:384
	v_add_u32_e32 v70, 1, v66
	s_waitcnt lgkmcnt(0)
	v_cmp_lt_i32_e64 s[12:13], v69, v67
	v_cndmask_b32_e64 v65, v65, v66, s[12:13]
	v_cndmask_b32_e64 v68, v70, v68, s[12:13]
	v_cmp_ge_i32_e64 s[12:13], v68, v65
	s_or_b64 s[16:17], s[12:13], s[16:17]
	s_andn2_b64 exec, exec, s[16:17]
	s_cbranch_execnz .LBB15_64
; %bb.65:                               ;   in Loop: Header=BB15_2 Depth=1
	s_or_b64 exec, exec, s[16:17]
.LBB15_66:                              ;   in Loop: Header=BB15_2 Depth=1
	s_or_b64 exec, exec, s[14:15]
	v_lshl_add_u32 v70, v68, 2, v59
	v_sub_u32_e32 v65, v47, v68
	v_lshlrev_b32_e32 v71, 2, v65
	ds_read_b32 v65, v70
	ds_read_b32 v67, v71 offset:384
	v_add_u32_e32 v66, v68, v43
	v_sub_u32_e32 v68, v48, v68
	v_cmp_le_i32_e64 s[14:15], v12, v66
	v_cmp_gt_i32_e64 s[12:13], v11, v68
	s_waitcnt lgkmcnt(0)
	v_cmp_lt_i32_e64 s[16:17], v67, v65
	s_or_b64 s[14:15], s[14:15], s[16:17]
	s_and_b64 s[12:13], s[12:13], s[14:15]
	s_xor_b64 s[14:15], s[12:13], -1
                                        ; implicit-def: $vgpr69
	s_and_saveexec_b64 s[16:17], s[14:15]
	s_xor_b64 s[14:15], exec, s[16:17]
; %bb.67:                               ;   in Loop: Header=BB15_2 Depth=1
	ds_read_b32 v69, v70 offset:4
                                        ; implicit-def: $vgpr71
; %bb.68:                               ;   in Loop: Header=BB15_2 Depth=1
	s_or_saveexec_b64 s[14:15], s[14:15]
	v_mov_b32_e32 v70, v67
	s_xor_b64 exec, exec, s[14:15]
	s_cbranch_execz .LBB15_70
; %bb.69:                               ;   in Loop: Header=BB15_2 Depth=1
	ds_read_b32 v70, v71 offset:388
	s_waitcnt lgkmcnt(1)
	v_mov_b32_e32 v69, v65
.LBB15_70:                              ;   in Loop: Header=BB15_2 Depth=1
	s_or_b64 exec, exec, s[14:15]
	v_add_u32_e32 v72, 1, v66
	v_add_u32_e32 v71, 1, v68
	v_cndmask_b32_e64 v72, v72, v66, s[12:13]
	v_cndmask_b32_e64 v71, v68, v71, s[12:13]
	v_cmp_ge_i32_e64 s[16:17], v72, v12
	s_waitcnt lgkmcnt(0)
	v_cmp_lt_i32_e64 s[18:19], v70, v69
	v_cmp_lt_i32_e64 s[14:15], v71, v11
	s_or_b64 s[16:17], s[16:17], s[18:19]
	s_and_b64 s[14:15], s[14:15], s[16:17]
	s_xor_b64 s[16:17], s[14:15], -1
                                        ; implicit-def: $vgpr73
	s_and_saveexec_b64 s[18:19], s[16:17]
	s_xor_b64 s[16:17], exec, s[18:19]
; %bb.71:                               ;   in Loop: Header=BB15_2 Depth=1
	v_lshlrev_b32_e32 v73, 2, v72
	ds_read_b32 v73, v73 offset:4
; %bb.72:                               ;   in Loop: Header=BB15_2 Depth=1
	s_or_saveexec_b64 s[16:17], s[16:17]
	v_mov_b32_e32 v74, v70
	s_xor_b64 exec, exec, s[16:17]
	s_cbranch_execz .LBB15_74
; %bb.73:                               ;   in Loop: Header=BB15_2 Depth=1
	s_waitcnt lgkmcnt(0)
	v_lshlrev_b32_e32 v73, 2, v71
	ds_read_b32 v74, v73 offset:4
	v_mov_b32_e32 v73, v69
.LBB15_74:                              ;   in Loop: Header=BB15_2 Depth=1
	s_or_b64 exec, exec, s[16:17]
	v_add_u32_e32 v75, 1, v72
	v_cndmask_b32_e64 v69, v69, v70, s[14:15]
	v_add_u32_e32 v70, 1, v71
	v_cndmask_b32_e64 v75, v75, v72, s[14:15]
	v_cndmask_b32_e64 v70, v71, v70, s[14:15]
	;; [unrolled: 1-line block ×3, first 2 shown]
	v_cmp_ge_i32_e64 s[14:15], v75, v12
	s_waitcnt lgkmcnt(0)
	v_cmp_lt_i32_e64 s[16:17], v74, v73
	v_cndmask_b32_e64 v65, v65, v67, s[12:13]
	v_cndmask_b32_e64 v66, v66, v68, s[12:13]
	v_cmp_lt_i32_e64 s[12:13], v70, v11
	s_or_b64 s[14:15], s[14:15], s[16:17]
	s_and_b64 s[12:13], s[12:13], s[14:15]
	v_cndmask_b32_e64 v68, v75, v70, s[12:13]
	s_barrier
	ds_write2_b32 v53, v62, v63 offset1:1
	ds_write_b32 v53, v64 offset:8
	v_lshlrev_b32_e32 v62, 2, v66
	v_lshlrev_b32_e32 v63, 2, v71
	;; [unrolled: 1-line block ×3, first 2 shown]
	s_waitcnt lgkmcnt(0)
	s_barrier
	ds_read_b32 v62, v62
	ds_read_b32 v63, v63
	;; [unrolled: 1-line block ×3, first 2 shown]
	v_cndmask_b32_e64 v67, v73, v74, s[12:13]
	s_waitcnt lgkmcnt(0)
	s_barrier
	ds_write2_b32 v53, v65, v69 offset1:1
	ds_write_b32 v53, v67 offset:8
	v_mov_b32_e32 v65, v51
	s_waitcnt lgkmcnt(0)
	s_barrier
	s_and_saveexec_b64 s[14:15], s[10:11]
	s_cbranch_execz .LBB15_78
; %bb.75:                               ;   in Loop: Header=BB15_2 Depth=1
	s_mov_b64 s[16:17], 0
	v_mov_b32_e32 v65, v51
	v_mov_b32_e32 v66, v52
.LBB15_76:                              ;   Parent Loop BB15_2 Depth=1
                                        ; =>  This Inner Loop Header: Depth=2
	v_sub_u32_e32 v67, v66, v65
	v_lshrrev_b32_e32 v67, 1, v67
	v_add_u32_e32 v67, v67, v65
	v_not_b32_e32 v69, v67
	v_lshlrev_b32_e32 v68, 2, v67
	v_lshl_add_u32 v69, v69, 2, v61
	ds_read_b32 v68, v68
	ds_read_b32 v69, v69 offset:768
	v_add_u32_e32 v70, 1, v67
	s_waitcnt lgkmcnt(0)
	v_cmp_lt_i32_e64 s[12:13], v69, v68
	v_cndmask_b32_e64 v66, v66, v67, s[12:13]
	v_cndmask_b32_e64 v65, v70, v65, s[12:13]
	v_cmp_ge_i32_e64 s[12:13], v65, v66
	s_or_b64 s[16:17], s[12:13], s[16:17]
	s_andn2_b64 exec, exec, s[16:17]
	s_cbranch_execnz .LBB15_76
; %bb.77:                               ;   in Loop: Header=BB15_2 Depth=1
	s_or_b64 exec, exec, s[16:17]
.LBB15_78:                              ;   in Loop: Header=BB15_2 Depth=1
	s_or_b64 exec, exec, s[14:15]
	v_lshlrev_b32_e32 v70, 2, v65
	v_sub_u32_e32 v66, v50, v65
	v_lshlrev_b32_e32 v71, 2, v66
	ds_read_b32 v66, v70
	ds_read_b32 v67, v71 offset:768
	v_sub_u32_e32 v69, v60, v65
	v_cmp_le_i32_e64 s[14:15], v49, v65
	v_cmp_gt_i32_e64 s[12:13], s30, v69
                                        ; implicit-def: $vgpr68
	s_waitcnt lgkmcnt(0)
	v_cmp_lt_i32_e64 s[16:17], v67, v66
	s_or_b64 s[14:15], s[14:15], s[16:17]
	s_and_b64 s[12:13], s[12:13], s[14:15]
	s_xor_b64 s[14:15], s[12:13], -1
	s_and_saveexec_b64 s[16:17], s[14:15]
	s_xor_b64 s[14:15], exec, s[16:17]
; %bb.79:                               ;   in Loop: Header=BB15_2 Depth=1
	ds_read_b32 v68, v70 offset:4
                                        ; implicit-def: $vgpr71
; %bb.80:                               ;   in Loop: Header=BB15_2 Depth=1
	s_or_saveexec_b64 s[14:15], s[14:15]
	v_mov_b32_e32 v70, v67
	s_xor_b64 exec, exec, s[14:15]
	s_cbranch_execz .LBB15_82
; %bb.81:                               ;   in Loop: Header=BB15_2 Depth=1
	ds_read_b32 v70, v71 offset:772
	s_waitcnt lgkmcnt(1)
	v_mov_b32_e32 v68, v66
.LBB15_82:                              ;   in Loop: Header=BB15_2 Depth=1
	s_or_b64 exec, exec, s[14:15]
	v_add_u32_e32 v72, 1, v65
	v_add_u32_e32 v71, 1, v69
	v_cndmask_b32_e64 v75, v72, v65, s[12:13]
	v_cndmask_b32_e64 v71, v69, v71, s[12:13]
	v_cmp_ge_i32_e64 s[16:17], v75, v49
	s_waitcnt lgkmcnt(0)
	v_cmp_lt_i32_e64 s[18:19], v70, v68
	v_cmp_gt_i32_e64 s[14:15], s30, v71
	s_or_b64 s[16:17], s[16:17], s[18:19]
	s_and_b64 s[14:15], s[14:15], s[16:17]
	s_xor_b64 s[16:17], s[14:15], -1
                                        ; implicit-def: $vgpr73
                                        ; implicit-def: $vgpr72
	s_and_saveexec_b64 s[18:19], s[16:17]
	s_xor_b64 s[16:17], exec, s[18:19]
; %bb.83:                               ;   in Loop: Header=BB15_2 Depth=1
	v_lshlrev_b32_e32 v72, 2, v75
	ds_read_b32 v73, v72 offset:4
	v_add_u32_e32 v72, 1, v75
; %bb.84:                               ;   in Loop: Header=BB15_2 Depth=1
	s_or_saveexec_b64 s[16:17], s[16:17]
	v_mov_b32_e32 v74, v75
	v_mov_b32_e32 v76, v70
	s_xor_b64 exec, exec, s[16:17]
	s_cbranch_execz .LBB15_1
; %bb.85:                               ;   in Loop: Header=BB15_2 Depth=1
	v_lshlrev_b32_e32 v72, 2, v71
	ds_read_b32 v76, v72 offset:4
	s_waitcnt lgkmcnt(1)
	v_add_u32_e32 v73, 1, v71
	v_mov_b32_e32 v74, v71
	v_mov_b32_e32 v72, v75
	;; [unrolled: 1-line block ×4, first 2 shown]
	s_branch .LBB15_1
.LBB15_86:
	s_add_u32 s0, s26, s28
	s_waitcnt lgkmcnt(2)
	v_add_u32_e32 v1, v66, v62
	s_addc_u32 s1, s27, s29
	v_lshlrev_b32_e32 v0, 2, v0
	s_waitcnt lgkmcnt(1)
	v_add_u32_e32 v2, v67, v64
	s_waitcnt lgkmcnt(0)
	v_add_u32_e32 v3, v65, v63
	global_store_dword v0, v1, s[0:1]
	global_store_dword v0, v2, s[0:1] offset:512
	global_store_dword v0, v3, s[0:1] offset:1024
	s_endpgm
	.section	.rodata,"a",@progbits
	.p2align	6, 0x0
	.amdhsa_kernel _Z17sort_pairs_kernelIiLj128ELj3EN10test_utils4lessELj10EEvPKT_PS2_T2_
		.amdhsa_group_segment_fixed_size 1540
		.amdhsa_private_segment_fixed_size 0
		.amdhsa_kernarg_size 20
		.amdhsa_user_sgpr_count 6
		.amdhsa_user_sgpr_private_segment_buffer 1
		.amdhsa_user_sgpr_dispatch_ptr 0
		.amdhsa_user_sgpr_queue_ptr 0
		.amdhsa_user_sgpr_kernarg_segment_ptr 1
		.amdhsa_user_sgpr_dispatch_id 0
		.amdhsa_user_sgpr_flat_scratch_init 0
		.amdhsa_user_sgpr_private_segment_size 0
		.amdhsa_uses_dynamic_stack 0
		.amdhsa_system_sgpr_private_segment_wavefront_offset 0
		.amdhsa_system_sgpr_workgroup_id_x 1
		.amdhsa_system_sgpr_workgroup_id_y 0
		.amdhsa_system_sgpr_workgroup_id_z 0
		.amdhsa_system_sgpr_workgroup_info 0
		.amdhsa_system_vgpr_workitem_id 0
		.amdhsa_next_free_vgpr 77
		.amdhsa_next_free_sgpr 32
		.amdhsa_reserve_vcc 1
		.amdhsa_reserve_flat_scratch 0
		.amdhsa_float_round_mode_32 0
		.amdhsa_float_round_mode_16_64 0
		.amdhsa_float_denorm_mode_32 3
		.amdhsa_float_denorm_mode_16_64 3
		.amdhsa_dx10_clamp 1
		.amdhsa_ieee_mode 1
		.amdhsa_fp16_overflow 0
		.amdhsa_exception_fp_ieee_invalid_op 0
		.amdhsa_exception_fp_denorm_src 0
		.amdhsa_exception_fp_ieee_div_zero 0
		.amdhsa_exception_fp_ieee_overflow 0
		.amdhsa_exception_fp_ieee_underflow 0
		.amdhsa_exception_fp_ieee_inexact 0
		.amdhsa_exception_int_div_zero 0
	.end_amdhsa_kernel
	.section	.text._Z17sort_pairs_kernelIiLj128ELj3EN10test_utils4lessELj10EEvPKT_PS2_T2_,"axG",@progbits,_Z17sort_pairs_kernelIiLj128ELj3EN10test_utils4lessELj10EEvPKT_PS2_T2_,comdat
.Lfunc_end15:
	.size	_Z17sort_pairs_kernelIiLj128ELj3EN10test_utils4lessELj10EEvPKT_PS2_T2_, .Lfunc_end15-_Z17sort_pairs_kernelIiLj128ELj3EN10test_utils4lessELj10EEvPKT_PS2_T2_
                                        ; -- End function
	.set _Z17sort_pairs_kernelIiLj128ELj3EN10test_utils4lessELj10EEvPKT_PS2_T2_.num_vgpr, 77
	.set _Z17sort_pairs_kernelIiLj128ELj3EN10test_utils4lessELj10EEvPKT_PS2_T2_.num_agpr, 0
	.set _Z17sort_pairs_kernelIiLj128ELj3EN10test_utils4lessELj10EEvPKT_PS2_T2_.numbered_sgpr, 32
	.set _Z17sort_pairs_kernelIiLj128ELj3EN10test_utils4lessELj10EEvPKT_PS2_T2_.num_named_barrier, 0
	.set _Z17sort_pairs_kernelIiLj128ELj3EN10test_utils4lessELj10EEvPKT_PS2_T2_.private_seg_size, 0
	.set _Z17sort_pairs_kernelIiLj128ELj3EN10test_utils4lessELj10EEvPKT_PS2_T2_.uses_vcc, 1
	.set _Z17sort_pairs_kernelIiLj128ELj3EN10test_utils4lessELj10EEvPKT_PS2_T2_.uses_flat_scratch, 0
	.set _Z17sort_pairs_kernelIiLj128ELj3EN10test_utils4lessELj10EEvPKT_PS2_T2_.has_dyn_sized_stack, 0
	.set _Z17sort_pairs_kernelIiLj128ELj3EN10test_utils4lessELj10EEvPKT_PS2_T2_.has_recursion, 0
	.set _Z17sort_pairs_kernelIiLj128ELj3EN10test_utils4lessELj10EEvPKT_PS2_T2_.has_indirect_call, 0
	.section	.AMDGPU.csdata,"",@progbits
; Kernel info:
; codeLenInByte = 5220
; TotalNumSgprs: 36
; NumVgprs: 77
; ScratchSize: 0
; MemoryBound: 0
; FloatMode: 240
; IeeeMode: 1
; LDSByteSize: 1540 bytes/workgroup (compile time only)
; SGPRBlocks: 4
; VGPRBlocks: 19
; NumSGPRsForWavesPerEU: 36
; NumVGPRsForWavesPerEU: 77
; Occupancy: 3
; WaveLimiterHint : 1
; COMPUTE_PGM_RSRC2:SCRATCH_EN: 0
; COMPUTE_PGM_RSRC2:USER_SGPR: 6
; COMPUTE_PGM_RSRC2:TRAP_HANDLER: 0
; COMPUTE_PGM_RSRC2:TGID_X_EN: 1
; COMPUTE_PGM_RSRC2:TGID_Y_EN: 0
; COMPUTE_PGM_RSRC2:TGID_Z_EN: 0
; COMPUTE_PGM_RSRC2:TIDIG_COMP_CNT: 0
	.section	.text._Z16sort_keys_kernelIiLj128ELj4EN10test_utils4lessELj10EEvPKT_PS2_T2_,"axG",@progbits,_Z16sort_keys_kernelIiLj128ELj4EN10test_utils4lessELj10EEvPKT_PS2_T2_,comdat
	.protected	_Z16sort_keys_kernelIiLj128ELj4EN10test_utils4lessELj10EEvPKT_PS2_T2_ ; -- Begin function _Z16sort_keys_kernelIiLj128ELj4EN10test_utils4lessELj10EEvPKT_PS2_T2_
	.globl	_Z16sort_keys_kernelIiLj128ELj4EN10test_utils4lessELj10EEvPKT_PS2_T2_
	.p2align	8
	.type	_Z16sort_keys_kernelIiLj128ELj4EN10test_utils4lessELj10EEvPKT_PS2_T2_,@function
_Z16sort_keys_kernelIiLj128ELj4EN10test_utils4lessELj10EEvPKT_PS2_T2_: ; @_Z16sort_keys_kernelIiLj128ELj4EN10test_utils4lessELj10EEvPKT_PS2_T2_
; %bb.0:
	s_load_dwordx4 s[20:23], s[4:5], 0x0
	s_lshl_b32 s26, s6, 9
	s_mov_b32 s27, 0
	s_lshl_b64 s[24:25], s[26:27], 2
	v_lshlrev_b32_e32 v34, 2, v0
	s_waitcnt lgkmcnt(0)
	s_add_u32 s0, s20, s24
	s_addc_u32 s1, s21, s25
	global_load_dword v56, v34, s[0:1]
	global_load_dword v57, v34, s[0:1] offset:512
	global_load_dword v55, v34, s[0:1] offset:1024
	;; [unrolled: 1-line block ×3, first 2 shown]
	v_and_b32_e32 v1, 0x1f8, v34
	v_and_b32_e32 v4, 0x1f0, v34
	v_and_b32_e32 v7, 0x1e0, v34
	v_and_b32_e32 v10, 0x1c0, v34
	v_and_b32_e32 v13, 0x180, v34
	v_and_b32_e32 v16, 0x100, v34
	v_or_b32_e32 v2, 4, v1
	v_add_u32_e32 v3, 8, v1
	v_or_b32_e32 v5, 8, v4
	v_add_u32_e32 v6, 16, v4
	;; [unrolled: 2-line block ×6, first 2 shown]
	v_and_b32_e32 v36, 4, v34
	v_sub_u32_e32 v19, v3, v2
	v_and_b32_e32 v38, 12, v34
	v_sub_u32_e32 v21, v6, v5
	;; [unrolled: 2-line block ×6, first 2 shown]
	v_sub_u32_e32 v20, v36, v19
	v_sub_u32_e32 v22, v38, v21
	;; [unrolled: 1-line block ×6, first 2 shown]
	v_cmp_ge_i32_e32 vcc, v36, v19
	v_cmp_ge_i32_e64 s[0:1], v38, v21
	v_cmp_ge_i32_e64 s[2:3], v40, v23
	;; [unrolled: 1-line block ×5, first 2 shown]
	v_cndmask_b32_e32 v19, 0, v20, vcc
	v_sub_u32_e32 v20, v2, v1
	v_cndmask_b32_e64 v21, 0, v22, s[0:1]
	v_sub_u32_e32 v22, v5, v4
	v_cndmask_b32_e64 v23, 0, v24, s[2:3]
	;; [unrolled: 2-line block ×5, first 2 shown]
	v_sub_u32_e32 v30, v17, v16
	v_mov_b32_e32 v31, 0x100
	v_min_i32_e32 v20, v36, v20
	v_min_i32_e32 v22, v38, v22
	v_min_i32_e32 v24, v40, v24
	v_min_i32_e32 v26, v42, v26
	v_min_i32_e32 v28, v44, v28
	v_min_i32_e32 v30, v46, v30
	v_sub_u32_e64 v32, v34, v31 clamp
	v_min_i32_e32 v33, 0x100, v34
	v_add_u32_e32 v35, v2, v36
	v_lshlrev_b32_e32 v36, 2, v36
	v_add_u32_e32 v37, v5, v38
	v_lshlrev_b32_e32 v38, 2, v38
	;; [unrolled: 2-line block ×6, first 2 shown]
	v_lshlrev_b32_e32 v47, 4, v0
	v_cmp_lt_i32_e32 vcc, v19, v20
	v_cmp_lt_i32_e64 s[0:1], v21, v22
	v_cmp_lt_i32_e64 s[2:3], v23, v24
	;; [unrolled: 1-line block ×6, first 2 shown]
	v_add_u32_e32 v34, 0x100, v34
	v_lshl_add_u32 v36, v2, 2, v36
	v_lshl_add_u32 v38, v5, 2, v38
	;; [unrolled: 1-line block ×6, first 2 shown]
	s_movk_i32 s26, 0x200
	v_lshlrev_b32_e32 v48, 2, v1
	v_lshlrev_b32_e32 v49, 2, v4
	;; [unrolled: 1-line block ×6, first 2 shown]
	v_add_u32_e32 v54, 0x400, v47
	s_branch .LBB16_2
.LBB16_1:                               ;   in Loop: Header=BB16_2 Depth=1
	s_or_b64 exec, exec, s[18:19]
	v_cndmask_b32_e64 v56, v55, v56, s[12:13]
	v_cndmask_b32_e64 v57, v57, v58, s[14:15]
	;; [unrolled: 1-line block ×3, first 2 shown]
	v_cmp_ge_i32_e64 s[14:15], v64, v31
	s_waitcnt lgkmcnt(0)
	v_cmp_lt_i32_e64 s[16:17], v65, v62
	v_cmp_gt_i32_e64 s[12:13], s26, v61
	s_or_b64 s[14:15], s[14:15], s[16:17]
	s_and_b64 s[12:13], s[12:13], s[14:15]
	s_add_i32 s27, s27, 1
	s_cmp_eq_u32 s27, 10
	v_cndmask_b32_e64 v58, v62, v65, s[12:13]
	s_cbranch_scc1 .LBB16_114
.LBB16_2:                               ; =>This Loop Header: Depth=1
                                        ;     Child Loop BB16_4 Depth 2
                                        ;     Child Loop BB16_20 Depth 2
	;; [unrolled: 1-line block ×7, first 2 shown]
	s_waitcnt vmcnt(2)
	v_cmp_lt_i32_e64 s[12:13], v57, v56
	v_cndmask_b32_e64 v59, v56, v57, s[12:13]
	v_cndmask_b32_e64 v60, v57, v56, s[12:13]
	s_waitcnt vmcnt(0)
	v_cmp_lt_i32_e64 s[12:13], v58, v55
	v_min_i32_e32 v61, v57, v56
	v_max_i32_e32 v56, v57, v56
	v_cndmask_b32_e64 v57, v58, v55, s[12:13]
	v_cndmask_b32_e64 v62, v55, v58, s[12:13]
	v_max_i32_e32 v63, v58, v55
	v_min_i32_e32 v55, v58, v55
	v_cmp_lt_i32_e64 s[12:13], v55, v56
	v_cndmask_b32_e64 v58, v62, v56, s[12:13]
	v_cndmask_b32_e64 v60, v60, v55, s[12:13]
	v_min_i32_e32 v64, v55, v56
	v_cmp_lt_i32_e64 s[12:13], v55, v61
	v_max_i32_e32 v62, v55, v56
	v_cndmask_b32_e64 v55, v59, v64, s[12:13]
	v_cndmask_b32_e64 v59, v60, v61, s[12:13]
	;; [unrolled: 1-line block ×3, first 2 shown]
	v_cmp_gt_i32_e64 s[12:13], v56, v63
	v_cndmask_b32_e64 v56, v57, v62, s[12:13]
	v_cndmask_b32_e64 v57, v58, v63, s[12:13]
	v_cndmask_b32_e64 v58, v62, v63, s[12:13]
	v_cmp_lt_i32_e64 s[12:13], v58, v60
	v_cndmask_b32_e64 v57, v57, v60, s[12:13]
	v_cndmask_b32_e64 v58, v59, v58, s[12:13]
	s_barrier
	ds_write2_b32 v47, v55, v58 offset1:1
	ds_write2_b32 v47, v57, v56 offset0:2 offset1:3
	v_mov_b32_e32 v57, v19
	s_waitcnt lgkmcnt(0)
	s_barrier
	s_and_saveexec_b64 s[14:15], vcc
	s_cbranch_execz .LBB16_6
; %bb.3:                                ;   in Loop: Header=BB16_2 Depth=1
	s_mov_b64 s[16:17], 0
	v_mov_b32_e32 v57, v19
	v_mov_b32_e32 v55, v20
.LBB16_4:                               ;   Parent Loop BB16_2 Depth=1
                                        ; =>  This Inner Loop Header: Depth=2
	v_sub_u32_e32 v56, v55, v57
	v_lshrrev_b32_e32 v56, 1, v56
	v_add_u32_e32 v56, v56, v57
	v_not_b32_e32 v59, v56
	v_lshl_add_u32 v58, v56, 2, v48
	v_lshl_add_u32 v59, v59, 2, v36
	ds_read_b32 v58, v58
	ds_read_b32 v59, v59
	v_add_u32_e32 v60, 1, v56
	s_waitcnt lgkmcnt(0)
	v_cmp_lt_i32_e64 s[12:13], v59, v58
	v_cndmask_b32_e64 v55, v55, v56, s[12:13]
	v_cndmask_b32_e64 v57, v60, v57, s[12:13]
	v_cmp_ge_i32_e64 s[12:13], v57, v55
	s_or_b64 s[16:17], s[12:13], s[16:17]
	s_andn2_b64 exec, exec, s[16:17]
	s_cbranch_execnz .LBB16_4
; %bb.5:                                ;   in Loop: Header=BB16_2 Depth=1
	s_or_b64 exec, exec, s[16:17]
.LBB16_6:                               ;   in Loop: Header=BB16_2 Depth=1
	s_or_b64 exec, exec, s[14:15]
	v_sub_u32_e32 v59, v35, v57
	v_lshl_add_u32 v58, v57, 2, v48
	v_lshlrev_b32_e32 v61, 2, v59
	ds_read_b32 v55, v58
	ds_read_b32 v56, v61
	v_add_u32_e32 v60, v57, v1
	v_cmp_le_i32_e64 s[14:15], v2, v60
	v_cmp_gt_i32_e64 s[12:13], v3, v59
                                        ; implicit-def: $vgpr57
	s_waitcnt lgkmcnt(0)
	v_cmp_lt_i32_e64 s[16:17], v56, v55
	s_or_b64 s[14:15], s[14:15], s[16:17]
	s_and_b64 s[12:13], s[12:13], s[14:15]
	s_xor_b64 s[14:15], s[12:13], -1
	s_and_saveexec_b64 s[16:17], s[14:15]
	s_xor_b64 s[14:15], exec, s[16:17]
; %bb.7:                                ;   in Loop: Header=BB16_2 Depth=1
	ds_read_b32 v57, v58 offset:4
                                        ; implicit-def: $vgpr61
; %bb.8:                                ;   in Loop: Header=BB16_2 Depth=1
	s_or_saveexec_b64 s[14:15], s[14:15]
	v_mov_b32_e32 v58, v56
	s_xor_b64 exec, exec, s[14:15]
	s_cbranch_execz .LBB16_10
; %bb.9:                                ;   in Loop: Header=BB16_2 Depth=1
	ds_read_b32 v58, v61 offset:4
	s_waitcnt lgkmcnt(1)
	v_mov_b32_e32 v57, v55
.LBB16_10:                              ;   in Loop: Header=BB16_2 Depth=1
	s_or_b64 exec, exec, s[14:15]
	v_add_u32_e32 v62, 1, v60
	v_add_u32_e32 v61, 1, v59
	v_cndmask_b32_e64 v62, v62, v60, s[12:13]
	v_cndmask_b32_e64 v61, v59, v61, s[12:13]
	v_cmp_ge_i32_e64 s[16:17], v62, v2
	s_waitcnt lgkmcnt(0)
	v_cmp_lt_i32_e64 s[18:19], v58, v57
	v_cmp_lt_i32_e64 s[14:15], v61, v3
	s_or_b64 s[16:17], s[16:17], s[18:19]
	s_and_b64 s[14:15], s[14:15], s[16:17]
	s_xor_b64 s[16:17], s[14:15], -1
                                        ; implicit-def: $vgpr59
	s_and_saveexec_b64 s[18:19], s[16:17]
	s_xor_b64 s[16:17], exec, s[18:19]
; %bb.11:                               ;   in Loop: Header=BB16_2 Depth=1
	v_lshlrev_b32_e32 v59, 2, v62
	ds_read_b32 v59, v59 offset:4
; %bb.12:                               ;   in Loop: Header=BB16_2 Depth=1
	s_or_saveexec_b64 s[16:17], s[16:17]
	v_mov_b32_e32 v60, v58
	s_xor_b64 exec, exec, s[16:17]
	s_cbranch_execz .LBB16_14
; %bb.13:                               ;   in Loop: Header=BB16_2 Depth=1
	s_waitcnt lgkmcnt(0)
	v_lshlrev_b32_e32 v59, 2, v61
	ds_read_b32 v60, v59 offset:4
	v_mov_b32_e32 v59, v57
.LBB16_14:                              ;   in Loop: Header=BB16_2 Depth=1
	s_or_b64 exec, exec, s[16:17]
	v_add_u32_e32 v64, 1, v62
	v_add_u32_e32 v63, 1, v61
	v_cndmask_b32_e64 v62, v64, v62, s[14:15]
	v_cndmask_b32_e64 v61, v61, v63, s[14:15]
	v_cmp_ge_i32_e64 s[18:19], v62, v2
	s_waitcnt lgkmcnt(0)
	v_cmp_lt_i32_e64 s[20:21], v60, v59
	v_cmp_lt_i32_e64 s[16:17], v61, v3
	s_or_b64 s[18:19], s[18:19], s[20:21]
	s_and_b64 s[16:17], s[16:17], s[18:19]
	s_xor_b64 s[18:19], s[16:17], -1
                                        ; implicit-def: $vgpr63
	s_and_saveexec_b64 s[20:21], s[18:19]
	s_xor_b64 s[18:19], exec, s[20:21]
; %bb.15:                               ;   in Loop: Header=BB16_2 Depth=1
	v_lshlrev_b32_e32 v63, 2, v62
	ds_read_b32 v63, v63 offset:4
; %bb.16:                               ;   in Loop: Header=BB16_2 Depth=1
	s_or_saveexec_b64 s[18:19], s[18:19]
	v_mov_b32_e32 v64, v60
	s_xor_b64 exec, exec, s[18:19]
	s_cbranch_execz .LBB16_18
; %bb.17:                               ;   in Loop: Header=BB16_2 Depth=1
	s_waitcnt lgkmcnt(0)
	v_lshlrev_b32_e32 v63, 2, v61
	ds_read_b32 v64, v63 offset:4
	v_mov_b32_e32 v63, v59
.LBB16_18:                              ;   in Loop: Header=BB16_2 Depth=1
	s_or_b64 exec, exec, s[18:19]
	v_cndmask_b32_e64 v59, v59, v60, s[16:17]
	v_add_u32_e32 v60, 1, v61
	v_add_u32_e32 v65, 1, v62
	v_cndmask_b32_e64 v60, v61, v60, s[16:17]
	v_cndmask_b32_e64 v61, v65, v62, s[16:17]
	v_cndmask_b32_e64 v57, v57, v58, s[14:15]
	v_cmp_ge_i32_e64 s[14:15], v61, v2
	s_waitcnt lgkmcnt(0)
	v_cmp_lt_i32_e64 s[16:17], v64, v63
	v_cndmask_b32_e64 v55, v55, v56, s[12:13]
	v_cmp_lt_i32_e64 s[12:13], v60, v3
	s_or_b64 s[14:15], s[14:15], s[16:17]
	s_and_b64 s[12:13], s[12:13], s[14:15]
	v_cndmask_b32_e64 v56, v63, v64, s[12:13]
	s_barrier
	ds_write2_b32 v47, v55, v57 offset1:1
	ds_write2_b32 v47, v59, v56 offset0:2 offset1:3
	v_mov_b32_e32 v57, v21
	s_waitcnt lgkmcnt(0)
	s_barrier
	s_and_saveexec_b64 s[14:15], s[0:1]
	s_cbranch_execz .LBB16_22
; %bb.19:                               ;   in Loop: Header=BB16_2 Depth=1
	s_mov_b64 s[16:17], 0
	v_mov_b32_e32 v57, v21
	v_mov_b32_e32 v55, v22
.LBB16_20:                              ;   Parent Loop BB16_2 Depth=1
                                        ; =>  This Inner Loop Header: Depth=2
	v_sub_u32_e32 v56, v55, v57
	v_lshrrev_b32_e32 v56, 1, v56
	v_add_u32_e32 v56, v56, v57
	v_not_b32_e32 v59, v56
	v_lshl_add_u32 v58, v56, 2, v49
	v_lshl_add_u32 v59, v59, 2, v38
	ds_read_b32 v58, v58
	ds_read_b32 v59, v59
	v_add_u32_e32 v60, 1, v56
	s_waitcnt lgkmcnt(0)
	v_cmp_lt_i32_e64 s[12:13], v59, v58
	v_cndmask_b32_e64 v55, v55, v56, s[12:13]
	v_cndmask_b32_e64 v57, v60, v57, s[12:13]
	v_cmp_ge_i32_e64 s[12:13], v57, v55
	s_or_b64 s[16:17], s[12:13], s[16:17]
	s_andn2_b64 exec, exec, s[16:17]
	s_cbranch_execnz .LBB16_20
; %bb.21:                               ;   in Loop: Header=BB16_2 Depth=1
	s_or_b64 exec, exec, s[16:17]
.LBB16_22:                              ;   in Loop: Header=BB16_2 Depth=1
	s_or_b64 exec, exec, s[14:15]
	v_sub_u32_e32 v59, v37, v57
	v_lshl_add_u32 v58, v57, 2, v49
	v_lshlrev_b32_e32 v61, 2, v59
	ds_read_b32 v55, v58
	ds_read_b32 v56, v61
	v_add_u32_e32 v60, v57, v4
	v_cmp_le_i32_e64 s[14:15], v5, v60
	v_cmp_gt_i32_e64 s[12:13], v6, v59
                                        ; implicit-def: $vgpr57
	s_waitcnt lgkmcnt(0)
	v_cmp_lt_i32_e64 s[16:17], v56, v55
	s_or_b64 s[14:15], s[14:15], s[16:17]
	s_and_b64 s[12:13], s[12:13], s[14:15]
	s_xor_b64 s[14:15], s[12:13], -1
	s_and_saveexec_b64 s[16:17], s[14:15]
	s_xor_b64 s[14:15], exec, s[16:17]
; %bb.23:                               ;   in Loop: Header=BB16_2 Depth=1
	ds_read_b32 v57, v58 offset:4
                                        ; implicit-def: $vgpr61
; %bb.24:                               ;   in Loop: Header=BB16_2 Depth=1
	s_or_saveexec_b64 s[14:15], s[14:15]
	v_mov_b32_e32 v58, v56
	s_xor_b64 exec, exec, s[14:15]
	s_cbranch_execz .LBB16_26
; %bb.25:                               ;   in Loop: Header=BB16_2 Depth=1
	ds_read_b32 v58, v61 offset:4
	s_waitcnt lgkmcnt(1)
	v_mov_b32_e32 v57, v55
.LBB16_26:                              ;   in Loop: Header=BB16_2 Depth=1
	s_or_b64 exec, exec, s[14:15]
	v_add_u32_e32 v62, 1, v60
	v_add_u32_e32 v61, 1, v59
	v_cndmask_b32_e64 v62, v62, v60, s[12:13]
	v_cndmask_b32_e64 v61, v59, v61, s[12:13]
	v_cmp_ge_i32_e64 s[16:17], v62, v5
	s_waitcnt lgkmcnt(0)
	v_cmp_lt_i32_e64 s[18:19], v58, v57
	v_cmp_lt_i32_e64 s[14:15], v61, v6
	s_or_b64 s[16:17], s[16:17], s[18:19]
	s_and_b64 s[14:15], s[14:15], s[16:17]
	s_xor_b64 s[16:17], s[14:15], -1
                                        ; implicit-def: $vgpr59
	s_and_saveexec_b64 s[18:19], s[16:17]
	s_xor_b64 s[16:17], exec, s[18:19]
; %bb.27:                               ;   in Loop: Header=BB16_2 Depth=1
	v_lshlrev_b32_e32 v59, 2, v62
	ds_read_b32 v59, v59 offset:4
; %bb.28:                               ;   in Loop: Header=BB16_2 Depth=1
	s_or_saveexec_b64 s[16:17], s[16:17]
	v_mov_b32_e32 v60, v58
	s_xor_b64 exec, exec, s[16:17]
	s_cbranch_execz .LBB16_30
; %bb.29:                               ;   in Loop: Header=BB16_2 Depth=1
	s_waitcnt lgkmcnt(0)
	v_lshlrev_b32_e32 v59, 2, v61
	ds_read_b32 v60, v59 offset:4
	v_mov_b32_e32 v59, v57
.LBB16_30:                              ;   in Loop: Header=BB16_2 Depth=1
	s_or_b64 exec, exec, s[16:17]
	v_add_u32_e32 v64, 1, v62
	v_add_u32_e32 v63, 1, v61
	v_cndmask_b32_e64 v62, v64, v62, s[14:15]
	v_cndmask_b32_e64 v61, v61, v63, s[14:15]
	v_cmp_ge_i32_e64 s[18:19], v62, v5
	s_waitcnt lgkmcnt(0)
	v_cmp_lt_i32_e64 s[20:21], v60, v59
	v_cmp_lt_i32_e64 s[16:17], v61, v6
	s_or_b64 s[18:19], s[18:19], s[20:21]
	s_and_b64 s[16:17], s[16:17], s[18:19]
	s_xor_b64 s[18:19], s[16:17], -1
                                        ; implicit-def: $vgpr63
	s_and_saveexec_b64 s[20:21], s[18:19]
	s_xor_b64 s[18:19], exec, s[20:21]
; %bb.31:                               ;   in Loop: Header=BB16_2 Depth=1
	v_lshlrev_b32_e32 v63, 2, v62
	ds_read_b32 v63, v63 offset:4
; %bb.32:                               ;   in Loop: Header=BB16_2 Depth=1
	s_or_saveexec_b64 s[18:19], s[18:19]
	v_mov_b32_e32 v64, v60
	s_xor_b64 exec, exec, s[18:19]
	s_cbranch_execz .LBB16_34
; %bb.33:                               ;   in Loop: Header=BB16_2 Depth=1
	s_waitcnt lgkmcnt(0)
	v_lshlrev_b32_e32 v63, 2, v61
	ds_read_b32 v64, v63 offset:4
	v_mov_b32_e32 v63, v59
.LBB16_34:                              ;   in Loop: Header=BB16_2 Depth=1
	s_or_b64 exec, exec, s[18:19]
	v_cndmask_b32_e64 v59, v59, v60, s[16:17]
	v_add_u32_e32 v60, 1, v61
	v_add_u32_e32 v65, 1, v62
	v_cndmask_b32_e64 v60, v61, v60, s[16:17]
	v_cndmask_b32_e64 v61, v65, v62, s[16:17]
	;; [unrolled: 1-line block ×3, first 2 shown]
	v_cmp_ge_i32_e64 s[14:15], v61, v5
	s_waitcnt lgkmcnt(0)
	v_cmp_lt_i32_e64 s[16:17], v64, v63
	v_cndmask_b32_e64 v55, v55, v56, s[12:13]
	v_cmp_lt_i32_e64 s[12:13], v60, v6
	s_or_b64 s[14:15], s[14:15], s[16:17]
	s_and_b64 s[12:13], s[12:13], s[14:15]
	v_cndmask_b32_e64 v56, v63, v64, s[12:13]
	s_barrier
	ds_write2_b32 v47, v55, v57 offset1:1
	ds_write2_b32 v47, v59, v56 offset0:2 offset1:3
	v_mov_b32_e32 v57, v23
	s_waitcnt lgkmcnt(0)
	s_barrier
	s_and_saveexec_b64 s[14:15], s[2:3]
	s_cbranch_execz .LBB16_38
; %bb.35:                               ;   in Loop: Header=BB16_2 Depth=1
	s_mov_b64 s[16:17], 0
	v_mov_b32_e32 v57, v23
	v_mov_b32_e32 v55, v24
.LBB16_36:                              ;   Parent Loop BB16_2 Depth=1
                                        ; =>  This Inner Loop Header: Depth=2
	v_sub_u32_e32 v56, v55, v57
	v_lshrrev_b32_e32 v56, 1, v56
	v_add_u32_e32 v56, v56, v57
	v_not_b32_e32 v59, v56
	v_lshl_add_u32 v58, v56, 2, v50
	v_lshl_add_u32 v59, v59, 2, v40
	ds_read_b32 v58, v58
	ds_read_b32 v59, v59
	v_add_u32_e32 v60, 1, v56
	s_waitcnt lgkmcnt(0)
	v_cmp_lt_i32_e64 s[12:13], v59, v58
	v_cndmask_b32_e64 v55, v55, v56, s[12:13]
	v_cndmask_b32_e64 v57, v60, v57, s[12:13]
	v_cmp_ge_i32_e64 s[12:13], v57, v55
	s_or_b64 s[16:17], s[12:13], s[16:17]
	s_andn2_b64 exec, exec, s[16:17]
	s_cbranch_execnz .LBB16_36
; %bb.37:                               ;   in Loop: Header=BB16_2 Depth=1
	s_or_b64 exec, exec, s[16:17]
.LBB16_38:                              ;   in Loop: Header=BB16_2 Depth=1
	s_or_b64 exec, exec, s[14:15]
	v_sub_u32_e32 v59, v39, v57
	v_lshl_add_u32 v58, v57, 2, v50
	v_lshlrev_b32_e32 v61, 2, v59
	ds_read_b32 v55, v58
	ds_read_b32 v56, v61
	v_add_u32_e32 v60, v57, v7
	v_cmp_le_i32_e64 s[14:15], v8, v60
	v_cmp_gt_i32_e64 s[12:13], v9, v59
                                        ; implicit-def: $vgpr57
	s_waitcnt lgkmcnt(0)
	v_cmp_lt_i32_e64 s[16:17], v56, v55
	s_or_b64 s[14:15], s[14:15], s[16:17]
	s_and_b64 s[12:13], s[12:13], s[14:15]
	s_xor_b64 s[14:15], s[12:13], -1
	s_and_saveexec_b64 s[16:17], s[14:15]
	s_xor_b64 s[14:15], exec, s[16:17]
; %bb.39:                               ;   in Loop: Header=BB16_2 Depth=1
	ds_read_b32 v57, v58 offset:4
                                        ; implicit-def: $vgpr61
; %bb.40:                               ;   in Loop: Header=BB16_2 Depth=1
	s_or_saveexec_b64 s[14:15], s[14:15]
	v_mov_b32_e32 v58, v56
	s_xor_b64 exec, exec, s[14:15]
	s_cbranch_execz .LBB16_42
; %bb.41:                               ;   in Loop: Header=BB16_2 Depth=1
	ds_read_b32 v58, v61 offset:4
	s_waitcnt lgkmcnt(1)
	v_mov_b32_e32 v57, v55
.LBB16_42:                              ;   in Loop: Header=BB16_2 Depth=1
	s_or_b64 exec, exec, s[14:15]
	v_add_u32_e32 v62, 1, v60
	v_add_u32_e32 v61, 1, v59
	v_cndmask_b32_e64 v62, v62, v60, s[12:13]
	v_cndmask_b32_e64 v61, v59, v61, s[12:13]
	v_cmp_ge_i32_e64 s[16:17], v62, v8
	s_waitcnt lgkmcnt(0)
	v_cmp_lt_i32_e64 s[18:19], v58, v57
	v_cmp_lt_i32_e64 s[14:15], v61, v9
	s_or_b64 s[16:17], s[16:17], s[18:19]
	s_and_b64 s[14:15], s[14:15], s[16:17]
	s_xor_b64 s[16:17], s[14:15], -1
                                        ; implicit-def: $vgpr59
	s_and_saveexec_b64 s[18:19], s[16:17]
	s_xor_b64 s[16:17], exec, s[18:19]
; %bb.43:                               ;   in Loop: Header=BB16_2 Depth=1
	v_lshlrev_b32_e32 v59, 2, v62
	ds_read_b32 v59, v59 offset:4
; %bb.44:                               ;   in Loop: Header=BB16_2 Depth=1
	s_or_saveexec_b64 s[16:17], s[16:17]
	v_mov_b32_e32 v60, v58
	s_xor_b64 exec, exec, s[16:17]
	s_cbranch_execz .LBB16_46
; %bb.45:                               ;   in Loop: Header=BB16_2 Depth=1
	s_waitcnt lgkmcnt(0)
	v_lshlrev_b32_e32 v59, 2, v61
	ds_read_b32 v60, v59 offset:4
	v_mov_b32_e32 v59, v57
.LBB16_46:                              ;   in Loop: Header=BB16_2 Depth=1
	s_or_b64 exec, exec, s[16:17]
	v_add_u32_e32 v64, 1, v62
	v_add_u32_e32 v63, 1, v61
	v_cndmask_b32_e64 v62, v64, v62, s[14:15]
	v_cndmask_b32_e64 v61, v61, v63, s[14:15]
	v_cmp_ge_i32_e64 s[18:19], v62, v8
	s_waitcnt lgkmcnt(0)
	v_cmp_lt_i32_e64 s[20:21], v60, v59
	v_cmp_lt_i32_e64 s[16:17], v61, v9
	s_or_b64 s[18:19], s[18:19], s[20:21]
	s_and_b64 s[16:17], s[16:17], s[18:19]
	s_xor_b64 s[18:19], s[16:17], -1
                                        ; implicit-def: $vgpr63
	s_and_saveexec_b64 s[20:21], s[18:19]
	s_xor_b64 s[18:19], exec, s[20:21]
; %bb.47:                               ;   in Loop: Header=BB16_2 Depth=1
	v_lshlrev_b32_e32 v63, 2, v62
	ds_read_b32 v63, v63 offset:4
; %bb.48:                               ;   in Loop: Header=BB16_2 Depth=1
	s_or_saveexec_b64 s[18:19], s[18:19]
	v_mov_b32_e32 v64, v60
	s_xor_b64 exec, exec, s[18:19]
	s_cbranch_execz .LBB16_50
; %bb.49:                               ;   in Loop: Header=BB16_2 Depth=1
	s_waitcnt lgkmcnt(0)
	v_lshlrev_b32_e32 v63, 2, v61
	ds_read_b32 v64, v63 offset:4
	v_mov_b32_e32 v63, v59
.LBB16_50:                              ;   in Loop: Header=BB16_2 Depth=1
	s_or_b64 exec, exec, s[18:19]
	v_cndmask_b32_e64 v59, v59, v60, s[16:17]
	v_add_u32_e32 v60, 1, v61
	v_add_u32_e32 v65, 1, v62
	v_cndmask_b32_e64 v60, v61, v60, s[16:17]
	v_cndmask_b32_e64 v61, v65, v62, s[16:17]
	;; [unrolled: 1-line block ×3, first 2 shown]
	v_cmp_ge_i32_e64 s[14:15], v61, v8
	s_waitcnt lgkmcnt(0)
	v_cmp_lt_i32_e64 s[16:17], v64, v63
	v_cndmask_b32_e64 v55, v55, v56, s[12:13]
	v_cmp_lt_i32_e64 s[12:13], v60, v9
	s_or_b64 s[14:15], s[14:15], s[16:17]
	s_and_b64 s[12:13], s[12:13], s[14:15]
	v_cndmask_b32_e64 v56, v63, v64, s[12:13]
	s_barrier
	ds_write2_b32 v47, v55, v57 offset1:1
	ds_write2_b32 v47, v59, v56 offset0:2 offset1:3
	v_mov_b32_e32 v57, v25
	s_waitcnt lgkmcnt(0)
	s_barrier
	s_and_saveexec_b64 s[14:15], s[4:5]
	s_cbranch_execz .LBB16_54
; %bb.51:                               ;   in Loop: Header=BB16_2 Depth=1
	s_mov_b64 s[16:17], 0
	v_mov_b32_e32 v57, v25
	v_mov_b32_e32 v55, v26
.LBB16_52:                              ;   Parent Loop BB16_2 Depth=1
                                        ; =>  This Inner Loop Header: Depth=2
	v_sub_u32_e32 v56, v55, v57
	v_lshrrev_b32_e32 v56, 1, v56
	v_add_u32_e32 v56, v56, v57
	v_not_b32_e32 v59, v56
	v_lshl_add_u32 v58, v56, 2, v51
	v_lshl_add_u32 v59, v59, 2, v42
	ds_read_b32 v58, v58
	ds_read_b32 v59, v59
	v_add_u32_e32 v60, 1, v56
	s_waitcnt lgkmcnt(0)
	v_cmp_lt_i32_e64 s[12:13], v59, v58
	v_cndmask_b32_e64 v55, v55, v56, s[12:13]
	v_cndmask_b32_e64 v57, v60, v57, s[12:13]
	v_cmp_ge_i32_e64 s[12:13], v57, v55
	s_or_b64 s[16:17], s[12:13], s[16:17]
	s_andn2_b64 exec, exec, s[16:17]
	s_cbranch_execnz .LBB16_52
; %bb.53:                               ;   in Loop: Header=BB16_2 Depth=1
	s_or_b64 exec, exec, s[16:17]
.LBB16_54:                              ;   in Loop: Header=BB16_2 Depth=1
	s_or_b64 exec, exec, s[14:15]
	v_sub_u32_e32 v59, v41, v57
	v_lshl_add_u32 v58, v57, 2, v51
	v_lshlrev_b32_e32 v61, 2, v59
	ds_read_b32 v55, v58
	ds_read_b32 v56, v61
	v_add_u32_e32 v60, v57, v10
	v_cmp_le_i32_e64 s[14:15], v11, v60
	v_cmp_gt_i32_e64 s[12:13], v12, v59
                                        ; implicit-def: $vgpr57
	s_waitcnt lgkmcnt(0)
	v_cmp_lt_i32_e64 s[16:17], v56, v55
	s_or_b64 s[14:15], s[14:15], s[16:17]
	s_and_b64 s[12:13], s[12:13], s[14:15]
	s_xor_b64 s[14:15], s[12:13], -1
	s_and_saveexec_b64 s[16:17], s[14:15]
	s_xor_b64 s[14:15], exec, s[16:17]
; %bb.55:                               ;   in Loop: Header=BB16_2 Depth=1
	ds_read_b32 v57, v58 offset:4
                                        ; implicit-def: $vgpr61
; %bb.56:                               ;   in Loop: Header=BB16_2 Depth=1
	s_or_saveexec_b64 s[14:15], s[14:15]
	v_mov_b32_e32 v58, v56
	s_xor_b64 exec, exec, s[14:15]
	s_cbranch_execz .LBB16_58
; %bb.57:                               ;   in Loop: Header=BB16_2 Depth=1
	ds_read_b32 v58, v61 offset:4
	s_waitcnt lgkmcnt(1)
	v_mov_b32_e32 v57, v55
.LBB16_58:                              ;   in Loop: Header=BB16_2 Depth=1
	s_or_b64 exec, exec, s[14:15]
	v_add_u32_e32 v62, 1, v60
	v_add_u32_e32 v61, 1, v59
	v_cndmask_b32_e64 v62, v62, v60, s[12:13]
	v_cndmask_b32_e64 v61, v59, v61, s[12:13]
	v_cmp_ge_i32_e64 s[16:17], v62, v11
	s_waitcnt lgkmcnt(0)
	v_cmp_lt_i32_e64 s[18:19], v58, v57
	v_cmp_lt_i32_e64 s[14:15], v61, v12
	s_or_b64 s[16:17], s[16:17], s[18:19]
	s_and_b64 s[14:15], s[14:15], s[16:17]
	s_xor_b64 s[16:17], s[14:15], -1
                                        ; implicit-def: $vgpr59
	s_and_saveexec_b64 s[18:19], s[16:17]
	s_xor_b64 s[16:17], exec, s[18:19]
; %bb.59:                               ;   in Loop: Header=BB16_2 Depth=1
	v_lshlrev_b32_e32 v59, 2, v62
	ds_read_b32 v59, v59 offset:4
; %bb.60:                               ;   in Loop: Header=BB16_2 Depth=1
	s_or_saveexec_b64 s[16:17], s[16:17]
	v_mov_b32_e32 v60, v58
	s_xor_b64 exec, exec, s[16:17]
	s_cbranch_execz .LBB16_62
; %bb.61:                               ;   in Loop: Header=BB16_2 Depth=1
	s_waitcnt lgkmcnt(0)
	v_lshlrev_b32_e32 v59, 2, v61
	ds_read_b32 v60, v59 offset:4
	v_mov_b32_e32 v59, v57
.LBB16_62:                              ;   in Loop: Header=BB16_2 Depth=1
	s_or_b64 exec, exec, s[16:17]
	v_add_u32_e32 v64, 1, v62
	v_add_u32_e32 v63, 1, v61
	v_cndmask_b32_e64 v62, v64, v62, s[14:15]
	v_cndmask_b32_e64 v61, v61, v63, s[14:15]
	v_cmp_ge_i32_e64 s[18:19], v62, v11
	s_waitcnt lgkmcnt(0)
	v_cmp_lt_i32_e64 s[20:21], v60, v59
	v_cmp_lt_i32_e64 s[16:17], v61, v12
	s_or_b64 s[18:19], s[18:19], s[20:21]
	s_and_b64 s[16:17], s[16:17], s[18:19]
	s_xor_b64 s[18:19], s[16:17], -1
                                        ; implicit-def: $vgpr63
	s_and_saveexec_b64 s[20:21], s[18:19]
	s_xor_b64 s[18:19], exec, s[20:21]
; %bb.63:                               ;   in Loop: Header=BB16_2 Depth=1
	v_lshlrev_b32_e32 v63, 2, v62
	ds_read_b32 v63, v63 offset:4
; %bb.64:                               ;   in Loop: Header=BB16_2 Depth=1
	s_or_saveexec_b64 s[18:19], s[18:19]
	v_mov_b32_e32 v64, v60
	s_xor_b64 exec, exec, s[18:19]
	s_cbranch_execz .LBB16_66
; %bb.65:                               ;   in Loop: Header=BB16_2 Depth=1
	s_waitcnt lgkmcnt(0)
	v_lshlrev_b32_e32 v63, 2, v61
	ds_read_b32 v64, v63 offset:4
	v_mov_b32_e32 v63, v59
.LBB16_66:                              ;   in Loop: Header=BB16_2 Depth=1
	s_or_b64 exec, exec, s[18:19]
	v_cndmask_b32_e64 v59, v59, v60, s[16:17]
	v_add_u32_e32 v60, 1, v61
	v_add_u32_e32 v65, 1, v62
	v_cndmask_b32_e64 v60, v61, v60, s[16:17]
	v_cndmask_b32_e64 v61, v65, v62, s[16:17]
	;; [unrolled: 1-line block ×3, first 2 shown]
	v_cmp_ge_i32_e64 s[14:15], v61, v11
	s_waitcnt lgkmcnt(0)
	v_cmp_lt_i32_e64 s[16:17], v64, v63
	v_cndmask_b32_e64 v55, v55, v56, s[12:13]
	v_cmp_lt_i32_e64 s[12:13], v60, v12
	s_or_b64 s[14:15], s[14:15], s[16:17]
	s_and_b64 s[12:13], s[12:13], s[14:15]
	v_cndmask_b32_e64 v56, v63, v64, s[12:13]
	s_barrier
	ds_write2_b32 v47, v55, v57 offset1:1
	ds_write2_b32 v47, v59, v56 offset0:2 offset1:3
	v_mov_b32_e32 v57, v27
	s_waitcnt lgkmcnt(0)
	s_barrier
	s_and_saveexec_b64 s[14:15], s[6:7]
	s_cbranch_execz .LBB16_70
; %bb.67:                               ;   in Loop: Header=BB16_2 Depth=1
	s_mov_b64 s[16:17], 0
	v_mov_b32_e32 v57, v27
	v_mov_b32_e32 v55, v28
.LBB16_68:                              ;   Parent Loop BB16_2 Depth=1
                                        ; =>  This Inner Loop Header: Depth=2
	v_sub_u32_e32 v56, v55, v57
	v_lshrrev_b32_e32 v56, 1, v56
	v_add_u32_e32 v56, v56, v57
	v_not_b32_e32 v59, v56
	v_lshl_add_u32 v58, v56, 2, v52
	v_lshl_add_u32 v59, v59, 2, v44
	ds_read_b32 v58, v58
	ds_read_b32 v59, v59
	v_add_u32_e32 v60, 1, v56
	s_waitcnt lgkmcnt(0)
	v_cmp_lt_i32_e64 s[12:13], v59, v58
	v_cndmask_b32_e64 v55, v55, v56, s[12:13]
	v_cndmask_b32_e64 v57, v60, v57, s[12:13]
	v_cmp_ge_i32_e64 s[12:13], v57, v55
	s_or_b64 s[16:17], s[12:13], s[16:17]
	s_andn2_b64 exec, exec, s[16:17]
	s_cbranch_execnz .LBB16_68
; %bb.69:                               ;   in Loop: Header=BB16_2 Depth=1
	s_or_b64 exec, exec, s[16:17]
.LBB16_70:                              ;   in Loop: Header=BB16_2 Depth=1
	s_or_b64 exec, exec, s[14:15]
	v_sub_u32_e32 v59, v43, v57
	v_lshl_add_u32 v58, v57, 2, v52
	v_lshlrev_b32_e32 v61, 2, v59
	ds_read_b32 v55, v58
	ds_read_b32 v56, v61
	v_add_u32_e32 v60, v57, v13
	v_cmp_le_i32_e64 s[14:15], v14, v60
	v_cmp_gt_i32_e64 s[12:13], v15, v59
                                        ; implicit-def: $vgpr57
	s_waitcnt lgkmcnt(0)
	v_cmp_lt_i32_e64 s[16:17], v56, v55
	s_or_b64 s[14:15], s[14:15], s[16:17]
	s_and_b64 s[12:13], s[12:13], s[14:15]
	s_xor_b64 s[14:15], s[12:13], -1
	s_and_saveexec_b64 s[16:17], s[14:15]
	s_xor_b64 s[14:15], exec, s[16:17]
; %bb.71:                               ;   in Loop: Header=BB16_2 Depth=1
	ds_read_b32 v57, v58 offset:4
                                        ; implicit-def: $vgpr61
; %bb.72:                               ;   in Loop: Header=BB16_2 Depth=1
	s_or_saveexec_b64 s[14:15], s[14:15]
	v_mov_b32_e32 v58, v56
	s_xor_b64 exec, exec, s[14:15]
	s_cbranch_execz .LBB16_74
; %bb.73:                               ;   in Loop: Header=BB16_2 Depth=1
	ds_read_b32 v58, v61 offset:4
	s_waitcnt lgkmcnt(1)
	v_mov_b32_e32 v57, v55
.LBB16_74:                              ;   in Loop: Header=BB16_2 Depth=1
	s_or_b64 exec, exec, s[14:15]
	v_add_u32_e32 v62, 1, v60
	v_add_u32_e32 v61, 1, v59
	v_cndmask_b32_e64 v62, v62, v60, s[12:13]
	v_cndmask_b32_e64 v61, v59, v61, s[12:13]
	v_cmp_ge_i32_e64 s[16:17], v62, v14
	s_waitcnt lgkmcnt(0)
	v_cmp_lt_i32_e64 s[18:19], v58, v57
	v_cmp_lt_i32_e64 s[14:15], v61, v15
	s_or_b64 s[16:17], s[16:17], s[18:19]
	s_and_b64 s[14:15], s[14:15], s[16:17]
	s_xor_b64 s[16:17], s[14:15], -1
                                        ; implicit-def: $vgpr59
	s_and_saveexec_b64 s[18:19], s[16:17]
	s_xor_b64 s[16:17], exec, s[18:19]
; %bb.75:                               ;   in Loop: Header=BB16_2 Depth=1
	v_lshlrev_b32_e32 v59, 2, v62
	ds_read_b32 v59, v59 offset:4
; %bb.76:                               ;   in Loop: Header=BB16_2 Depth=1
	s_or_saveexec_b64 s[16:17], s[16:17]
	v_mov_b32_e32 v60, v58
	s_xor_b64 exec, exec, s[16:17]
	s_cbranch_execz .LBB16_78
; %bb.77:                               ;   in Loop: Header=BB16_2 Depth=1
	s_waitcnt lgkmcnt(0)
	v_lshlrev_b32_e32 v59, 2, v61
	ds_read_b32 v60, v59 offset:4
	v_mov_b32_e32 v59, v57
.LBB16_78:                              ;   in Loop: Header=BB16_2 Depth=1
	s_or_b64 exec, exec, s[16:17]
	v_add_u32_e32 v64, 1, v62
	v_add_u32_e32 v63, 1, v61
	v_cndmask_b32_e64 v62, v64, v62, s[14:15]
	v_cndmask_b32_e64 v61, v61, v63, s[14:15]
	v_cmp_ge_i32_e64 s[18:19], v62, v14
	s_waitcnt lgkmcnt(0)
	v_cmp_lt_i32_e64 s[20:21], v60, v59
	v_cmp_lt_i32_e64 s[16:17], v61, v15
	s_or_b64 s[18:19], s[18:19], s[20:21]
	s_and_b64 s[16:17], s[16:17], s[18:19]
	s_xor_b64 s[18:19], s[16:17], -1
                                        ; implicit-def: $vgpr63
	s_and_saveexec_b64 s[20:21], s[18:19]
	s_xor_b64 s[18:19], exec, s[20:21]
; %bb.79:                               ;   in Loop: Header=BB16_2 Depth=1
	v_lshlrev_b32_e32 v63, 2, v62
	ds_read_b32 v63, v63 offset:4
; %bb.80:                               ;   in Loop: Header=BB16_2 Depth=1
	s_or_saveexec_b64 s[18:19], s[18:19]
	v_mov_b32_e32 v64, v60
	s_xor_b64 exec, exec, s[18:19]
	s_cbranch_execz .LBB16_82
; %bb.81:                               ;   in Loop: Header=BB16_2 Depth=1
	s_waitcnt lgkmcnt(0)
	v_lshlrev_b32_e32 v63, 2, v61
	ds_read_b32 v64, v63 offset:4
	v_mov_b32_e32 v63, v59
.LBB16_82:                              ;   in Loop: Header=BB16_2 Depth=1
	s_or_b64 exec, exec, s[18:19]
	v_cndmask_b32_e64 v59, v59, v60, s[16:17]
	v_add_u32_e32 v60, 1, v61
	v_add_u32_e32 v65, 1, v62
	v_cndmask_b32_e64 v60, v61, v60, s[16:17]
	v_cndmask_b32_e64 v61, v65, v62, s[16:17]
	;; [unrolled: 1-line block ×3, first 2 shown]
	v_cmp_ge_i32_e64 s[14:15], v61, v14
	s_waitcnt lgkmcnt(0)
	v_cmp_lt_i32_e64 s[16:17], v64, v63
	v_cndmask_b32_e64 v55, v55, v56, s[12:13]
	v_cmp_lt_i32_e64 s[12:13], v60, v15
	s_or_b64 s[14:15], s[14:15], s[16:17]
	s_and_b64 s[12:13], s[12:13], s[14:15]
	v_cndmask_b32_e64 v56, v63, v64, s[12:13]
	s_barrier
	ds_write2_b32 v47, v55, v57 offset1:1
	ds_write2_b32 v47, v59, v56 offset0:2 offset1:3
	v_mov_b32_e32 v57, v29
	s_waitcnt lgkmcnt(0)
	s_barrier
	s_and_saveexec_b64 s[14:15], s[8:9]
	s_cbranch_execz .LBB16_86
; %bb.83:                               ;   in Loop: Header=BB16_2 Depth=1
	s_mov_b64 s[16:17], 0
	v_mov_b32_e32 v57, v29
	v_mov_b32_e32 v55, v30
.LBB16_84:                              ;   Parent Loop BB16_2 Depth=1
                                        ; =>  This Inner Loop Header: Depth=2
	v_sub_u32_e32 v56, v55, v57
	v_lshrrev_b32_e32 v56, 1, v56
	v_add_u32_e32 v56, v56, v57
	v_not_b32_e32 v59, v56
	v_lshl_add_u32 v58, v56, 2, v53
	v_lshl_add_u32 v59, v59, 2, v46
	ds_read_b32 v58, v58
	ds_read_b32 v59, v59
	v_add_u32_e32 v60, 1, v56
	s_waitcnt lgkmcnt(0)
	v_cmp_lt_i32_e64 s[12:13], v59, v58
	v_cndmask_b32_e64 v55, v55, v56, s[12:13]
	v_cndmask_b32_e64 v57, v60, v57, s[12:13]
	v_cmp_ge_i32_e64 s[12:13], v57, v55
	s_or_b64 s[16:17], s[12:13], s[16:17]
	s_andn2_b64 exec, exec, s[16:17]
	s_cbranch_execnz .LBB16_84
; %bb.85:                               ;   in Loop: Header=BB16_2 Depth=1
	s_or_b64 exec, exec, s[16:17]
.LBB16_86:                              ;   in Loop: Header=BB16_2 Depth=1
	s_or_b64 exec, exec, s[14:15]
	v_sub_u32_e32 v59, v45, v57
	v_lshl_add_u32 v58, v57, 2, v53
	v_lshlrev_b32_e32 v61, 2, v59
	ds_read_b32 v55, v58
	ds_read_b32 v56, v61
	v_add_u32_e32 v60, v57, v16
	v_cmp_le_i32_e64 s[14:15], v17, v60
	v_cmp_gt_i32_e64 s[12:13], v18, v59
                                        ; implicit-def: $vgpr57
	s_waitcnt lgkmcnt(0)
	v_cmp_lt_i32_e64 s[16:17], v56, v55
	s_or_b64 s[14:15], s[14:15], s[16:17]
	s_and_b64 s[12:13], s[12:13], s[14:15]
	s_xor_b64 s[14:15], s[12:13], -1
	s_and_saveexec_b64 s[16:17], s[14:15]
	s_xor_b64 s[14:15], exec, s[16:17]
; %bb.87:                               ;   in Loop: Header=BB16_2 Depth=1
	ds_read_b32 v57, v58 offset:4
                                        ; implicit-def: $vgpr61
; %bb.88:                               ;   in Loop: Header=BB16_2 Depth=1
	s_or_saveexec_b64 s[14:15], s[14:15]
	v_mov_b32_e32 v58, v56
	s_xor_b64 exec, exec, s[14:15]
	s_cbranch_execz .LBB16_90
; %bb.89:                               ;   in Loop: Header=BB16_2 Depth=1
	ds_read_b32 v58, v61 offset:4
	s_waitcnt lgkmcnt(1)
	v_mov_b32_e32 v57, v55
.LBB16_90:                              ;   in Loop: Header=BB16_2 Depth=1
	s_or_b64 exec, exec, s[14:15]
	v_add_u32_e32 v62, 1, v60
	v_add_u32_e32 v61, 1, v59
	v_cndmask_b32_e64 v62, v62, v60, s[12:13]
	v_cndmask_b32_e64 v61, v59, v61, s[12:13]
	v_cmp_ge_i32_e64 s[16:17], v62, v17
	s_waitcnt lgkmcnt(0)
	v_cmp_lt_i32_e64 s[18:19], v58, v57
	v_cmp_lt_i32_e64 s[14:15], v61, v18
	s_or_b64 s[16:17], s[16:17], s[18:19]
	s_and_b64 s[14:15], s[14:15], s[16:17]
	s_xor_b64 s[16:17], s[14:15], -1
                                        ; implicit-def: $vgpr59
	s_and_saveexec_b64 s[18:19], s[16:17]
	s_xor_b64 s[16:17], exec, s[18:19]
; %bb.91:                               ;   in Loop: Header=BB16_2 Depth=1
	v_lshlrev_b32_e32 v59, 2, v62
	ds_read_b32 v59, v59 offset:4
; %bb.92:                               ;   in Loop: Header=BB16_2 Depth=1
	s_or_saveexec_b64 s[16:17], s[16:17]
	v_mov_b32_e32 v60, v58
	s_xor_b64 exec, exec, s[16:17]
	s_cbranch_execz .LBB16_94
; %bb.93:                               ;   in Loop: Header=BB16_2 Depth=1
	s_waitcnt lgkmcnt(0)
	v_lshlrev_b32_e32 v59, 2, v61
	ds_read_b32 v60, v59 offset:4
	v_mov_b32_e32 v59, v57
.LBB16_94:                              ;   in Loop: Header=BB16_2 Depth=1
	s_or_b64 exec, exec, s[16:17]
	v_add_u32_e32 v64, 1, v62
	v_add_u32_e32 v63, 1, v61
	v_cndmask_b32_e64 v62, v64, v62, s[14:15]
	v_cndmask_b32_e64 v61, v61, v63, s[14:15]
	v_cmp_ge_i32_e64 s[18:19], v62, v17
	s_waitcnt lgkmcnt(0)
	v_cmp_lt_i32_e64 s[20:21], v60, v59
	v_cmp_lt_i32_e64 s[16:17], v61, v18
	s_or_b64 s[18:19], s[18:19], s[20:21]
	s_and_b64 s[16:17], s[16:17], s[18:19]
	s_xor_b64 s[18:19], s[16:17], -1
                                        ; implicit-def: $vgpr63
	s_and_saveexec_b64 s[20:21], s[18:19]
	s_xor_b64 s[18:19], exec, s[20:21]
; %bb.95:                               ;   in Loop: Header=BB16_2 Depth=1
	v_lshlrev_b32_e32 v63, 2, v62
	ds_read_b32 v63, v63 offset:4
; %bb.96:                               ;   in Loop: Header=BB16_2 Depth=1
	s_or_saveexec_b64 s[18:19], s[18:19]
	v_mov_b32_e32 v64, v60
	s_xor_b64 exec, exec, s[18:19]
	s_cbranch_execz .LBB16_98
; %bb.97:                               ;   in Loop: Header=BB16_2 Depth=1
	s_waitcnt lgkmcnt(0)
	v_lshlrev_b32_e32 v63, 2, v61
	ds_read_b32 v64, v63 offset:4
	v_mov_b32_e32 v63, v59
.LBB16_98:                              ;   in Loop: Header=BB16_2 Depth=1
	s_or_b64 exec, exec, s[18:19]
	v_cndmask_b32_e64 v59, v59, v60, s[16:17]
	v_add_u32_e32 v60, 1, v61
	v_add_u32_e32 v65, 1, v62
	v_cndmask_b32_e64 v60, v61, v60, s[16:17]
	v_cndmask_b32_e64 v61, v65, v62, s[16:17]
	;; [unrolled: 1-line block ×3, first 2 shown]
	v_cmp_ge_i32_e64 s[14:15], v61, v17
	s_waitcnt lgkmcnt(0)
	v_cmp_lt_i32_e64 s[16:17], v64, v63
	v_cndmask_b32_e64 v55, v55, v56, s[12:13]
	v_cmp_lt_i32_e64 s[12:13], v60, v18
	s_or_b64 s[14:15], s[14:15], s[16:17]
	s_and_b64 s[12:13], s[12:13], s[14:15]
	v_cndmask_b32_e64 v56, v63, v64, s[12:13]
	s_barrier
	ds_write2_b32 v47, v55, v57 offset1:1
	ds_write2_b32 v47, v59, v56 offset0:2 offset1:3
	v_mov_b32_e32 v59, v32
	s_waitcnt lgkmcnt(0)
	s_barrier
	s_and_saveexec_b64 s[14:15], s[10:11]
	s_cbranch_execz .LBB16_102
; %bb.99:                               ;   in Loop: Header=BB16_2 Depth=1
	s_mov_b64 s[16:17], 0
	v_mov_b32_e32 v59, v32
	v_mov_b32_e32 v55, v33
.LBB16_100:                             ;   Parent Loop BB16_2 Depth=1
                                        ; =>  This Inner Loop Header: Depth=2
	v_sub_u32_e32 v56, v55, v59
	v_lshrrev_b32_e32 v56, 1, v56
	v_add_u32_e32 v56, v56, v59
	v_not_b32_e32 v58, v56
	v_lshlrev_b32_e32 v57, 2, v56
	v_lshl_add_u32 v58, v58, 2, v54
	ds_read_b32 v57, v57
	ds_read_b32 v58, v58
	v_add_u32_e32 v60, 1, v56
	s_waitcnt lgkmcnt(0)
	v_cmp_lt_i32_e64 s[12:13], v58, v57
	v_cndmask_b32_e64 v55, v55, v56, s[12:13]
	v_cndmask_b32_e64 v59, v60, v59, s[12:13]
	v_cmp_ge_i32_e64 s[12:13], v59, v55
	s_or_b64 s[16:17], s[12:13], s[16:17]
	s_andn2_b64 exec, exec, s[16:17]
	s_cbranch_execnz .LBB16_100
; %bb.101:                              ;   in Loop: Header=BB16_2 Depth=1
	s_or_b64 exec, exec, s[16:17]
.LBB16_102:                             ;   in Loop: Header=BB16_2 Depth=1
	s_or_b64 exec, exec, s[14:15]
	v_sub_u32_e32 v60, v34, v59
	v_lshlrev_b32_e32 v58, 2, v59
	v_lshlrev_b32_e32 v61, 2, v60
	ds_read_b32 v55, v58
	ds_read_b32 v56, v61
	v_cmp_le_i32_e64 s[14:15], v31, v59
	v_cmp_gt_i32_e64 s[12:13], s26, v60
                                        ; implicit-def: $vgpr57
	s_waitcnt lgkmcnt(0)
	v_cmp_lt_i32_e64 s[16:17], v56, v55
	s_or_b64 s[14:15], s[14:15], s[16:17]
	s_and_b64 s[12:13], s[12:13], s[14:15]
	s_xor_b64 s[14:15], s[12:13], -1
	s_and_saveexec_b64 s[16:17], s[14:15]
	s_xor_b64 s[14:15], exec, s[16:17]
; %bb.103:                              ;   in Loop: Header=BB16_2 Depth=1
	ds_read_b32 v57, v58 offset:4
                                        ; implicit-def: $vgpr61
; %bb.104:                              ;   in Loop: Header=BB16_2 Depth=1
	s_or_saveexec_b64 s[14:15], s[14:15]
	v_mov_b32_e32 v58, v56
	s_xor_b64 exec, exec, s[14:15]
	s_cbranch_execz .LBB16_106
; %bb.105:                              ;   in Loop: Header=BB16_2 Depth=1
	ds_read_b32 v58, v61 offset:4
	s_waitcnt lgkmcnt(1)
	v_mov_b32_e32 v57, v55
.LBB16_106:                             ;   in Loop: Header=BB16_2 Depth=1
	s_or_b64 exec, exec, s[14:15]
	v_add_u32_e32 v62, 1, v59
	v_add_u32_e32 v61, 1, v60
	v_cndmask_b32_e64 v62, v62, v59, s[12:13]
	v_cndmask_b32_e64 v61, v60, v61, s[12:13]
	v_cmp_ge_i32_e64 s[16:17], v62, v31
	s_waitcnt lgkmcnt(0)
	v_cmp_lt_i32_e64 s[18:19], v58, v57
	v_cmp_gt_i32_e64 s[14:15], s26, v61
	s_or_b64 s[16:17], s[16:17], s[18:19]
	s_and_b64 s[14:15], s[14:15], s[16:17]
	s_xor_b64 s[16:17], s[14:15], -1
                                        ; implicit-def: $vgpr59
	s_and_saveexec_b64 s[18:19], s[16:17]
	s_xor_b64 s[16:17], exec, s[18:19]
; %bb.107:                              ;   in Loop: Header=BB16_2 Depth=1
	v_lshlrev_b32_e32 v59, 2, v62
	ds_read_b32 v59, v59 offset:4
; %bb.108:                              ;   in Loop: Header=BB16_2 Depth=1
	s_or_saveexec_b64 s[16:17], s[16:17]
	v_mov_b32_e32 v60, v58
	s_xor_b64 exec, exec, s[16:17]
	s_cbranch_execz .LBB16_110
; %bb.109:                              ;   in Loop: Header=BB16_2 Depth=1
	s_waitcnt lgkmcnt(0)
	v_lshlrev_b32_e32 v59, 2, v61
	ds_read_b32 v60, v59 offset:4
	v_mov_b32_e32 v59, v57
.LBB16_110:                             ;   in Loop: Header=BB16_2 Depth=1
	s_or_b64 exec, exec, s[16:17]
	v_add_u32_e32 v63, 1, v61
	v_add_u32_e32 v64, 1, v62
	v_cndmask_b32_e64 v61, v61, v63, s[14:15]
	v_cndmask_b32_e64 v63, v64, v62, s[14:15]
	v_cmp_ge_i32_e64 s[18:19], v63, v31
	s_waitcnt lgkmcnt(0)
	v_cmp_lt_i32_e64 s[20:21], v60, v59
	v_cmp_gt_i32_e64 s[16:17], s26, v61
	s_or_b64 s[18:19], s[18:19], s[20:21]
	s_and_b64 s[16:17], s[16:17], s[18:19]
	s_xor_b64 s[18:19], s[16:17], -1
                                        ; implicit-def: $vgpr62
                                        ; implicit-def: $vgpr64
	s_and_saveexec_b64 s[20:21], s[18:19]
	s_xor_b64 s[18:19], exec, s[20:21]
; %bb.111:                              ;   in Loop: Header=BB16_2 Depth=1
	v_lshlrev_b32_e32 v62, 2, v63
	ds_read_b32 v62, v62 offset:4
	v_add_u32_e32 v64, 1, v63
                                        ; implicit-def: $vgpr63
; %bb.112:                              ;   in Loop: Header=BB16_2 Depth=1
	s_or_saveexec_b64 s[18:19], s[18:19]
	v_mov_b32_e32 v65, v60
	s_xor_b64 exec, exec, s[18:19]
	s_cbranch_execz .LBB16_1
; %bb.113:                              ;   in Loop: Header=BB16_2 Depth=1
	s_waitcnt lgkmcnt(0)
	v_lshlrev_b32_e32 v62, 2, v61
	ds_read_b32 v65, v62 offset:4
	v_add_u32_e32 v61, 1, v61
	v_mov_b32_e32 v64, v63
	v_mov_b32_e32 v62, v59
	s_branch .LBB16_1
.LBB16_114:
	s_add_u32 s0, s22, s24
	s_addc_u32 s1, s23, s25
	v_lshlrev_b32_e32 v0, 2, v0
	global_store_dword v0, v56, s[0:1]
	global_store_dword v0, v57, s[0:1] offset:512
	global_store_dword v0, v55, s[0:1] offset:1024
	;; [unrolled: 1-line block ×3, first 2 shown]
	s_endpgm
	.section	.rodata,"a",@progbits
	.p2align	6, 0x0
	.amdhsa_kernel _Z16sort_keys_kernelIiLj128ELj4EN10test_utils4lessELj10EEvPKT_PS2_T2_
		.amdhsa_group_segment_fixed_size 2052
		.amdhsa_private_segment_fixed_size 0
		.amdhsa_kernarg_size 20
		.amdhsa_user_sgpr_count 6
		.amdhsa_user_sgpr_private_segment_buffer 1
		.amdhsa_user_sgpr_dispatch_ptr 0
		.amdhsa_user_sgpr_queue_ptr 0
		.amdhsa_user_sgpr_kernarg_segment_ptr 1
		.amdhsa_user_sgpr_dispatch_id 0
		.amdhsa_user_sgpr_flat_scratch_init 0
		.amdhsa_user_sgpr_private_segment_size 0
		.amdhsa_uses_dynamic_stack 0
		.amdhsa_system_sgpr_private_segment_wavefront_offset 0
		.amdhsa_system_sgpr_workgroup_id_x 1
		.amdhsa_system_sgpr_workgroup_id_y 0
		.amdhsa_system_sgpr_workgroup_id_z 0
		.amdhsa_system_sgpr_workgroup_info 0
		.amdhsa_system_vgpr_workitem_id 0
		.amdhsa_next_free_vgpr 66
		.amdhsa_next_free_sgpr 61
		.amdhsa_reserve_vcc 1
		.amdhsa_reserve_flat_scratch 0
		.amdhsa_float_round_mode_32 0
		.amdhsa_float_round_mode_16_64 0
		.amdhsa_float_denorm_mode_32 3
		.amdhsa_float_denorm_mode_16_64 3
		.amdhsa_dx10_clamp 1
		.amdhsa_ieee_mode 1
		.amdhsa_fp16_overflow 0
		.amdhsa_exception_fp_ieee_invalid_op 0
		.amdhsa_exception_fp_denorm_src 0
		.amdhsa_exception_fp_ieee_div_zero 0
		.amdhsa_exception_fp_ieee_overflow 0
		.amdhsa_exception_fp_ieee_underflow 0
		.amdhsa_exception_fp_ieee_inexact 0
		.amdhsa_exception_int_div_zero 0
	.end_amdhsa_kernel
	.section	.text._Z16sort_keys_kernelIiLj128ELj4EN10test_utils4lessELj10EEvPKT_PS2_T2_,"axG",@progbits,_Z16sort_keys_kernelIiLj128ELj4EN10test_utils4lessELj10EEvPKT_PS2_T2_,comdat
.Lfunc_end16:
	.size	_Z16sort_keys_kernelIiLj128ELj4EN10test_utils4lessELj10EEvPKT_PS2_T2_, .Lfunc_end16-_Z16sort_keys_kernelIiLj128ELj4EN10test_utils4lessELj10EEvPKT_PS2_T2_
                                        ; -- End function
	.set _Z16sort_keys_kernelIiLj128ELj4EN10test_utils4lessELj10EEvPKT_PS2_T2_.num_vgpr, 66
	.set _Z16sort_keys_kernelIiLj128ELj4EN10test_utils4lessELj10EEvPKT_PS2_T2_.num_agpr, 0
	.set _Z16sort_keys_kernelIiLj128ELj4EN10test_utils4lessELj10EEvPKT_PS2_T2_.numbered_sgpr, 28
	.set _Z16sort_keys_kernelIiLj128ELj4EN10test_utils4lessELj10EEvPKT_PS2_T2_.num_named_barrier, 0
	.set _Z16sort_keys_kernelIiLj128ELj4EN10test_utils4lessELj10EEvPKT_PS2_T2_.private_seg_size, 0
	.set _Z16sort_keys_kernelIiLj128ELj4EN10test_utils4lessELj10EEvPKT_PS2_T2_.uses_vcc, 1
	.set _Z16sort_keys_kernelIiLj128ELj4EN10test_utils4lessELj10EEvPKT_PS2_T2_.uses_flat_scratch, 0
	.set _Z16sort_keys_kernelIiLj128ELj4EN10test_utils4lessELj10EEvPKT_PS2_T2_.has_dyn_sized_stack, 0
	.set _Z16sort_keys_kernelIiLj128ELj4EN10test_utils4lessELj10EEvPKT_PS2_T2_.has_recursion, 0
	.set _Z16sort_keys_kernelIiLj128ELj4EN10test_utils4lessELj10EEvPKT_PS2_T2_.has_indirect_call, 0
	.section	.AMDGPU.csdata,"",@progbits
; Kernel info:
; codeLenInByte = 5244
; TotalNumSgprs: 32
; NumVgprs: 66
; ScratchSize: 0
; MemoryBound: 0
; FloatMode: 240
; IeeeMode: 1
; LDSByteSize: 2052 bytes/workgroup (compile time only)
; SGPRBlocks: 8
; VGPRBlocks: 16
; NumSGPRsForWavesPerEU: 65
; NumVGPRsForWavesPerEU: 66
; Occupancy: 3
; WaveLimiterHint : 1
; COMPUTE_PGM_RSRC2:SCRATCH_EN: 0
; COMPUTE_PGM_RSRC2:USER_SGPR: 6
; COMPUTE_PGM_RSRC2:TRAP_HANDLER: 0
; COMPUTE_PGM_RSRC2:TGID_X_EN: 1
; COMPUTE_PGM_RSRC2:TGID_Y_EN: 0
; COMPUTE_PGM_RSRC2:TGID_Z_EN: 0
; COMPUTE_PGM_RSRC2:TIDIG_COMP_CNT: 0
	.section	.text._Z17sort_pairs_kernelIiLj128ELj4EN10test_utils4lessELj10EEvPKT_PS2_T2_,"axG",@progbits,_Z17sort_pairs_kernelIiLj128ELj4EN10test_utils4lessELj10EEvPKT_PS2_T2_,comdat
	.protected	_Z17sort_pairs_kernelIiLj128ELj4EN10test_utils4lessELj10EEvPKT_PS2_T2_ ; -- Begin function _Z17sort_pairs_kernelIiLj128ELj4EN10test_utils4lessELj10EEvPKT_PS2_T2_
	.globl	_Z17sort_pairs_kernelIiLj128ELj4EN10test_utils4lessELj10EEvPKT_PS2_T2_
	.p2align	8
	.type	_Z17sort_pairs_kernelIiLj128ELj4EN10test_utils4lessELj10EEvPKT_PS2_T2_,@function
_Z17sort_pairs_kernelIiLj128ELj4EN10test_utils4lessELj10EEvPKT_PS2_T2_: ; @_Z17sort_pairs_kernelIiLj128ELj4EN10test_utils4lessELj10EEvPKT_PS2_T2_
; %bb.0:
	s_load_dwordx4 s[36:39], s[4:5], 0x0
	s_lshl_b32 s42, s6, 9
	s_mov_b32 s43, 0
	s_lshl_b64 s[40:41], s[42:43], 2
	v_lshlrev_b32_e32 v34, 2, v0
	s_waitcnt lgkmcnt(0)
	s_add_u32 s0, s36, s40
	s_addc_u32 s1, s37, s41
	global_load_dword v60, v34, s[0:1]
	global_load_dword v62, v34, s[0:1] offset:512
	global_load_dword v61, v34, s[0:1] offset:1024
	;; [unrolled: 1-line block ×3, first 2 shown]
	v_and_b32_e32 v1, 0x1f8, v34
	v_and_b32_e32 v4, 0x1f0, v34
	;; [unrolled: 1-line block ×6, first 2 shown]
	v_or_b32_e32 v2, 4, v1
	v_add_u32_e32 v3, 8, v1
	v_or_b32_e32 v5, 8, v4
	v_add_u32_e32 v6, 16, v4
	;; [unrolled: 2-line block ×6, first 2 shown]
	v_and_b32_e32 v36, 4, v34
	v_sub_u32_e32 v19, v3, v2
	v_and_b32_e32 v38, 12, v34
	v_sub_u32_e32 v21, v6, v5
	v_and_b32_e32 v40, 28, v34
	v_sub_u32_e32 v23, v9, v8
	v_and_b32_e32 v42, 60, v34
	v_sub_u32_e32 v25, v12, v11
	v_and_b32_e32 v44, 0x7c, v34
	v_sub_u32_e32 v27, v15, v14
	v_and_b32_e32 v46, 0xfc, v34
	v_sub_u32_e32 v29, v18, v17
	v_sub_u32_e32 v20, v36, v19
	v_sub_u32_e32 v22, v38, v21
	;; [unrolled: 1-line block ×6, first 2 shown]
	v_cmp_ge_i32_e32 vcc, v36, v19
	v_cmp_ge_i32_e64 s[0:1], v38, v21
	v_cmp_ge_i32_e64 s[2:3], v40, v23
	v_cmp_ge_i32_e64 s[4:5], v42, v25
	v_cmp_ge_i32_e64 s[6:7], v44, v27
	v_cmp_ge_i32_e64 s[8:9], v46, v29
	v_cndmask_b32_e32 v19, 0, v20, vcc
	v_sub_u32_e32 v20, v2, v1
	v_cndmask_b32_e64 v21, 0, v22, s[0:1]
	v_sub_u32_e32 v22, v5, v4
	v_cndmask_b32_e64 v23, 0, v24, s[2:3]
	;; [unrolled: 2-line block ×5, first 2 shown]
	v_sub_u32_e32 v30, v17, v16
	v_mov_b32_e32 v31, 0x100
	v_min_i32_e32 v20, v36, v20
	v_min_i32_e32 v22, v38, v22
	;; [unrolled: 1-line block ×6, first 2 shown]
	v_sub_u32_e64 v32, v34, v31 clamp
	v_min_i32_e32 v33, 0x100, v34
	v_add_u32_e32 v35, v2, v36
	v_lshlrev_b32_e32 v36, 2, v36
	v_add_u32_e32 v37, v5, v38
	v_lshlrev_b32_e32 v38, 2, v38
	;; [unrolled: 2-line block ×6, first 2 shown]
	v_lshlrev_b32_e32 v47, 4, v0
	v_cmp_lt_i32_e32 vcc, v19, v20
	v_cmp_lt_i32_e64 s[0:1], v21, v22
	v_cmp_lt_i32_e64 s[2:3], v23, v24
	;; [unrolled: 1-line block ×6, first 2 shown]
	v_add_u32_e32 v34, 0x100, v34
	v_lshl_add_u32 v36, v2, 2, v36
	v_lshl_add_u32 v38, v5, 2, v38
	;; [unrolled: 1-line block ×6, first 2 shown]
	s_movk_i32 s33, 0x200
	s_waitcnt vmcnt(3)
	v_add_u32_e32 v55, 1, v60
	s_waitcnt vmcnt(2)
	v_add_u32_e32 v57, 1, v62
	;; [unrolled: 2-line block ×4, first 2 shown]
	v_lshlrev_b32_e32 v48, 2, v1
	v_lshlrev_b32_e32 v49, 2, v4
	;; [unrolled: 1-line block ×6, first 2 shown]
	v_add_u32_e32 v54, 0x400, v47
	s_branch .LBB17_2
.LBB17_1:                               ;   in Loop: Header=BB17_2 Depth=1
	s_or_b64 exec, exec, s[18:19]
	v_cmp_ge_i32_e64 s[18:19], v71, v31
	s_waitcnt lgkmcnt(0)
	v_cmp_lt_i32_e64 s[20:21], v74, v72
	v_cndmask_b32_e64 v60, v60, v64, s[12:13]
	v_cndmask_b32_e64 v62, v59, v62, s[12:13]
	v_cmp_gt_i32_e64 s[12:13], s33, v69
	s_or_b64 s[18:19], s[18:19], s[20:21]
	v_cndmask_b32_e64 v64, v68, v67, s[14:15]
	s_and_b64 s[12:13], s[12:13], s[18:19]
	v_cndmask_b32_e64 v67, v71, v69, s[12:13]
	s_barrier
	ds_write2_b32 v47, v55, v56 offset1:1
	ds_write2_b32 v47, v57, v58 offset0:2 offset1:3
	v_lshlrev_b32_e32 v55, 2, v62
	v_lshlrev_b32_e32 v56, 2, v64
	;; [unrolled: 1-line block ×3, first 2 shown]
	s_waitcnt lgkmcnt(0)
	s_barrier
	v_lshlrev_b32_e32 v62, 2, v67
	ds_read_b32 v55, v55
	ds_read_b32 v57, v56
	;; [unrolled: 1-line block ×4, first 2 shown]
	s_add_i32 s43, s43, 1
	v_cndmask_b32_e64 v59, v72, v74, s[12:13]
	v_cndmask_b32_e64 v62, v61, v63, s[14:15]
	s_cmp_eq_u32 s43, 10
	v_cndmask_b32_e64 v61, v65, v66, s[16:17]
	s_cbranch_scc1 .LBB17_114
.LBB17_2:                               ; =>This Loop Header: Depth=1
                                        ;     Child Loop BB17_4 Depth 2
                                        ;     Child Loop BB17_20 Depth 2
	;; [unrolled: 1-line block ×7, first 2 shown]
	v_cmp_lt_i32_e64 s[12:13], v62, v60
	v_cmp_lt_i32_e64 s[14:15], v59, v61
	v_cndmask_b32_e64 v63, v60, v62, s[12:13]
	v_cndmask_b32_e64 v60, v62, v60, s[12:13]
	v_cndmask_b32_e64 v62, v59, v61, s[14:15]
	v_cndmask_b32_e64 v64, v61, v59, s[14:15]
	v_min_i32_e32 v59, v59, v61
	v_cmp_lt_i32_e64 s[16:17], v59, v60
	v_cndmask_b32_e64 v61, v64, v60, s[16:17]
	v_cndmask_b32_e64 v64, v60, v59, s[16:17]
	v_min_i32_e32 v59, v59, v60
	v_cmp_lt_i32_e64 s[18:19], v59, v63
	v_cmp_lt_i32_e64 s[20:21], v62, v61
	v_cndmask_b32_e64 v59, v63, v59, s[18:19]
	v_cndmask_b32_e64 v60, v64, v63, s[18:19]
	;; [unrolled: 1-line block ×4, first 2 shown]
	v_min_i32_e32 v61, v62, v61
	v_cmp_lt_i32_e64 s[22:23], v61, v60
	v_cndmask_b32_e64 v62, v64, v60, s[22:23]
	v_cndmask_b32_e64 v60, v60, v61, s[22:23]
	v_mov_b32_e32 v61, v19
	s_waitcnt lgkmcnt(0)
	s_barrier
	ds_write2_b32 v47, v59, v60 offset1:1
	ds_write2_b32 v47, v62, v63 offset0:2 offset1:3
	s_waitcnt lgkmcnt(0)
	s_barrier
	s_and_saveexec_b64 s[26:27], vcc
	s_cbranch_execz .LBB17_6
; %bb.3:                                ;   in Loop: Header=BB17_2 Depth=1
	s_mov_b64 s[28:29], 0
	v_mov_b32_e32 v61, v19
	v_mov_b32_e32 v59, v20
.LBB17_4:                               ;   Parent Loop BB17_2 Depth=1
                                        ; =>  This Inner Loop Header: Depth=2
	v_sub_u32_e32 v60, v59, v61
	v_lshrrev_b32_e32 v60, 1, v60
	v_add_u32_e32 v60, v60, v61
	v_not_b32_e32 v63, v60
	v_lshl_add_u32 v62, v60, 2, v48
	v_lshl_add_u32 v63, v63, 2, v36
	ds_read_b32 v62, v62
	ds_read_b32 v63, v63
	v_add_u32_e32 v64, 1, v60
	s_waitcnt lgkmcnt(0)
	v_cmp_lt_i32_e64 s[24:25], v63, v62
	v_cndmask_b32_e64 v59, v59, v60, s[24:25]
	v_cndmask_b32_e64 v61, v64, v61, s[24:25]
	v_cmp_ge_i32_e64 s[24:25], v61, v59
	s_or_b64 s[28:29], s[24:25], s[28:29]
	s_andn2_b64 exec, exec, s[28:29]
	s_cbranch_execnz .LBB17_4
; %bb.5:                                ;   in Loop: Header=BB17_2 Depth=1
	s_or_b64 exec, exec, s[28:29]
.LBB17_6:                               ;   in Loop: Header=BB17_2 Depth=1
	s_or_b64 exec, exec, s[26:27]
	v_sub_u32_e32 v59, v35, v61
	v_lshl_add_u32 v64, v61, 2, v48
	v_lshlrev_b32_e32 v65, 2, v59
	ds_read_b32 v60, v64
	ds_read_b32 v62, v65
	v_add_u32_e32 v61, v61, v1
	v_cmp_le_i32_e64 s[26:27], v2, v61
	v_cmp_gt_i32_e64 s[24:25], v3, v59
                                        ; implicit-def: $vgpr63
	s_waitcnt lgkmcnt(0)
	v_cmp_lt_i32_e64 s[28:29], v62, v60
	s_or_b64 s[26:27], s[26:27], s[28:29]
	s_and_b64 s[24:25], s[24:25], s[26:27]
	s_xor_b64 s[26:27], s[24:25], -1
	s_and_saveexec_b64 s[28:29], s[26:27]
	s_xor_b64 s[26:27], exec, s[28:29]
; %bb.7:                                ;   in Loop: Header=BB17_2 Depth=1
	ds_read_b32 v63, v64 offset:4
                                        ; implicit-def: $vgpr65
; %bb.8:                                ;   in Loop: Header=BB17_2 Depth=1
	s_or_saveexec_b64 s[26:27], s[26:27]
	v_mov_b32_e32 v64, v62
	s_xor_b64 exec, exec, s[26:27]
	s_cbranch_execz .LBB17_10
; %bb.9:                                ;   in Loop: Header=BB17_2 Depth=1
	ds_read_b32 v64, v65 offset:4
	s_waitcnt lgkmcnt(1)
	v_mov_b32_e32 v63, v60
.LBB17_10:                              ;   in Loop: Header=BB17_2 Depth=1
	s_or_b64 exec, exec, s[26:27]
	v_add_u32_e32 v66, 1, v61
	v_add_u32_e32 v65, 1, v59
	v_cndmask_b32_e64 v66, v66, v61, s[24:25]
	v_cndmask_b32_e64 v65, v59, v65, s[24:25]
	v_cmp_ge_i32_e64 s[28:29], v66, v2
	s_waitcnt lgkmcnt(0)
	v_cmp_lt_i32_e64 s[30:31], v64, v63
	v_cmp_lt_i32_e64 s[26:27], v65, v3
	s_or_b64 s[28:29], s[28:29], s[30:31]
	s_and_b64 s[26:27], s[26:27], s[28:29]
	s_xor_b64 s[28:29], s[26:27], -1
                                        ; implicit-def: $vgpr67
	s_and_saveexec_b64 s[30:31], s[28:29]
	s_xor_b64 s[28:29], exec, s[30:31]
; %bb.11:                               ;   in Loop: Header=BB17_2 Depth=1
	v_lshlrev_b32_e32 v67, 2, v66
	ds_read_b32 v67, v67 offset:4
; %bb.12:                               ;   in Loop: Header=BB17_2 Depth=1
	s_or_saveexec_b64 s[28:29], s[28:29]
	v_mov_b32_e32 v69, v64
	s_xor_b64 exec, exec, s[28:29]
	s_cbranch_execz .LBB17_14
; %bb.13:                               ;   in Loop: Header=BB17_2 Depth=1
	s_waitcnt lgkmcnt(0)
	v_lshlrev_b32_e32 v67, 2, v65
	ds_read_b32 v69, v67 offset:4
	v_mov_b32_e32 v67, v63
.LBB17_14:                              ;   in Loop: Header=BB17_2 Depth=1
	s_or_b64 exec, exec, s[28:29]
	v_add_u32_e32 v71, 1, v66
	v_add_u32_e32 v68, 1, v65
	v_cndmask_b32_e64 v71, v71, v66, s[26:27]
	v_cndmask_b32_e64 v70, v65, v68, s[26:27]
	v_cmp_ge_i32_e64 s[30:31], v71, v2
	s_waitcnt lgkmcnt(0)
	v_cmp_lt_i32_e64 s[34:35], v69, v67
	v_cmp_lt_i32_e64 s[28:29], v70, v3
	s_or_b64 s[30:31], s[30:31], s[34:35]
	s_and_b64 s[28:29], s[28:29], s[30:31]
	s_xor_b64 s[30:31], s[28:29], -1
                                        ; implicit-def: $vgpr68
	s_and_saveexec_b64 s[34:35], s[30:31]
	s_xor_b64 s[30:31], exec, s[34:35]
; %bb.15:                               ;   in Loop: Header=BB17_2 Depth=1
	v_lshlrev_b32_e32 v68, 2, v71
	ds_read_b32 v68, v68 offset:4
; %bb.16:                               ;   in Loop: Header=BB17_2 Depth=1
	s_or_saveexec_b64 s[30:31], s[30:31]
	v_mov_b32_e32 v72, v69
	s_xor_b64 exec, exec, s[30:31]
	s_cbranch_execz .LBB17_18
; %bb.17:                               ;   in Loop: Header=BB17_2 Depth=1
	s_waitcnt lgkmcnt(0)
	v_lshlrev_b32_e32 v68, 2, v70
	ds_read_b32 v72, v68 offset:4
	v_mov_b32_e32 v68, v67
.LBB17_18:                              ;   in Loop: Header=BB17_2 Depth=1
	s_or_b64 exec, exec, s[30:31]
	v_add_u32_e32 v73, 1, v71
	v_cndmask_b32_e64 v67, v67, v69, s[28:29]
	v_add_u32_e32 v69, 1, v70
	v_cndmask_b32_e64 v73, v73, v71, s[28:29]
	v_cndmask_b32_e64 v59, v61, v59, s[24:25]
	;; [unrolled: 1-line block ×9, first 2 shown]
	v_cmp_ge_i32_e64 s[14:15], v73, v2
	s_waitcnt lgkmcnt(0)
	v_cmp_lt_i32_e64 s[16:17], v72, v68
	v_cndmask_b32_e64 v56, v61, v55, s[18:19]
	v_cndmask_b32_e64 v55, v55, v61, s[18:19]
	;; [unrolled: 1-line block ×4, first 2 shown]
	v_cmp_lt_i32_e64 s[12:13], v69, v3
	s_or_b64 s[14:15], s[14:15], s[16:17]
	v_cndmask_b32_e64 v70, v71, v70, s[28:29]
	v_cndmask_b32_e64 v63, v63, v64, s[26:27]
	;; [unrolled: 1-line block ×5, first 2 shown]
	s_and_b64 s[12:13], s[12:13], s[14:15]
	v_cndmask_b32_e64 v57, v73, v69, s[12:13]
	s_barrier
	ds_write2_b32 v47, v56, v55 offset1:1
	ds_write2_b32 v47, v58, v61 offset0:2 offset1:3
	v_lshlrev_b32_e32 v55, 2, v59
	v_lshlrev_b32_e32 v56, 2, v64
	;; [unrolled: 1-line block ×3, first 2 shown]
	s_waitcnt lgkmcnt(0)
	s_barrier
	v_lshlrev_b32_e32 v59, 2, v57
	ds_read_b32 v55, v55
	ds_read_b32 v56, v56
	;; [unrolled: 1-line block ×4, first 2 shown]
	v_cndmask_b32_e64 v60, v60, v62, s[24:25]
	v_mov_b32_e32 v61, v21
	v_cndmask_b32_e64 v62, v68, v72, s[12:13]
	s_waitcnt lgkmcnt(0)
	s_barrier
	ds_write2_b32 v47, v60, v63 offset1:1
	ds_write2_b32 v47, v67, v62 offset0:2 offset1:3
	s_waitcnt lgkmcnt(0)
	s_barrier
	s_and_saveexec_b64 s[14:15], s[0:1]
	s_cbranch_execz .LBB17_22
; %bb.19:                               ;   in Loop: Header=BB17_2 Depth=1
	s_mov_b64 s[16:17], 0
	v_mov_b32_e32 v61, v21
	v_mov_b32_e32 v59, v22
.LBB17_20:                              ;   Parent Loop BB17_2 Depth=1
                                        ; =>  This Inner Loop Header: Depth=2
	v_sub_u32_e32 v60, v59, v61
	v_lshrrev_b32_e32 v60, 1, v60
	v_add_u32_e32 v60, v60, v61
	v_not_b32_e32 v63, v60
	v_lshl_add_u32 v62, v60, 2, v49
	v_lshl_add_u32 v63, v63, 2, v38
	ds_read_b32 v62, v62
	ds_read_b32 v63, v63
	v_add_u32_e32 v64, 1, v60
	s_waitcnt lgkmcnt(0)
	v_cmp_lt_i32_e64 s[12:13], v63, v62
	v_cndmask_b32_e64 v59, v59, v60, s[12:13]
	v_cndmask_b32_e64 v61, v64, v61, s[12:13]
	v_cmp_ge_i32_e64 s[12:13], v61, v59
	s_or_b64 s[16:17], s[12:13], s[16:17]
	s_andn2_b64 exec, exec, s[16:17]
	s_cbranch_execnz .LBB17_20
; %bb.21:                               ;   in Loop: Header=BB17_2 Depth=1
	s_or_b64 exec, exec, s[16:17]
.LBB17_22:                              ;   in Loop: Header=BB17_2 Depth=1
	s_or_b64 exec, exec, s[14:15]
	v_sub_u32_e32 v59, v37, v61
	v_lshl_add_u32 v64, v61, 2, v49
	v_lshlrev_b32_e32 v65, 2, v59
	ds_read_b32 v60, v64
	ds_read_b32 v62, v65
	v_add_u32_e32 v61, v61, v4
	v_cmp_le_i32_e64 s[14:15], v5, v61
	v_cmp_gt_i32_e64 s[12:13], v6, v59
                                        ; implicit-def: $vgpr63
	s_waitcnt lgkmcnt(0)
	v_cmp_lt_i32_e64 s[16:17], v62, v60
	s_or_b64 s[14:15], s[14:15], s[16:17]
	s_and_b64 s[12:13], s[12:13], s[14:15]
	s_xor_b64 s[14:15], s[12:13], -1
	s_and_saveexec_b64 s[16:17], s[14:15]
	s_xor_b64 s[14:15], exec, s[16:17]
; %bb.23:                               ;   in Loop: Header=BB17_2 Depth=1
	ds_read_b32 v63, v64 offset:4
                                        ; implicit-def: $vgpr65
; %bb.24:                               ;   in Loop: Header=BB17_2 Depth=1
	s_or_saveexec_b64 s[14:15], s[14:15]
	v_mov_b32_e32 v64, v62
	s_xor_b64 exec, exec, s[14:15]
	s_cbranch_execz .LBB17_26
; %bb.25:                               ;   in Loop: Header=BB17_2 Depth=1
	ds_read_b32 v64, v65 offset:4
	s_waitcnt lgkmcnt(1)
	v_mov_b32_e32 v63, v60
.LBB17_26:                              ;   in Loop: Header=BB17_2 Depth=1
	s_or_b64 exec, exec, s[14:15]
	v_add_u32_e32 v66, 1, v61
	v_add_u32_e32 v65, 1, v59
	v_cndmask_b32_e64 v66, v66, v61, s[12:13]
	v_cndmask_b32_e64 v65, v59, v65, s[12:13]
	v_cmp_ge_i32_e64 s[16:17], v66, v5
	s_waitcnt lgkmcnt(0)
	v_cmp_lt_i32_e64 s[18:19], v64, v63
	v_cmp_lt_i32_e64 s[14:15], v65, v6
	s_or_b64 s[16:17], s[16:17], s[18:19]
	s_and_b64 s[14:15], s[14:15], s[16:17]
	s_xor_b64 s[16:17], s[14:15], -1
                                        ; implicit-def: $vgpr67
	s_and_saveexec_b64 s[18:19], s[16:17]
	s_xor_b64 s[16:17], exec, s[18:19]
; %bb.27:                               ;   in Loop: Header=BB17_2 Depth=1
	v_lshlrev_b32_e32 v67, 2, v66
	ds_read_b32 v67, v67 offset:4
; %bb.28:                               ;   in Loop: Header=BB17_2 Depth=1
	s_or_saveexec_b64 s[16:17], s[16:17]
	v_mov_b32_e32 v68, v64
	s_xor_b64 exec, exec, s[16:17]
	s_cbranch_execz .LBB17_30
; %bb.29:                               ;   in Loop: Header=BB17_2 Depth=1
	s_waitcnt lgkmcnt(0)
	v_lshlrev_b32_e32 v67, 2, v65
	ds_read_b32 v68, v67 offset:4
	v_mov_b32_e32 v67, v63
.LBB17_30:                              ;   in Loop: Header=BB17_2 Depth=1
	s_or_b64 exec, exec, s[16:17]
	v_add_u32_e32 v70, 1, v66
	v_add_u32_e32 v69, 1, v65
	v_cndmask_b32_e64 v70, v70, v66, s[14:15]
	v_cndmask_b32_e64 v69, v65, v69, s[14:15]
	v_cmp_ge_i32_e64 s[18:19], v70, v5
	s_waitcnt lgkmcnt(0)
	v_cmp_lt_i32_e64 s[20:21], v68, v67
	v_cmp_lt_i32_e64 s[16:17], v69, v6
	s_or_b64 s[18:19], s[18:19], s[20:21]
	s_and_b64 s[16:17], s[16:17], s[18:19]
	s_xor_b64 s[18:19], s[16:17], -1
                                        ; implicit-def: $vgpr71
	s_and_saveexec_b64 s[20:21], s[18:19]
	s_xor_b64 s[18:19], exec, s[20:21]
; %bb.31:                               ;   in Loop: Header=BB17_2 Depth=1
	v_lshlrev_b32_e32 v71, 2, v70
	ds_read_b32 v71, v71 offset:4
; %bb.32:                               ;   in Loop: Header=BB17_2 Depth=1
	s_or_saveexec_b64 s[18:19], s[18:19]
	v_mov_b32_e32 v72, v68
	s_xor_b64 exec, exec, s[18:19]
	s_cbranch_execz .LBB17_34
; %bb.33:                               ;   in Loop: Header=BB17_2 Depth=1
	s_waitcnt lgkmcnt(0)
	v_lshlrev_b32_e32 v71, 2, v69
	ds_read_b32 v72, v71 offset:4
	v_mov_b32_e32 v71, v67
.LBB17_34:                              ;   in Loop: Header=BB17_2 Depth=1
	s_or_b64 exec, exec, s[18:19]
	v_add_u32_e32 v73, 1, v70
	v_cndmask_b32_e64 v67, v67, v68, s[16:17]
	v_add_u32_e32 v68, 1, v69
	v_cndmask_b32_e64 v73, v73, v70, s[16:17]
	v_cndmask_b32_e64 v68, v69, v68, s[16:17]
	;; [unrolled: 1-line block ×5, first 2 shown]
	v_cmp_ge_i32_e64 s[14:15], v73, v5
	s_waitcnt lgkmcnt(0)
	v_cmp_lt_i32_e64 s[16:17], v72, v71
	v_cndmask_b32_e64 v60, v60, v62, s[12:13]
	v_cndmask_b32_e64 v59, v61, v59, s[12:13]
	v_cmp_lt_i32_e64 s[12:13], v68, v6
	s_or_b64 s[14:15], s[14:15], s[16:17]
	s_and_b64 s[12:13], s[12:13], s[14:15]
	v_cndmask_b32_e64 v62, v73, v68, s[12:13]
	s_barrier
	ds_write2_b32 v47, v55, v56 offset1:1
	ds_write2_b32 v47, v57, v58 offset0:2 offset1:3
	v_lshlrev_b32_e32 v55, 2, v59
	v_lshlrev_b32_e32 v56, 2, v64
	;; [unrolled: 1-line block ×4, first 2 shown]
	s_waitcnt lgkmcnt(0)
	s_barrier
	ds_read_b32 v55, v55
	ds_read_b32 v56, v56
	;; [unrolled: 1-line block ×4, first 2 shown]
	v_cndmask_b32_e64 v61, v71, v72, s[12:13]
	s_waitcnt lgkmcnt(0)
	s_barrier
	ds_write2_b32 v47, v60, v63 offset1:1
	ds_write2_b32 v47, v67, v61 offset0:2 offset1:3
	v_mov_b32_e32 v61, v23
	s_waitcnt lgkmcnt(0)
	s_barrier
	s_and_saveexec_b64 s[14:15], s[2:3]
	s_cbranch_execz .LBB17_38
; %bb.35:                               ;   in Loop: Header=BB17_2 Depth=1
	s_mov_b64 s[16:17], 0
	v_mov_b32_e32 v61, v23
	v_mov_b32_e32 v59, v24
.LBB17_36:                              ;   Parent Loop BB17_2 Depth=1
                                        ; =>  This Inner Loop Header: Depth=2
	v_sub_u32_e32 v60, v59, v61
	v_lshrrev_b32_e32 v60, 1, v60
	v_add_u32_e32 v60, v60, v61
	v_not_b32_e32 v63, v60
	v_lshl_add_u32 v62, v60, 2, v50
	v_lshl_add_u32 v63, v63, 2, v40
	ds_read_b32 v62, v62
	ds_read_b32 v63, v63
	v_add_u32_e32 v64, 1, v60
	s_waitcnt lgkmcnt(0)
	v_cmp_lt_i32_e64 s[12:13], v63, v62
	v_cndmask_b32_e64 v59, v59, v60, s[12:13]
	v_cndmask_b32_e64 v61, v64, v61, s[12:13]
	v_cmp_ge_i32_e64 s[12:13], v61, v59
	s_or_b64 s[16:17], s[12:13], s[16:17]
	s_andn2_b64 exec, exec, s[16:17]
	s_cbranch_execnz .LBB17_36
; %bb.37:                               ;   in Loop: Header=BB17_2 Depth=1
	s_or_b64 exec, exec, s[16:17]
.LBB17_38:                              ;   in Loop: Header=BB17_2 Depth=1
	s_or_b64 exec, exec, s[14:15]
	v_sub_u32_e32 v59, v39, v61
	v_lshl_add_u32 v64, v61, 2, v50
	v_lshlrev_b32_e32 v65, 2, v59
	ds_read_b32 v60, v64
	ds_read_b32 v62, v65
	v_add_u32_e32 v61, v61, v7
	v_cmp_le_i32_e64 s[14:15], v8, v61
	v_cmp_gt_i32_e64 s[12:13], v9, v59
                                        ; implicit-def: $vgpr63
	s_waitcnt lgkmcnt(0)
	v_cmp_lt_i32_e64 s[16:17], v62, v60
	s_or_b64 s[14:15], s[14:15], s[16:17]
	s_and_b64 s[12:13], s[12:13], s[14:15]
	s_xor_b64 s[14:15], s[12:13], -1
	s_and_saveexec_b64 s[16:17], s[14:15]
	s_xor_b64 s[14:15], exec, s[16:17]
; %bb.39:                               ;   in Loop: Header=BB17_2 Depth=1
	ds_read_b32 v63, v64 offset:4
                                        ; implicit-def: $vgpr65
; %bb.40:                               ;   in Loop: Header=BB17_2 Depth=1
	s_or_saveexec_b64 s[14:15], s[14:15]
	v_mov_b32_e32 v64, v62
	s_xor_b64 exec, exec, s[14:15]
	s_cbranch_execz .LBB17_42
; %bb.41:                               ;   in Loop: Header=BB17_2 Depth=1
	ds_read_b32 v64, v65 offset:4
	s_waitcnt lgkmcnt(1)
	v_mov_b32_e32 v63, v60
.LBB17_42:                              ;   in Loop: Header=BB17_2 Depth=1
	s_or_b64 exec, exec, s[14:15]
	v_add_u32_e32 v66, 1, v61
	v_add_u32_e32 v65, 1, v59
	v_cndmask_b32_e64 v66, v66, v61, s[12:13]
	v_cndmask_b32_e64 v65, v59, v65, s[12:13]
	v_cmp_ge_i32_e64 s[16:17], v66, v8
	s_waitcnt lgkmcnt(0)
	v_cmp_lt_i32_e64 s[18:19], v64, v63
	v_cmp_lt_i32_e64 s[14:15], v65, v9
	s_or_b64 s[16:17], s[16:17], s[18:19]
	s_and_b64 s[14:15], s[14:15], s[16:17]
	s_xor_b64 s[16:17], s[14:15], -1
                                        ; implicit-def: $vgpr67
	s_and_saveexec_b64 s[18:19], s[16:17]
	s_xor_b64 s[16:17], exec, s[18:19]
; %bb.43:                               ;   in Loop: Header=BB17_2 Depth=1
	v_lshlrev_b32_e32 v67, 2, v66
	ds_read_b32 v67, v67 offset:4
; %bb.44:                               ;   in Loop: Header=BB17_2 Depth=1
	s_or_saveexec_b64 s[16:17], s[16:17]
	v_mov_b32_e32 v68, v64
	s_xor_b64 exec, exec, s[16:17]
	s_cbranch_execz .LBB17_46
; %bb.45:                               ;   in Loop: Header=BB17_2 Depth=1
	s_waitcnt lgkmcnt(0)
	v_lshlrev_b32_e32 v67, 2, v65
	ds_read_b32 v68, v67 offset:4
	v_mov_b32_e32 v67, v63
.LBB17_46:                              ;   in Loop: Header=BB17_2 Depth=1
	s_or_b64 exec, exec, s[16:17]
	v_add_u32_e32 v70, 1, v66
	v_add_u32_e32 v69, 1, v65
	v_cndmask_b32_e64 v70, v70, v66, s[14:15]
	v_cndmask_b32_e64 v69, v65, v69, s[14:15]
	v_cmp_ge_i32_e64 s[18:19], v70, v8
	s_waitcnt lgkmcnt(0)
	v_cmp_lt_i32_e64 s[20:21], v68, v67
	v_cmp_lt_i32_e64 s[16:17], v69, v9
	s_or_b64 s[18:19], s[18:19], s[20:21]
	s_and_b64 s[16:17], s[16:17], s[18:19]
	s_xor_b64 s[18:19], s[16:17], -1
                                        ; implicit-def: $vgpr71
	s_and_saveexec_b64 s[20:21], s[18:19]
	s_xor_b64 s[18:19], exec, s[20:21]
; %bb.47:                               ;   in Loop: Header=BB17_2 Depth=1
	v_lshlrev_b32_e32 v71, 2, v70
	ds_read_b32 v71, v71 offset:4
; %bb.48:                               ;   in Loop: Header=BB17_2 Depth=1
	s_or_saveexec_b64 s[18:19], s[18:19]
	v_mov_b32_e32 v72, v68
	s_xor_b64 exec, exec, s[18:19]
	s_cbranch_execz .LBB17_50
; %bb.49:                               ;   in Loop: Header=BB17_2 Depth=1
	s_waitcnt lgkmcnt(0)
	v_lshlrev_b32_e32 v71, 2, v69
	ds_read_b32 v72, v71 offset:4
	v_mov_b32_e32 v71, v67
.LBB17_50:                              ;   in Loop: Header=BB17_2 Depth=1
	s_or_b64 exec, exec, s[18:19]
	v_add_u32_e32 v73, 1, v70
	v_cndmask_b32_e64 v67, v67, v68, s[16:17]
	v_add_u32_e32 v68, 1, v69
	v_cndmask_b32_e64 v73, v73, v70, s[16:17]
	v_cndmask_b32_e64 v68, v69, v68, s[16:17]
	;; [unrolled: 1-line block ×5, first 2 shown]
	v_cmp_ge_i32_e64 s[14:15], v73, v8
	s_waitcnt lgkmcnt(0)
	v_cmp_lt_i32_e64 s[16:17], v72, v71
	v_cndmask_b32_e64 v60, v60, v62, s[12:13]
	v_cndmask_b32_e64 v59, v61, v59, s[12:13]
	v_cmp_lt_i32_e64 s[12:13], v68, v9
	s_or_b64 s[14:15], s[14:15], s[16:17]
	s_and_b64 s[12:13], s[12:13], s[14:15]
	v_cndmask_b32_e64 v62, v73, v68, s[12:13]
	s_barrier
	ds_write2_b32 v47, v55, v56 offset1:1
	ds_write2_b32 v47, v57, v58 offset0:2 offset1:3
	v_lshlrev_b32_e32 v55, 2, v59
	v_lshlrev_b32_e32 v56, 2, v64
	;; [unrolled: 1-line block ×4, first 2 shown]
	s_waitcnt lgkmcnt(0)
	s_barrier
	ds_read_b32 v55, v55
	ds_read_b32 v56, v56
	;; [unrolled: 1-line block ×4, first 2 shown]
	v_cndmask_b32_e64 v61, v71, v72, s[12:13]
	s_waitcnt lgkmcnt(0)
	s_barrier
	ds_write2_b32 v47, v60, v63 offset1:1
	ds_write2_b32 v47, v67, v61 offset0:2 offset1:3
	v_mov_b32_e32 v61, v25
	s_waitcnt lgkmcnt(0)
	s_barrier
	s_and_saveexec_b64 s[14:15], s[4:5]
	s_cbranch_execz .LBB17_54
; %bb.51:                               ;   in Loop: Header=BB17_2 Depth=1
	s_mov_b64 s[16:17], 0
	v_mov_b32_e32 v61, v25
	v_mov_b32_e32 v59, v26
.LBB17_52:                              ;   Parent Loop BB17_2 Depth=1
                                        ; =>  This Inner Loop Header: Depth=2
	v_sub_u32_e32 v60, v59, v61
	v_lshrrev_b32_e32 v60, 1, v60
	v_add_u32_e32 v60, v60, v61
	v_not_b32_e32 v63, v60
	v_lshl_add_u32 v62, v60, 2, v51
	v_lshl_add_u32 v63, v63, 2, v42
	ds_read_b32 v62, v62
	ds_read_b32 v63, v63
	v_add_u32_e32 v64, 1, v60
	s_waitcnt lgkmcnt(0)
	v_cmp_lt_i32_e64 s[12:13], v63, v62
	v_cndmask_b32_e64 v59, v59, v60, s[12:13]
	v_cndmask_b32_e64 v61, v64, v61, s[12:13]
	v_cmp_ge_i32_e64 s[12:13], v61, v59
	s_or_b64 s[16:17], s[12:13], s[16:17]
	s_andn2_b64 exec, exec, s[16:17]
	s_cbranch_execnz .LBB17_52
; %bb.53:                               ;   in Loop: Header=BB17_2 Depth=1
	s_or_b64 exec, exec, s[16:17]
.LBB17_54:                              ;   in Loop: Header=BB17_2 Depth=1
	s_or_b64 exec, exec, s[14:15]
	v_sub_u32_e32 v59, v41, v61
	v_lshl_add_u32 v64, v61, 2, v51
	v_lshlrev_b32_e32 v65, 2, v59
	ds_read_b32 v60, v64
	ds_read_b32 v62, v65
	v_add_u32_e32 v61, v61, v10
	v_cmp_le_i32_e64 s[14:15], v11, v61
	v_cmp_gt_i32_e64 s[12:13], v12, v59
                                        ; implicit-def: $vgpr63
	s_waitcnt lgkmcnt(0)
	v_cmp_lt_i32_e64 s[16:17], v62, v60
	s_or_b64 s[14:15], s[14:15], s[16:17]
	s_and_b64 s[12:13], s[12:13], s[14:15]
	s_xor_b64 s[14:15], s[12:13], -1
	s_and_saveexec_b64 s[16:17], s[14:15]
	s_xor_b64 s[14:15], exec, s[16:17]
; %bb.55:                               ;   in Loop: Header=BB17_2 Depth=1
	ds_read_b32 v63, v64 offset:4
                                        ; implicit-def: $vgpr65
; %bb.56:                               ;   in Loop: Header=BB17_2 Depth=1
	s_or_saveexec_b64 s[14:15], s[14:15]
	v_mov_b32_e32 v64, v62
	s_xor_b64 exec, exec, s[14:15]
	s_cbranch_execz .LBB17_58
; %bb.57:                               ;   in Loop: Header=BB17_2 Depth=1
	ds_read_b32 v64, v65 offset:4
	s_waitcnt lgkmcnt(1)
	v_mov_b32_e32 v63, v60
.LBB17_58:                              ;   in Loop: Header=BB17_2 Depth=1
	s_or_b64 exec, exec, s[14:15]
	v_add_u32_e32 v66, 1, v61
	v_add_u32_e32 v65, 1, v59
	v_cndmask_b32_e64 v66, v66, v61, s[12:13]
	v_cndmask_b32_e64 v65, v59, v65, s[12:13]
	v_cmp_ge_i32_e64 s[16:17], v66, v11
	s_waitcnt lgkmcnt(0)
	v_cmp_lt_i32_e64 s[18:19], v64, v63
	v_cmp_lt_i32_e64 s[14:15], v65, v12
	s_or_b64 s[16:17], s[16:17], s[18:19]
	s_and_b64 s[14:15], s[14:15], s[16:17]
	s_xor_b64 s[16:17], s[14:15], -1
                                        ; implicit-def: $vgpr67
	s_and_saveexec_b64 s[18:19], s[16:17]
	s_xor_b64 s[16:17], exec, s[18:19]
; %bb.59:                               ;   in Loop: Header=BB17_2 Depth=1
	v_lshlrev_b32_e32 v67, 2, v66
	ds_read_b32 v67, v67 offset:4
; %bb.60:                               ;   in Loop: Header=BB17_2 Depth=1
	s_or_saveexec_b64 s[16:17], s[16:17]
	v_mov_b32_e32 v68, v64
	s_xor_b64 exec, exec, s[16:17]
	s_cbranch_execz .LBB17_62
; %bb.61:                               ;   in Loop: Header=BB17_2 Depth=1
	s_waitcnt lgkmcnt(0)
	v_lshlrev_b32_e32 v67, 2, v65
	ds_read_b32 v68, v67 offset:4
	v_mov_b32_e32 v67, v63
.LBB17_62:                              ;   in Loop: Header=BB17_2 Depth=1
	s_or_b64 exec, exec, s[16:17]
	v_add_u32_e32 v70, 1, v66
	v_add_u32_e32 v69, 1, v65
	v_cndmask_b32_e64 v70, v70, v66, s[14:15]
	v_cndmask_b32_e64 v69, v65, v69, s[14:15]
	v_cmp_ge_i32_e64 s[18:19], v70, v11
	s_waitcnt lgkmcnt(0)
	v_cmp_lt_i32_e64 s[20:21], v68, v67
	v_cmp_lt_i32_e64 s[16:17], v69, v12
	s_or_b64 s[18:19], s[18:19], s[20:21]
	s_and_b64 s[16:17], s[16:17], s[18:19]
	s_xor_b64 s[18:19], s[16:17], -1
                                        ; implicit-def: $vgpr71
	s_and_saveexec_b64 s[20:21], s[18:19]
	s_xor_b64 s[18:19], exec, s[20:21]
; %bb.63:                               ;   in Loop: Header=BB17_2 Depth=1
	v_lshlrev_b32_e32 v71, 2, v70
	ds_read_b32 v71, v71 offset:4
; %bb.64:                               ;   in Loop: Header=BB17_2 Depth=1
	s_or_saveexec_b64 s[18:19], s[18:19]
	v_mov_b32_e32 v72, v68
	s_xor_b64 exec, exec, s[18:19]
	s_cbranch_execz .LBB17_66
; %bb.65:                               ;   in Loop: Header=BB17_2 Depth=1
	s_waitcnt lgkmcnt(0)
	v_lshlrev_b32_e32 v71, 2, v69
	ds_read_b32 v72, v71 offset:4
	v_mov_b32_e32 v71, v67
.LBB17_66:                              ;   in Loop: Header=BB17_2 Depth=1
	s_or_b64 exec, exec, s[18:19]
	v_add_u32_e32 v73, 1, v70
	v_cndmask_b32_e64 v67, v67, v68, s[16:17]
	v_add_u32_e32 v68, 1, v69
	v_cndmask_b32_e64 v73, v73, v70, s[16:17]
	v_cndmask_b32_e64 v68, v69, v68, s[16:17]
	;; [unrolled: 1-line block ×5, first 2 shown]
	v_cmp_ge_i32_e64 s[14:15], v73, v11
	s_waitcnt lgkmcnt(0)
	v_cmp_lt_i32_e64 s[16:17], v72, v71
	v_cndmask_b32_e64 v60, v60, v62, s[12:13]
	v_cndmask_b32_e64 v59, v61, v59, s[12:13]
	v_cmp_lt_i32_e64 s[12:13], v68, v12
	s_or_b64 s[14:15], s[14:15], s[16:17]
	s_and_b64 s[12:13], s[12:13], s[14:15]
	v_cndmask_b32_e64 v62, v73, v68, s[12:13]
	s_barrier
	ds_write2_b32 v47, v55, v56 offset1:1
	ds_write2_b32 v47, v57, v58 offset0:2 offset1:3
	v_lshlrev_b32_e32 v55, 2, v59
	v_lshlrev_b32_e32 v56, 2, v64
	;; [unrolled: 1-line block ×4, first 2 shown]
	s_waitcnt lgkmcnt(0)
	s_barrier
	ds_read_b32 v55, v55
	ds_read_b32 v56, v56
	;; [unrolled: 1-line block ×4, first 2 shown]
	v_cndmask_b32_e64 v61, v71, v72, s[12:13]
	s_waitcnt lgkmcnt(0)
	s_barrier
	ds_write2_b32 v47, v60, v63 offset1:1
	ds_write2_b32 v47, v67, v61 offset0:2 offset1:3
	v_mov_b32_e32 v61, v27
	s_waitcnt lgkmcnt(0)
	s_barrier
	s_and_saveexec_b64 s[14:15], s[6:7]
	s_cbranch_execz .LBB17_70
; %bb.67:                               ;   in Loop: Header=BB17_2 Depth=1
	s_mov_b64 s[16:17], 0
	v_mov_b32_e32 v61, v27
	v_mov_b32_e32 v59, v28
.LBB17_68:                              ;   Parent Loop BB17_2 Depth=1
                                        ; =>  This Inner Loop Header: Depth=2
	v_sub_u32_e32 v60, v59, v61
	v_lshrrev_b32_e32 v60, 1, v60
	v_add_u32_e32 v60, v60, v61
	v_not_b32_e32 v63, v60
	v_lshl_add_u32 v62, v60, 2, v52
	v_lshl_add_u32 v63, v63, 2, v44
	ds_read_b32 v62, v62
	ds_read_b32 v63, v63
	v_add_u32_e32 v64, 1, v60
	s_waitcnt lgkmcnt(0)
	v_cmp_lt_i32_e64 s[12:13], v63, v62
	v_cndmask_b32_e64 v59, v59, v60, s[12:13]
	v_cndmask_b32_e64 v61, v64, v61, s[12:13]
	v_cmp_ge_i32_e64 s[12:13], v61, v59
	s_or_b64 s[16:17], s[12:13], s[16:17]
	s_andn2_b64 exec, exec, s[16:17]
	s_cbranch_execnz .LBB17_68
; %bb.69:                               ;   in Loop: Header=BB17_2 Depth=1
	s_or_b64 exec, exec, s[16:17]
.LBB17_70:                              ;   in Loop: Header=BB17_2 Depth=1
	s_or_b64 exec, exec, s[14:15]
	v_sub_u32_e32 v59, v43, v61
	v_lshl_add_u32 v64, v61, 2, v52
	v_lshlrev_b32_e32 v65, 2, v59
	ds_read_b32 v60, v64
	ds_read_b32 v62, v65
	v_add_u32_e32 v61, v61, v13
	v_cmp_le_i32_e64 s[14:15], v14, v61
	v_cmp_gt_i32_e64 s[12:13], v15, v59
                                        ; implicit-def: $vgpr63
	s_waitcnt lgkmcnt(0)
	v_cmp_lt_i32_e64 s[16:17], v62, v60
	s_or_b64 s[14:15], s[14:15], s[16:17]
	s_and_b64 s[12:13], s[12:13], s[14:15]
	s_xor_b64 s[14:15], s[12:13], -1
	s_and_saveexec_b64 s[16:17], s[14:15]
	s_xor_b64 s[14:15], exec, s[16:17]
; %bb.71:                               ;   in Loop: Header=BB17_2 Depth=1
	ds_read_b32 v63, v64 offset:4
                                        ; implicit-def: $vgpr65
; %bb.72:                               ;   in Loop: Header=BB17_2 Depth=1
	s_or_saveexec_b64 s[14:15], s[14:15]
	v_mov_b32_e32 v64, v62
	s_xor_b64 exec, exec, s[14:15]
	s_cbranch_execz .LBB17_74
; %bb.73:                               ;   in Loop: Header=BB17_2 Depth=1
	ds_read_b32 v64, v65 offset:4
	s_waitcnt lgkmcnt(1)
	v_mov_b32_e32 v63, v60
.LBB17_74:                              ;   in Loop: Header=BB17_2 Depth=1
	s_or_b64 exec, exec, s[14:15]
	v_add_u32_e32 v66, 1, v61
	v_add_u32_e32 v65, 1, v59
	v_cndmask_b32_e64 v66, v66, v61, s[12:13]
	v_cndmask_b32_e64 v65, v59, v65, s[12:13]
	v_cmp_ge_i32_e64 s[16:17], v66, v14
	s_waitcnt lgkmcnt(0)
	v_cmp_lt_i32_e64 s[18:19], v64, v63
	v_cmp_lt_i32_e64 s[14:15], v65, v15
	s_or_b64 s[16:17], s[16:17], s[18:19]
	s_and_b64 s[14:15], s[14:15], s[16:17]
	s_xor_b64 s[16:17], s[14:15], -1
                                        ; implicit-def: $vgpr67
	s_and_saveexec_b64 s[18:19], s[16:17]
	s_xor_b64 s[16:17], exec, s[18:19]
; %bb.75:                               ;   in Loop: Header=BB17_2 Depth=1
	v_lshlrev_b32_e32 v67, 2, v66
	ds_read_b32 v67, v67 offset:4
; %bb.76:                               ;   in Loop: Header=BB17_2 Depth=1
	s_or_saveexec_b64 s[16:17], s[16:17]
	v_mov_b32_e32 v68, v64
	s_xor_b64 exec, exec, s[16:17]
	s_cbranch_execz .LBB17_78
; %bb.77:                               ;   in Loop: Header=BB17_2 Depth=1
	s_waitcnt lgkmcnt(0)
	v_lshlrev_b32_e32 v67, 2, v65
	ds_read_b32 v68, v67 offset:4
	v_mov_b32_e32 v67, v63
.LBB17_78:                              ;   in Loop: Header=BB17_2 Depth=1
	s_or_b64 exec, exec, s[16:17]
	v_add_u32_e32 v70, 1, v66
	v_add_u32_e32 v69, 1, v65
	v_cndmask_b32_e64 v70, v70, v66, s[14:15]
	v_cndmask_b32_e64 v69, v65, v69, s[14:15]
	v_cmp_ge_i32_e64 s[18:19], v70, v14
	s_waitcnt lgkmcnt(0)
	v_cmp_lt_i32_e64 s[20:21], v68, v67
	v_cmp_lt_i32_e64 s[16:17], v69, v15
	s_or_b64 s[18:19], s[18:19], s[20:21]
	s_and_b64 s[16:17], s[16:17], s[18:19]
	s_xor_b64 s[18:19], s[16:17], -1
                                        ; implicit-def: $vgpr71
	s_and_saveexec_b64 s[20:21], s[18:19]
	s_xor_b64 s[18:19], exec, s[20:21]
; %bb.79:                               ;   in Loop: Header=BB17_2 Depth=1
	v_lshlrev_b32_e32 v71, 2, v70
	ds_read_b32 v71, v71 offset:4
; %bb.80:                               ;   in Loop: Header=BB17_2 Depth=1
	s_or_saveexec_b64 s[18:19], s[18:19]
	v_mov_b32_e32 v72, v68
	s_xor_b64 exec, exec, s[18:19]
	s_cbranch_execz .LBB17_82
; %bb.81:                               ;   in Loop: Header=BB17_2 Depth=1
	s_waitcnt lgkmcnt(0)
	v_lshlrev_b32_e32 v71, 2, v69
	ds_read_b32 v72, v71 offset:4
	v_mov_b32_e32 v71, v67
.LBB17_82:                              ;   in Loop: Header=BB17_2 Depth=1
	s_or_b64 exec, exec, s[18:19]
	v_add_u32_e32 v73, 1, v70
	v_cndmask_b32_e64 v67, v67, v68, s[16:17]
	v_add_u32_e32 v68, 1, v69
	v_cndmask_b32_e64 v73, v73, v70, s[16:17]
	v_cndmask_b32_e64 v68, v69, v68, s[16:17]
	;; [unrolled: 1-line block ×5, first 2 shown]
	v_cmp_ge_i32_e64 s[14:15], v73, v14
	s_waitcnt lgkmcnt(0)
	v_cmp_lt_i32_e64 s[16:17], v72, v71
	v_cndmask_b32_e64 v60, v60, v62, s[12:13]
	v_cndmask_b32_e64 v59, v61, v59, s[12:13]
	v_cmp_lt_i32_e64 s[12:13], v68, v15
	s_or_b64 s[14:15], s[14:15], s[16:17]
	s_and_b64 s[12:13], s[12:13], s[14:15]
	v_cndmask_b32_e64 v62, v73, v68, s[12:13]
	s_barrier
	ds_write2_b32 v47, v55, v56 offset1:1
	ds_write2_b32 v47, v57, v58 offset0:2 offset1:3
	v_lshlrev_b32_e32 v55, 2, v59
	v_lshlrev_b32_e32 v56, 2, v64
	;; [unrolled: 1-line block ×4, first 2 shown]
	s_waitcnt lgkmcnt(0)
	s_barrier
	ds_read_b32 v55, v55
	ds_read_b32 v56, v56
	ds_read_b32 v57, v57
	ds_read_b32 v58, v58
	v_cndmask_b32_e64 v61, v71, v72, s[12:13]
	s_waitcnt lgkmcnt(0)
	s_barrier
	ds_write2_b32 v47, v60, v63 offset1:1
	ds_write2_b32 v47, v67, v61 offset0:2 offset1:3
	v_mov_b32_e32 v61, v29
	s_waitcnt lgkmcnt(0)
	s_barrier
	s_and_saveexec_b64 s[14:15], s[8:9]
	s_cbranch_execz .LBB17_86
; %bb.83:                               ;   in Loop: Header=BB17_2 Depth=1
	s_mov_b64 s[16:17], 0
	v_mov_b32_e32 v61, v29
	v_mov_b32_e32 v59, v30
.LBB17_84:                              ;   Parent Loop BB17_2 Depth=1
                                        ; =>  This Inner Loop Header: Depth=2
	v_sub_u32_e32 v60, v59, v61
	v_lshrrev_b32_e32 v60, 1, v60
	v_add_u32_e32 v60, v60, v61
	v_not_b32_e32 v63, v60
	v_lshl_add_u32 v62, v60, 2, v53
	v_lshl_add_u32 v63, v63, 2, v46
	ds_read_b32 v62, v62
	ds_read_b32 v63, v63
	v_add_u32_e32 v64, 1, v60
	s_waitcnt lgkmcnt(0)
	v_cmp_lt_i32_e64 s[12:13], v63, v62
	v_cndmask_b32_e64 v59, v59, v60, s[12:13]
	v_cndmask_b32_e64 v61, v64, v61, s[12:13]
	v_cmp_ge_i32_e64 s[12:13], v61, v59
	s_or_b64 s[16:17], s[12:13], s[16:17]
	s_andn2_b64 exec, exec, s[16:17]
	s_cbranch_execnz .LBB17_84
; %bb.85:                               ;   in Loop: Header=BB17_2 Depth=1
	s_or_b64 exec, exec, s[16:17]
.LBB17_86:                              ;   in Loop: Header=BB17_2 Depth=1
	s_or_b64 exec, exec, s[14:15]
	v_sub_u32_e32 v59, v45, v61
	v_lshl_add_u32 v64, v61, 2, v53
	v_lshlrev_b32_e32 v65, 2, v59
	ds_read_b32 v60, v64
	ds_read_b32 v62, v65
	v_add_u32_e32 v61, v61, v16
	v_cmp_le_i32_e64 s[14:15], v17, v61
	v_cmp_gt_i32_e64 s[12:13], v18, v59
                                        ; implicit-def: $vgpr63
	s_waitcnt lgkmcnt(0)
	v_cmp_lt_i32_e64 s[16:17], v62, v60
	s_or_b64 s[14:15], s[14:15], s[16:17]
	s_and_b64 s[12:13], s[12:13], s[14:15]
	s_xor_b64 s[14:15], s[12:13], -1
	s_and_saveexec_b64 s[16:17], s[14:15]
	s_xor_b64 s[14:15], exec, s[16:17]
; %bb.87:                               ;   in Loop: Header=BB17_2 Depth=1
	ds_read_b32 v63, v64 offset:4
                                        ; implicit-def: $vgpr65
; %bb.88:                               ;   in Loop: Header=BB17_2 Depth=1
	s_or_saveexec_b64 s[14:15], s[14:15]
	v_mov_b32_e32 v64, v62
	s_xor_b64 exec, exec, s[14:15]
	s_cbranch_execz .LBB17_90
; %bb.89:                               ;   in Loop: Header=BB17_2 Depth=1
	ds_read_b32 v64, v65 offset:4
	s_waitcnt lgkmcnt(1)
	v_mov_b32_e32 v63, v60
.LBB17_90:                              ;   in Loop: Header=BB17_2 Depth=1
	s_or_b64 exec, exec, s[14:15]
	v_add_u32_e32 v66, 1, v61
	v_add_u32_e32 v65, 1, v59
	v_cndmask_b32_e64 v66, v66, v61, s[12:13]
	v_cndmask_b32_e64 v65, v59, v65, s[12:13]
	v_cmp_ge_i32_e64 s[16:17], v66, v17
	s_waitcnt lgkmcnt(0)
	v_cmp_lt_i32_e64 s[18:19], v64, v63
	v_cmp_lt_i32_e64 s[14:15], v65, v18
	s_or_b64 s[16:17], s[16:17], s[18:19]
	s_and_b64 s[14:15], s[14:15], s[16:17]
	s_xor_b64 s[16:17], s[14:15], -1
                                        ; implicit-def: $vgpr67
	s_and_saveexec_b64 s[18:19], s[16:17]
	s_xor_b64 s[16:17], exec, s[18:19]
; %bb.91:                               ;   in Loop: Header=BB17_2 Depth=1
	v_lshlrev_b32_e32 v67, 2, v66
	ds_read_b32 v67, v67 offset:4
; %bb.92:                               ;   in Loop: Header=BB17_2 Depth=1
	s_or_saveexec_b64 s[16:17], s[16:17]
	v_mov_b32_e32 v68, v64
	s_xor_b64 exec, exec, s[16:17]
	s_cbranch_execz .LBB17_94
; %bb.93:                               ;   in Loop: Header=BB17_2 Depth=1
	s_waitcnt lgkmcnt(0)
	v_lshlrev_b32_e32 v67, 2, v65
	ds_read_b32 v68, v67 offset:4
	v_mov_b32_e32 v67, v63
.LBB17_94:                              ;   in Loop: Header=BB17_2 Depth=1
	s_or_b64 exec, exec, s[16:17]
	v_add_u32_e32 v70, 1, v66
	v_add_u32_e32 v69, 1, v65
	v_cndmask_b32_e64 v70, v70, v66, s[14:15]
	v_cndmask_b32_e64 v69, v65, v69, s[14:15]
	v_cmp_ge_i32_e64 s[18:19], v70, v17
	s_waitcnt lgkmcnt(0)
	v_cmp_lt_i32_e64 s[20:21], v68, v67
	v_cmp_lt_i32_e64 s[16:17], v69, v18
	s_or_b64 s[18:19], s[18:19], s[20:21]
	s_and_b64 s[16:17], s[16:17], s[18:19]
	s_xor_b64 s[18:19], s[16:17], -1
                                        ; implicit-def: $vgpr71
	s_and_saveexec_b64 s[20:21], s[18:19]
	s_xor_b64 s[18:19], exec, s[20:21]
; %bb.95:                               ;   in Loop: Header=BB17_2 Depth=1
	v_lshlrev_b32_e32 v71, 2, v70
	ds_read_b32 v71, v71 offset:4
; %bb.96:                               ;   in Loop: Header=BB17_2 Depth=1
	s_or_saveexec_b64 s[18:19], s[18:19]
	v_mov_b32_e32 v72, v68
	s_xor_b64 exec, exec, s[18:19]
	s_cbranch_execz .LBB17_98
; %bb.97:                               ;   in Loop: Header=BB17_2 Depth=1
	s_waitcnt lgkmcnt(0)
	v_lshlrev_b32_e32 v71, 2, v69
	ds_read_b32 v72, v71 offset:4
	v_mov_b32_e32 v71, v67
.LBB17_98:                              ;   in Loop: Header=BB17_2 Depth=1
	s_or_b64 exec, exec, s[18:19]
	v_add_u32_e32 v73, 1, v70
	v_cndmask_b32_e64 v67, v67, v68, s[16:17]
	v_add_u32_e32 v68, 1, v69
	v_cndmask_b32_e64 v73, v73, v70, s[16:17]
	v_cndmask_b32_e64 v68, v69, v68, s[16:17]
	;; [unrolled: 1-line block ×5, first 2 shown]
	v_cmp_ge_i32_e64 s[14:15], v73, v17
	s_waitcnt lgkmcnt(0)
	v_cmp_lt_i32_e64 s[16:17], v72, v71
	v_cndmask_b32_e64 v60, v60, v62, s[12:13]
	v_cndmask_b32_e64 v59, v61, v59, s[12:13]
	v_cmp_lt_i32_e64 s[12:13], v68, v18
	s_or_b64 s[14:15], s[14:15], s[16:17]
	s_and_b64 s[12:13], s[12:13], s[14:15]
	v_cndmask_b32_e64 v62, v73, v68, s[12:13]
	s_barrier
	ds_write2_b32 v47, v55, v56 offset1:1
	ds_write2_b32 v47, v57, v58 offset0:2 offset1:3
	v_lshlrev_b32_e32 v55, 2, v59
	v_lshlrev_b32_e32 v56, 2, v64
	v_lshlrev_b32_e32 v57, 2, v69
	v_lshlrev_b32_e32 v58, 2, v62
	s_waitcnt lgkmcnt(0)
	s_barrier
	ds_read_b32 v55, v55
	ds_read_b32 v56, v56
	ds_read_b32 v57, v57
	ds_read_b32 v58, v58
	v_mov_b32_e32 v59, v32
	v_cndmask_b32_e64 v61, v71, v72, s[12:13]
	s_waitcnt lgkmcnt(0)
	s_barrier
	ds_write2_b32 v47, v60, v63 offset1:1
	ds_write2_b32 v47, v67, v61 offset0:2 offset1:3
	s_waitcnt lgkmcnt(0)
	s_barrier
	s_and_saveexec_b64 s[14:15], s[10:11]
	s_cbranch_execz .LBB17_102
; %bb.99:                               ;   in Loop: Header=BB17_2 Depth=1
	s_mov_b64 s[16:17], 0
	v_mov_b32_e32 v59, v32
	v_mov_b32_e32 v60, v33
.LBB17_100:                             ;   Parent Loop BB17_2 Depth=1
                                        ; =>  This Inner Loop Header: Depth=2
	v_sub_u32_e32 v61, v60, v59
	v_lshrrev_b32_e32 v61, 1, v61
	v_add_u32_e32 v61, v61, v59
	v_not_b32_e32 v63, v61
	v_lshlrev_b32_e32 v62, 2, v61
	v_lshl_add_u32 v63, v63, 2, v54
	ds_read_b32 v62, v62
	ds_read_b32 v63, v63
	v_add_u32_e32 v64, 1, v61
	s_waitcnt lgkmcnt(0)
	v_cmp_lt_i32_e64 s[12:13], v63, v62
	v_cndmask_b32_e64 v60, v60, v61, s[12:13]
	v_cndmask_b32_e64 v59, v64, v59, s[12:13]
	v_cmp_ge_i32_e64 s[12:13], v59, v60
	s_or_b64 s[16:17], s[12:13], s[16:17]
	s_andn2_b64 exec, exec, s[16:17]
	s_cbranch_execnz .LBB17_100
; %bb.101:                              ;   in Loop: Header=BB17_2 Depth=1
	s_or_b64 exec, exec, s[16:17]
.LBB17_102:                             ;   in Loop: Header=BB17_2 Depth=1
	s_or_b64 exec, exec, s[14:15]
	v_sub_u32_e32 v62, v34, v59
	v_lshlrev_b32_e32 v63, 2, v59
	v_lshlrev_b32_e32 v65, 2, v62
	ds_read_b32 v60, v63
	ds_read_b32 v64, v65
	v_cmp_le_i32_e64 s[14:15], v31, v59
	v_cmp_gt_i32_e64 s[12:13], s33, v62
                                        ; implicit-def: $vgpr61
	s_waitcnt lgkmcnt(0)
	v_cmp_lt_i32_e64 s[16:17], v64, v60
	s_or_b64 s[14:15], s[14:15], s[16:17]
	s_and_b64 s[12:13], s[12:13], s[14:15]
	s_xor_b64 s[14:15], s[12:13], -1
	s_and_saveexec_b64 s[16:17], s[14:15]
	s_xor_b64 s[14:15], exec, s[16:17]
; %bb.103:                              ;   in Loop: Header=BB17_2 Depth=1
	ds_read_b32 v61, v63 offset:4
                                        ; implicit-def: $vgpr65
; %bb.104:                              ;   in Loop: Header=BB17_2 Depth=1
	s_or_saveexec_b64 s[14:15], s[14:15]
	v_mov_b32_e32 v63, v64
	s_xor_b64 exec, exec, s[14:15]
	s_cbranch_execz .LBB17_106
; %bb.105:                              ;   in Loop: Header=BB17_2 Depth=1
	ds_read_b32 v63, v65 offset:4
	s_waitcnt lgkmcnt(1)
	v_mov_b32_e32 v61, v60
.LBB17_106:                             ;   in Loop: Header=BB17_2 Depth=1
	s_or_b64 exec, exec, s[14:15]
	v_add_u32_e32 v66, 1, v59
	v_add_u32_e32 v65, 1, v62
	v_cndmask_b32_e64 v68, v66, v59, s[12:13]
	v_cndmask_b32_e64 v67, v62, v65, s[12:13]
	v_cmp_ge_i32_e64 s[16:17], v68, v31
	s_waitcnt lgkmcnt(0)
	v_cmp_lt_i32_e64 s[18:19], v63, v61
	v_cmp_gt_i32_e64 s[14:15], s33, v67
	s_or_b64 s[16:17], s[16:17], s[18:19]
	s_and_b64 s[14:15], s[14:15], s[16:17]
	s_xor_b64 s[16:17], s[14:15], -1
                                        ; implicit-def: $vgpr65
	s_and_saveexec_b64 s[18:19], s[16:17]
	s_xor_b64 s[16:17], exec, s[18:19]
; %bb.107:                              ;   in Loop: Header=BB17_2 Depth=1
	v_lshlrev_b32_e32 v65, 2, v68
	ds_read_b32 v65, v65 offset:4
; %bb.108:                              ;   in Loop: Header=BB17_2 Depth=1
	s_or_saveexec_b64 s[16:17], s[16:17]
	v_mov_b32_e32 v66, v63
	s_xor_b64 exec, exec, s[16:17]
	s_cbranch_execz .LBB17_110
; %bb.109:                              ;   in Loop: Header=BB17_2 Depth=1
	s_waitcnt lgkmcnt(0)
	v_lshlrev_b32_e32 v65, 2, v67
	ds_read_b32 v66, v65 offset:4
	v_mov_b32_e32 v65, v61
.LBB17_110:                             ;   in Loop: Header=BB17_2 Depth=1
	s_or_b64 exec, exec, s[16:17]
	v_add_u32_e32 v70, 1, v68
	v_add_u32_e32 v69, 1, v67
	v_cndmask_b32_e64 v73, v70, v68, s[14:15]
	v_cndmask_b32_e64 v69, v67, v69, s[14:15]
	v_cmp_ge_i32_e64 s[18:19], v73, v31
	s_waitcnt lgkmcnt(0)
	v_cmp_lt_i32_e64 s[20:21], v66, v65
	v_cmp_gt_i32_e64 s[16:17], s33, v69
	s_or_b64 s[18:19], s[18:19], s[20:21]
	s_and_b64 s[16:17], s[16:17], s[18:19]
	s_xor_b64 s[18:19], s[16:17], -1
                                        ; implicit-def: $vgpr72
                                        ; implicit-def: $vgpr71
	s_and_saveexec_b64 s[20:21], s[18:19]
	s_xor_b64 s[18:19], exec, s[20:21]
; %bb.111:                              ;   in Loop: Header=BB17_2 Depth=1
	v_lshlrev_b32_e32 v70, 2, v73
	ds_read_b32 v72, v70 offset:4
	v_add_u32_e32 v71, 1, v73
; %bb.112:                              ;   in Loop: Header=BB17_2 Depth=1
	s_or_saveexec_b64 s[18:19], s[18:19]
	v_mov_b32_e32 v70, v73
	v_mov_b32_e32 v74, v66
	s_xor_b64 exec, exec, s[18:19]
	s_cbranch_execz .LBB17_1
; %bb.113:                              ;   in Loop: Header=BB17_2 Depth=1
	v_lshlrev_b32_e32 v70, 2, v69
	ds_read_b32 v74, v70 offset:4
	s_waitcnt lgkmcnt(1)
	v_add_u32_e32 v72, 1, v69
	v_mov_b32_e32 v70, v69
	v_mov_b32_e32 v71, v73
	;; [unrolled: 1-line block ×4, first 2 shown]
	s_branch .LBB17_1
.LBB17_114:
	s_add_u32 s0, s38, s40
	s_waitcnt lgkmcnt(3)
	v_add_u32_e32 v1, v60, v55
	s_addc_u32 s1, s39, s41
	v_lshlrev_b32_e32 v0, 2, v0
	s_waitcnt lgkmcnt(2)
	v_add_u32_e32 v2, v62, v57
	s_waitcnt lgkmcnt(1)
	v_add_u32_e32 v3, v61, v56
	;; [unrolled: 2-line block ×3, first 2 shown]
	global_store_dword v0, v1, s[0:1]
	global_store_dword v0, v2, s[0:1] offset:512
	global_store_dword v0, v3, s[0:1] offset:1024
	;; [unrolled: 1-line block ×3, first 2 shown]
	s_endpgm
	.section	.rodata,"a",@progbits
	.p2align	6, 0x0
	.amdhsa_kernel _Z17sort_pairs_kernelIiLj128ELj4EN10test_utils4lessELj10EEvPKT_PS2_T2_
		.amdhsa_group_segment_fixed_size 2052
		.amdhsa_private_segment_fixed_size 0
		.amdhsa_kernarg_size 20
		.amdhsa_user_sgpr_count 6
		.amdhsa_user_sgpr_private_segment_buffer 1
		.amdhsa_user_sgpr_dispatch_ptr 0
		.amdhsa_user_sgpr_queue_ptr 0
		.amdhsa_user_sgpr_kernarg_segment_ptr 1
		.amdhsa_user_sgpr_dispatch_id 0
		.amdhsa_user_sgpr_flat_scratch_init 0
		.amdhsa_user_sgpr_private_segment_size 0
		.amdhsa_uses_dynamic_stack 0
		.amdhsa_system_sgpr_private_segment_wavefront_offset 0
		.amdhsa_system_sgpr_workgroup_id_x 1
		.amdhsa_system_sgpr_workgroup_id_y 0
		.amdhsa_system_sgpr_workgroup_id_z 0
		.amdhsa_system_sgpr_workgroup_info 0
		.amdhsa_system_vgpr_workitem_id 0
		.amdhsa_next_free_vgpr 75
		.amdhsa_next_free_sgpr 61
		.amdhsa_reserve_vcc 1
		.amdhsa_reserve_flat_scratch 0
		.amdhsa_float_round_mode_32 0
		.amdhsa_float_round_mode_16_64 0
		.amdhsa_float_denorm_mode_32 3
		.amdhsa_float_denorm_mode_16_64 3
		.amdhsa_dx10_clamp 1
		.amdhsa_ieee_mode 1
		.amdhsa_fp16_overflow 0
		.amdhsa_exception_fp_ieee_invalid_op 0
		.amdhsa_exception_fp_denorm_src 0
		.amdhsa_exception_fp_ieee_div_zero 0
		.amdhsa_exception_fp_ieee_overflow 0
		.amdhsa_exception_fp_ieee_underflow 0
		.amdhsa_exception_fp_ieee_inexact 0
		.amdhsa_exception_int_div_zero 0
	.end_amdhsa_kernel
	.section	.text._Z17sort_pairs_kernelIiLj128ELj4EN10test_utils4lessELj10EEvPKT_PS2_T2_,"axG",@progbits,_Z17sort_pairs_kernelIiLj128ELj4EN10test_utils4lessELj10EEvPKT_PS2_T2_,comdat
.Lfunc_end17:
	.size	_Z17sort_pairs_kernelIiLj128ELj4EN10test_utils4lessELj10EEvPKT_PS2_T2_, .Lfunc_end17-_Z17sort_pairs_kernelIiLj128ELj4EN10test_utils4lessELj10EEvPKT_PS2_T2_
                                        ; -- End function
	.set _Z17sort_pairs_kernelIiLj128ELj4EN10test_utils4lessELj10EEvPKT_PS2_T2_.num_vgpr, 75
	.set _Z17sort_pairs_kernelIiLj128ELj4EN10test_utils4lessELj10EEvPKT_PS2_T2_.num_agpr, 0
	.set _Z17sort_pairs_kernelIiLj128ELj4EN10test_utils4lessELj10EEvPKT_PS2_T2_.numbered_sgpr, 44
	.set _Z17sort_pairs_kernelIiLj128ELj4EN10test_utils4lessELj10EEvPKT_PS2_T2_.num_named_barrier, 0
	.set _Z17sort_pairs_kernelIiLj128ELj4EN10test_utils4lessELj10EEvPKT_PS2_T2_.private_seg_size, 0
	.set _Z17sort_pairs_kernelIiLj128ELj4EN10test_utils4lessELj10EEvPKT_PS2_T2_.uses_vcc, 1
	.set _Z17sort_pairs_kernelIiLj128ELj4EN10test_utils4lessELj10EEvPKT_PS2_T2_.uses_flat_scratch, 0
	.set _Z17sort_pairs_kernelIiLj128ELj4EN10test_utils4lessELj10EEvPKT_PS2_T2_.has_dyn_sized_stack, 0
	.set _Z17sort_pairs_kernelIiLj128ELj4EN10test_utils4lessELj10EEvPKT_PS2_T2_.has_recursion, 0
	.set _Z17sort_pairs_kernelIiLj128ELj4EN10test_utils4lessELj10EEvPKT_PS2_T2_.has_indirect_call, 0
	.section	.AMDGPU.csdata,"",@progbits
; Kernel info:
; codeLenInByte = 6156
; TotalNumSgprs: 48
; NumVgprs: 75
; ScratchSize: 0
; MemoryBound: 0
; FloatMode: 240
; IeeeMode: 1
; LDSByteSize: 2052 bytes/workgroup (compile time only)
; SGPRBlocks: 8
; VGPRBlocks: 18
; NumSGPRsForWavesPerEU: 65
; NumVGPRsForWavesPerEU: 75
; Occupancy: 3
; WaveLimiterHint : 1
; COMPUTE_PGM_RSRC2:SCRATCH_EN: 0
; COMPUTE_PGM_RSRC2:USER_SGPR: 6
; COMPUTE_PGM_RSRC2:TRAP_HANDLER: 0
; COMPUTE_PGM_RSRC2:TGID_X_EN: 1
; COMPUTE_PGM_RSRC2:TGID_Y_EN: 0
; COMPUTE_PGM_RSRC2:TGID_Z_EN: 0
; COMPUTE_PGM_RSRC2:TIDIG_COMP_CNT: 0
	.section	.text._Z16sort_keys_kernelIiLj128ELj8EN10test_utils4lessELj10EEvPKT_PS2_T2_,"axG",@progbits,_Z16sort_keys_kernelIiLj128ELj8EN10test_utils4lessELj10EEvPKT_PS2_T2_,comdat
	.protected	_Z16sort_keys_kernelIiLj128ELj8EN10test_utils4lessELj10EEvPKT_PS2_T2_ ; -- Begin function _Z16sort_keys_kernelIiLj128ELj8EN10test_utils4lessELj10EEvPKT_PS2_T2_
	.globl	_Z16sort_keys_kernelIiLj128ELj8EN10test_utils4lessELj10EEvPKT_PS2_T2_
	.p2align	8
	.type	_Z16sort_keys_kernelIiLj128ELj8EN10test_utils4lessELj10EEvPKT_PS2_T2_,@function
_Z16sort_keys_kernelIiLj128ELj8EN10test_utils4lessELj10EEvPKT_PS2_T2_: ; @_Z16sort_keys_kernelIiLj128ELj8EN10test_utils4lessELj10EEvPKT_PS2_T2_
; %bb.0:
	s_load_dwordx4 s[28:31], s[4:5], 0x0
	s_lshl_b32 s36, s6, 10
	s_mov_b32 s37, 0
	s_lshl_b64 s[34:35], s[36:37], 2
	v_lshlrev_b32_e32 v11, 2, v0
	s_waitcnt lgkmcnt(0)
	s_add_u32 s0, s28, s34
	s_addc_u32 s1, s29, s35
	global_load_dword v65, v11, s[0:1]
	global_load_dword v66, v11, s[0:1] offset:512
	global_load_dword v58, v11, s[0:1] offset:1024
	;; [unrolled: 1-line block ×7, first 2 shown]
	v_lshlrev_b32_e32 v34, 3, v0
	v_and_b32_e32 v1, 0x3f0, v34
	v_and_b32_e32 v4, 0x3e0, v34
	;; [unrolled: 1-line block ×6, first 2 shown]
	v_or_b32_e32 v2, 8, v1
	v_add_u32_e32 v3, 16, v1
	v_or_b32_e32 v5, 16, v4
	v_add_u32_e32 v6, 32, v4
	;; [unrolled: 2-line block ×6, first 2 shown]
	v_and_b32_e32 v36, 8, v34
	v_sub_u32_e32 v19, v3, v2
	v_and_b32_e32 v38, 24, v34
	v_sub_u32_e32 v21, v6, v5
	;; [unrolled: 2-line block ×6, first 2 shown]
	v_sub_u32_e32 v20, v36, v19
	v_sub_u32_e32 v22, v38, v21
	;; [unrolled: 1-line block ×6, first 2 shown]
	v_cmp_ge_i32_e32 vcc, v36, v19
	v_cmp_ge_i32_e64 s[0:1], v38, v21
	v_cmp_ge_i32_e64 s[2:3], v40, v23
	;; [unrolled: 1-line block ×5, first 2 shown]
	v_cndmask_b32_e32 v19, 0, v20, vcc
	v_sub_u32_e32 v20, v2, v1
	v_cndmask_b32_e64 v21, 0, v22, s[0:1]
	v_sub_u32_e32 v22, v5, v4
	v_cndmask_b32_e64 v23, 0, v24, s[2:3]
	;; [unrolled: 2-line block ×5, first 2 shown]
	v_sub_u32_e32 v30, v17, v16
	v_mov_b32_e32 v31, 0x200
	v_min_i32_e32 v20, v36, v20
	v_min_i32_e32 v22, v38, v22
	;; [unrolled: 1-line block ×6, first 2 shown]
	v_sub_u32_e64 v32, v34, v31 clamp
	v_min_i32_e32 v33, 0x200, v34
	v_add_u32_e32 v35, v2, v36
	v_lshlrev_b32_e32 v36, 2, v36
	v_add_u32_e32 v37, v5, v38
	v_lshlrev_b32_e32 v38, 2, v38
	;; [unrolled: 2-line block ×6, first 2 shown]
	v_lshlrev_b32_e32 v47, 5, v0
	v_cmp_lt_i32_e32 vcc, v19, v20
	v_cmp_lt_i32_e64 s[0:1], v21, v22
	v_cmp_lt_i32_e64 s[2:3], v23, v24
	;; [unrolled: 1-line block ×6, first 2 shown]
	v_add_u32_e32 v34, 0x200, v34
	v_lshl_add_u32 v36, v2, 2, v36
	v_lshl_add_u32 v38, v5, 2, v38
	v_lshl_add_u32 v40, v8, 2, v40
	v_lshl_add_u32 v42, v11, 2, v42
	v_lshl_add_u32 v44, v14, 2, v44
	v_lshl_add_u32 v46, v17, 2, v46
	s_movk_i32 s33, 0x400
	v_lshlrev_b32_e32 v48, 2, v1
	v_lshlrev_b32_e32 v49, 2, v4
	;; [unrolled: 1-line block ×6, first 2 shown]
	v_add_u32_e32 v54, 0x800, v47
	s_branch .LBB18_2
.LBB18_1:                               ;   in Loop: Header=BB18_2 Depth=1
	s_or_b64 exec, exec, s[26:27]
	v_cndmask_b32_e64 v66, v57, v58, s[14:15]
	v_cndmask_b32_e64 v58, v59, v60, s[16:17]
	v_cmp_ge_i32_e64 s[14:15], v73, v31
	s_waitcnt lgkmcnt(0)
	v_cmp_lt_i32_e64 s[16:17], v74, v72
	v_cndmask_b32_e64 v65, v55, v56, s[12:13]
	v_cmp_gt_i32_e64 s[12:13], s33, v71
	s_or_b64 s[14:15], s[14:15], s[16:17]
	s_and_b64 s[12:13], s[12:13], s[14:15]
	s_add_i32 s37, s37, 1
	v_cndmask_b32_e64 v59, v61, v62, s[18:19]
	v_cndmask_b32_e64 v56, v63, v64, s[20:21]
	;; [unrolled: 1-line block ×4, first 2 shown]
	s_cmp_eq_u32 s37, 10
	v_cndmask_b32_e64 v60, v72, v74, s[12:13]
	s_cbranch_scc1 .LBB18_226
.LBB18_2:                               ; =>This Loop Header: Depth=1
                                        ;     Child Loop BB18_4 Depth 2
                                        ;     Child Loop BB18_36 Depth 2
                                        ;     Child Loop BB18_68 Depth 2
                                        ;     Child Loop BB18_100 Depth 2
                                        ;     Child Loop BB18_132 Depth 2
                                        ;     Child Loop BB18_164 Depth 2
                                        ;     Child Loop BB18_196 Depth 2
	s_waitcnt vmcnt(6)
	v_cmp_lt_i32_e64 s[12:13], v66, v65
	v_cndmask_b32_e64 v61, v65, v66, s[12:13]
	v_cndmask_b32_e64 v62, v66, v65, s[12:13]
	s_waitcnt vmcnt(4)
	v_cmp_lt_i32_e64 s[12:13], v59, v58
	v_min_i32_e32 v63, v66, v65
	v_max_i32_e32 v64, v66, v65
	v_cndmask_b32_e64 v65, v59, v58, s[12:13]
	v_cndmask_b32_e64 v66, v58, v59, s[12:13]
	s_waitcnt vmcnt(2)
	v_cmp_lt_i32_e64 s[12:13], v57, v56
	v_max_i32_e32 v67, v59, v58
	v_min_i32_e32 v58, v59, v58
	v_cndmask_b32_e64 v59, v57, v56, s[12:13]
	v_cndmask_b32_e64 v68, v56, v57, s[12:13]
	s_waitcnt vmcnt(0)
	v_cmp_lt_i32_e64 s[12:13], v60, v55
	v_max_i32_e32 v69, v57, v56
	v_min_i32_e32 v56, v57, v56
	v_cndmask_b32_e64 v57, v60, v55, s[12:13]
	v_cndmask_b32_e64 v70, v55, v60, s[12:13]
	v_cmp_lt_i32_e64 s[12:13], v58, v64
	v_max_i32_e32 v71, v60, v55
	v_min_i32_e32 v55, v60, v55
	v_cndmask_b32_e64 v60, v66, v64, s[12:13]
	v_cndmask_b32_e64 v62, v62, v58, s[12:13]
	v_cmp_lt_i32_e64 s[12:13], v56, v67
	v_cndmask_b32_e64 v68, v68, v67, s[12:13]
	v_cndmask_b32_e64 v65, v65, v56, s[12:13]
	v_cmp_lt_i32_e64 s[12:13], v55, v69
	v_max_i32_e32 v66, v58, v64
	v_min_i32_e32 v64, v58, v64
	v_max_i32_e32 v72, v56, v67
	v_min_i32_e32 v56, v56, v67
	v_cndmask_b32_e64 v67, v70, v69, s[12:13]
	v_cndmask_b32_e64 v59, v59, v55, s[12:13]
	v_cmp_lt_i32_e64 s[12:13], v58, v63
	v_max_i32_e32 v70, v55, v69
	v_min_i32_e32 v55, v55, v69
	v_cndmask_b32_e64 v58, v61, v64, s[12:13]
	v_cndmask_b32_e64 v61, v62, v63, s[12:13]
	;; [unrolled: 1-line block ×4, first 2 shown]
	v_cmp_lt_i32_e64 s[12:13], v56, v66
	v_cndmask_b32_e64 v64, v65, v66, s[12:13]
	v_cndmask_b32_e64 v60, v60, v56, s[12:13]
	v_cmp_lt_i32_e64 s[12:13], v55, v72
	v_max_i32_e32 v65, v56, v66
	v_min_i32_e32 v56, v56, v66
	v_cndmask_b32_e64 v59, v59, v72, s[12:13]
	v_cndmask_b32_e64 v66, v68, v55, s[12:13]
	v_cmp_gt_i32_e64 s[12:13], v69, v71
	v_max_i32_e32 v68, v55, v72
	v_min_i32_e32 v55, v55, v72
	v_cndmask_b32_e64 v57, v57, v70, s[12:13]
	v_cndmask_b32_e64 v67, v67, v71, s[12:13]
	;; [unrolled: 1-line block ×4, first 2 shown]
	v_cmp_lt_i32_e64 s[12:13], v56, v63
	v_cndmask_b32_e64 v60, v60, v63, s[12:13]
	v_cndmask_b32_e64 v61, v61, v56, s[12:13]
	v_cmp_lt_i32_e64 s[12:13], v55, v65
	v_max_i32_e32 v71, v56, v63
	v_min_i32_e32 v56, v56, v63
	v_cndmask_b32_e64 v63, v66, v65, s[12:13]
	v_cndmask_b32_e64 v64, v64, v55, s[12:13]
	v_cmp_lt_i32_e64 s[12:13], v70, v68
	v_max_i32_e32 v66, v55, v65
	v_min_i32_e32 v55, v55, v65
	;; [unrolled: 5-line block ×3, first 2 shown]
	v_cndmask_b32_e64 v58, v58, v56, s[12:13]
	v_cndmask_b32_e64 v61, v61, v62, s[12:13]
	v_cmp_lt_i32_e64 s[12:13], v55, v71
	v_min_i32_e32 v70, v56, v62
	v_max_i32_e32 v56, v56, v62
	v_cndmask_b32_e64 v62, v64, v71, s[12:13]
	v_cndmask_b32_e64 v60, v60, v55, s[12:13]
	v_cmp_lt_i32_e64 s[12:13], v68, v66
	v_max_i32_e32 v64, v55, v71
	v_min_i32_e32 v55, v55, v71
	v_cndmask_b32_e64 v59, v59, v66, s[12:13]
	v_cndmask_b32_e64 v63, v63, v68, s[12:13]
	v_cmp_lt_i32_e64 s[12:13], v69, v67
	v_max_i32_e32 v71, v68, v66
	v_min_i32_e32 v66, v68, v66
	;; [unrolled: 5-line block ×3, first 2 shown]
	v_cndmask_b32_e64 v61, v61, v55, s[12:13]
	v_cndmask_b32_e64 v60, v60, v56, s[12:13]
	v_cmp_lt_i32_e64 s[12:13], v66, v64
	v_cndmask_b32_e64 v63, v63, v64, s[12:13]
	v_cndmask_b32_e64 v62, v62, v66, s[12:13]
	v_cmp_lt_i32_e64 s[12:13], v67, v71
	v_max_i32_e32 v69, v55, v56
	v_min_i32_e32 v56, v55, v56
	v_max_i32_e32 v72, v66, v64
	v_min_i32_e32 v64, v66, v64
	v_cndmask_b32_e64 v65, v65, v71, s[12:13]
	v_cndmask_b32_e64 v59, v59, v67, s[12:13]
	v_cmp_lt_i32_e64 s[12:13], v55, v70
	v_max_i32_e32 v66, v67, v71
	v_min_i32_e32 v67, v67, v71
	v_cndmask_b32_e64 v55, v58, v56, s[12:13]
	v_cndmask_b32_e64 v58, v61, v70, s[12:13]
	;; [unrolled: 1-line block ×3, first 2 shown]
	v_cmp_lt_i32_e64 s[12:13], v64, v69
	v_cndmask_b32_e64 v60, v60, v64, s[12:13]
	v_cndmask_b32_e64 v61, v62, v69, s[12:13]
	v_cmp_lt_i32_e64 s[12:13], v67, v72
	v_max_i32_e32 v62, v64, v69
	v_min_i32_e32 v64, v64, v69
	v_cndmask_b32_e64 v59, v59, v72, s[12:13]
	v_cndmask_b32_e64 v63, v63, v67, s[12:13]
	v_cmp_gt_i32_e64 s[12:13], v71, v68
	v_max_i32_e32 v69, v67, v72
	v_min_i32_e32 v67, v67, v72
	v_cndmask_b32_e64 v57, v57, v66, s[12:13]
	v_cndmask_b32_e64 v65, v65, v68, s[12:13]
	;; [unrolled: 1-line block ×3, first 2 shown]
	v_cmp_lt_i32_e64 s[12:13], v64, v56
	v_cndmask_b32_e64 v56, v60, v56, s[12:13]
	v_cndmask_b32_e64 v58, v58, v64, s[12:13]
	v_cmp_lt_i32_e64 s[12:13], v67, v62
	v_cndmask_b32_e64 v60, v63, v62, s[12:13]
	v_cndmask_b32_e64 v61, v61, v67, s[12:13]
	;; [unrolled: 3-line block ×3, first 2 shown]
	s_barrier
	ds_write2_b32 v47, v55, v58 offset1:1
	ds_write2_b32 v47, v56, v61 offset0:2 offset1:3
	ds_write2_b32 v47, v60, v59 offset0:4 offset1:5
	;; [unrolled: 1-line block ×3, first 2 shown]
	v_mov_b32_e32 v57, v19
	s_waitcnt lgkmcnt(0)
	s_barrier
	s_and_saveexec_b64 s[14:15], vcc
	s_cbranch_execz .LBB18_6
; %bb.3:                                ;   in Loop: Header=BB18_2 Depth=1
	s_mov_b64 s[16:17], 0
	v_mov_b32_e32 v57, v19
	v_mov_b32_e32 v55, v20
.LBB18_4:                               ;   Parent Loop BB18_2 Depth=1
                                        ; =>  This Inner Loop Header: Depth=2
	v_sub_u32_e32 v56, v55, v57
	v_lshrrev_b32_e32 v56, 1, v56
	v_add_u32_e32 v56, v56, v57
	v_not_b32_e32 v59, v56
	v_lshl_add_u32 v58, v56, 2, v48
	v_lshl_add_u32 v59, v59, 2, v36
	ds_read_b32 v58, v58
	ds_read_b32 v59, v59
	v_add_u32_e32 v60, 1, v56
	s_waitcnt lgkmcnt(0)
	v_cmp_lt_i32_e64 s[12:13], v59, v58
	v_cndmask_b32_e64 v55, v55, v56, s[12:13]
	v_cndmask_b32_e64 v57, v60, v57, s[12:13]
	v_cmp_ge_i32_e64 s[12:13], v57, v55
	s_or_b64 s[16:17], s[12:13], s[16:17]
	s_andn2_b64 exec, exec, s[16:17]
	s_cbranch_execnz .LBB18_4
; %bb.5:                                ;   in Loop: Header=BB18_2 Depth=1
	s_or_b64 exec, exec, s[16:17]
.LBB18_6:                               ;   in Loop: Header=BB18_2 Depth=1
	s_or_b64 exec, exec, s[14:15]
	v_sub_u32_e32 v59, v35, v57
	v_lshl_add_u32 v58, v57, 2, v48
	v_lshlrev_b32_e32 v61, 2, v59
	ds_read_b32 v55, v58
	ds_read_b32 v56, v61
	v_add_u32_e32 v60, v57, v1
	v_cmp_le_i32_e64 s[14:15], v2, v60
	v_cmp_gt_i32_e64 s[12:13], v3, v59
                                        ; implicit-def: $vgpr57
	s_waitcnt lgkmcnt(0)
	v_cmp_lt_i32_e64 s[16:17], v56, v55
	s_or_b64 s[14:15], s[14:15], s[16:17]
	s_and_b64 s[12:13], s[12:13], s[14:15]
	s_xor_b64 s[14:15], s[12:13], -1
	s_and_saveexec_b64 s[16:17], s[14:15]
	s_xor_b64 s[14:15], exec, s[16:17]
; %bb.7:                                ;   in Loop: Header=BB18_2 Depth=1
	ds_read_b32 v57, v58 offset:4
                                        ; implicit-def: $vgpr61
; %bb.8:                                ;   in Loop: Header=BB18_2 Depth=1
	s_or_saveexec_b64 s[14:15], s[14:15]
	v_mov_b32_e32 v58, v56
	s_xor_b64 exec, exec, s[14:15]
	s_cbranch_execz .LBB18_10
; %bb.9:                                ;   in Loop: Header=BB18_2 Depth=1
	ds_read_b32 v58, v61 offset:4
	s_waitcnt lgkmcnt(1)
	v_mov_b32_e32 v57, v55
.LBB18_10:                              ;   in Loop: Header=BB18_2 Depth=1
	s_or_b64 exec, exec, s[14:15]
	v_add_u32_e32 v62, 1, v60
	v_add_u32_e32 v61, 1, v59
	v_cndmask_b32_e64 v62, v62, v60, s[12:13]
	v_cndmask_b32_e64 v61, v59, v61, s[12:13]
	v_cmp_ge_i32_e64 s[16:17], v62, v2
	s_waitcnt lgkmcnt(0)
	v_cmp_lt_i32_e64 s[18:19], v58, v57
	v_cmp_lt_i32_e64 s[14:15], v61, v3
	s_or_b64 s[16:17], s[16:17], s[18:19]
	s_and_b64 s[14:15], s[14:15], s[16:17]
	s_xor_b64 s[16:17], s[14:15], -1
                                        ; implicit-def: $vgpr59
	s_and_saveexec_b64 s[18:19], s[16:17]
	s_xor_b64 s[16:17], exec, s[18:19]
; %bb.11:                               ;   in Loop: Header=BB18_2 Depth=1
	v_lshlrev_b32_e32 v59, 2, v62
	ds_read_b32 v59, v59 offset:4
; %bb.12:                               ;   in Loop: Header=BB18_2 Depth=1
	s_or_saveexec_b64 s[16:17], s[16:17]
	v_mov_b32_e32 v60, v58
	s_xor_b64 exec, exec, s[16:17]
	s_cbranch_execz .LBB18_14
; %bb.13:                               ;   in Loop: Header=BB18_2 Depth=1
	s_waitcnt lgkmcnt(0)
	v_lshlrev_b32_e32 v59, 2, v61
	ds_read_b32 v60, v59 offset:4
	v_mov_b32_e32 v59, v57
.LBB18_14:                              ;   in Loop: Header=BB18_2 Depth=1
	s_or_b64 exec, exec, s[16:17]
	v_add_u32_e32 v64, 1, v62
	v_add_u32_e32 v63, 1, v61
	v_cndmask_b32_e64 v64, v64, v62, s[14:15]
	v_cndmask_b32_e64 v63, v61, v63, s[14:15]
	v_cmp_ge_i32_e64 s[18:19], v64, v2
	s_waitcnt lgkmcnt(0)
	v_cmp_lt_i32_e64 s[20:21], v60, v59
	v_cmp_lt_i32_e64 s[16:17], v63, v3
	s_or_b64 s[18:19], s[18:19], s[20:21]
	s_and_b64 s[16:17], s[16:17], s[18:19]
	s_xor_b64 s[18:19], s[16:17], -1
                                        ; implicit-def: $vgpr61
	s_and_saveexec_b64 s[20:21], s[18:19]
	s_xor_b64 s[18:19], exec, s[20:21]
; %bb.15:                               ;   in Loop: Header=BB18_2 Depth=1
	v_lshlrev_b32_e32 v61, 2, v64
	ds_read_b32 v61, v61 offset:4
; %bb.16:                               ;   in Loop: Header=BB18_2 Depth=1
	s_or_saveexec_b64 s[18:19], s[18:19]
	v_mov_b32_e32 v62, v60
	s_xor_b64 exec, exec, s[18:19]
	s_cbranch_execz .LBB18_18
; %bb.17:                               ;   in Loop: Header=BB18_2 Depth=1
	s_waitcnt lgkmcnt(0)
	v_lshlrev_b32_e32 v61, 2, v63
	ds_read_b32 v62, v61 offset:4
	v_mov_b32_e32 v61, v59
.LBB18_18:                              ;   in Loop: Header=BB18_2 Depth=1
	s_or_b64 exec, exec, s[18:19]
	v_add_u32_e32 v66, 1, v64
	v_add_u32_e32 v65, 1, v63
	v_cndmask_b32_e64 v66, v66, v64, s[16:17]
	v_cndmask_b32_e64 v65, v63, v65, s[16:17]
	v_cmp_ge_i32_e64 s[20:21], v66, v2
	s_waitcnt lgkmcnt(0)
	v_cmp_lt_i32_e64 s[22:23], v62, v61
	v_cmp_lt_i32_e64 s[18:19], v65, v3
	s_or_b64 s[20:21], s[20:21], s[22:23]
	s_and_b64 s[18:19], s[18:19], s[20:21]
	s_xor_b64 s[20:21], s[18:19], -1
                                        ; implicit-def: $vgpr63
	s_and_saveexec_b64 s[22:23], s[20:21]
	s_xor_b64 s[20:21], exec, s[22:23]
; %bb.19:                               ;   in Loop: Header=BB18_2 Depth=1
	v_lshlrev_b32_e32 v63, 2, v66
	ds_read_b32 v63, v63 offset:4
; %bb.20:                               ;   in Loop: Header=BB18_2 Depth=1
	s_or_saveexec_b64 s[20:21], s[20:21]
	v_mov_b32_e32 v64, v62
	s_xor_b64 exec, exec, s[20:21]
	s_cbranch_execz .LBB18_22
; %bb.21:                               ;   in Loop: Header=BB18_2 Depth=1
	s_waitcnt lgkmcnt(0)
	v_lshlrev_b32_e32 v63, 2, v65
	ds_read_b32 v64, v63 offset:4
	v_mov_b32_e32 v63, v61
.LBB18_22:                              ;   in Loop: Header=BB18_2 Depth=1
	s_or_b64 exec, exec, s[20:21]
	v_add_u32_e32 v68, 1, v66
	v_add_u32_e32 v67, 1, v65
	v_cndmask_b32_e64 v68, v68, v66, s[18:19]
	v_cndmask_b32_e64 v67, v65, v67, s[18:19]
	v_cmp_ge_i32_e64 s[22:23], v68, v2
	s_waitcnt lgkmcnt(0)
	v_cmp_lt_i32_e64 s[24:25], v64, v63
	v_cmp_lt_i32_e64 s[20:21], v67, v3
	s_or_b64 s[22:23], s[22:23], s[24:25]
	s_and_b64 s[20:21], s[20:21], s[22:23]
	s_xor_b64 s[22:23], s[20:21], -1
                                        ; implicit-def: $vgpr65
	s_and_saveexec_b64 s[24:25], s[22:23]
	s_xor_b64 s[22:23], exec, s[24:25]
; %bb.23:                               ;   in Loop: Header=BB18_2 Depth=1
	v_lshlrev_b32_e32 v65, 2, v68
	ds_read_b32 v65, v65 offset:4
; %bb.24:                               ;   in Loop: Header=BB18_2 Depth=1
	s_or_saveexec_b64 s[22:23], s[22:23]
	v_mov_b32_e32 v66, v64
	s_xor_b64 exec, exec, s[22:23]
	s_cbranch_execz .LBB18_26
; %bb.25:                               ;   in Loop: Header=BB18_2 Depth=1
	s_waitcnt lgkmcnt(0)
	v_lshlrev_b32_e32 v65, 2, v67
	ds_read_b32 v66, v65 offset:4
	v_mov_b32_e32 v65, v63
.LBB18_26:                              ;   in Loop: Header=BB18_2 Depth=1
	s_or_b64 exec, exec, s[22:23]
	v_add_u32_e32 v70, 1, v68
	v_add_u32_e32 v69, 1, v67
	v_cndmask_b32_e64 v70, v70, v68, s[20:21]
	v_cndmask_b32_e64 v69, v67, v69, s[20:21]
	v_cmp_ge_i32_e64 s[24:25], v70, v2
	s_waitcnt lgkmcnt(0)
	v_cmp_lt_i32_e64 s[26:27], v66, v65
	v_cmp_lt_i32_e64 s[22:23], v69, v3
	s_or_b64 s[24:25], s[24:25], s[26:27]
	s_and_b64 s[22:23], s[22:23], s[24:25]
	s_xor_b64 s[24:25], s[22:23], -1
                                        ; implicit-def: $vgpr67
	s_and_saveexec_b64 s[26:27], s[24:25]
	s_xor_b64 s[24:25], exec, s[26:27]
; %bb.27:                               ;   in Loop: Header=BB18_2 Depth=1
	v_lshlrev_b32_e32 v67, 2, v70
	ds_read_b32 v67, v67 offset:4
; %bb.28:                               ;   in Loop: Header=BB18_2 Depth=1
	s_or_saveexec_b64 s[24:25], s[24:25]
	v_mov_b32_e32 v68, v66
	s_xor_b64 exec, exec, s[24:25]
	s_cbranch_execz .LBB18_30
; %bb.29:                               ;   in Loop: Header=BB18_2 Depth=1
	s_waitcnt lgkmcnt(0)
	v_lshlrev_b32_e32 v67, 2, v69
	ds_read_b32 v68, v67 offset:4
	v_mov_b32_e32 v67, v65
.LBB18_30:                              ;   in Loop: Header=BB18_2 Depth=1
	s_or_b64 exec, exec, s[24:25]
	v_add_u32_e32 v72, 1, v70
	v_add_u32_e32 v71, 1, v69
	v_cndmask_b32_e64 v70, v72, v70, s[22:23]
	v_cndmask_b32_e64 v69, v69, v71, s[22:23]
	v_cmp_ge_i32_e64 s[26:27], v70, v2
	s_waitcnt lgkmcnt(0)
	v_cmp_lt_i32_e64 s[28:29], v68, v67
	v_cmp_lt_i32_e64 s[24:25], v69, v3
	s_or_b64 s[26:27], s[26:27], s[28:29]
	s_and_b64 s[24:25], s[24:25], s[26:27]
	s_xor_b64 s[26:27], s[24:25], -1
                                        ; implicit-def: $vgpr71
	s_and_saveexec_b64 s[28:29], s[26:27]
	s_xor_b64 s[26:27], exec, s[28:29]
; %bb.31:                               ;   in Loop: Header=BB18_2 Depth=1
	v_lshlrev_b32_e32 v71, 2, v70
	ds_read_b32 v71, v71 offset:4
; %bb.32:                               ;   in Loop: Header=BB18_2 Depth=1
	s_or_saveexec_b64 s[26:27], s[26:27]
	v_mov_b32_e32 v72, v68
	s_xor_b64 exec, exec, s[26:27]
	s_cbranch_execz .LBB18_34
; %bb.33:                               ;   in Loop: Header=BB18_2 Depth=1
	s_waitcnt lgkmcnt(0)
	v_lshlrev_b32_e32 v71, 2, v69
	ds_read_b32 v72, v71 offset:4
	v_mov_b32_e32 v71, v67
.LBB18_34:                              ;   in Loop: Header=BB18_2 Depth=1
	s_or_b64 exec, exec, s[26:27]
	v_cndmask_b32_e64 v67, v67, v68, s[24:25]
	v_add_u32_e32 v68, 1, v69
	v_add_u32_e32 v73, 1, v70
	v_cndmask_b32_e64 v68, v69, v68, s[24:25]
	v_cndmask_b32_e64 v69, v73, v70, s[24:25]
	;; [unrolled: 1-line block ×4, first 2 shown]
	v_cmp_ge_i32_e64 s[14:15], v69, v2
	s_waitcnt lgkmcnt(0)
	v_cmp_lt_i32_e64 s[16:17], v72, v71
	v_cndmask_b32_e64 v55, v55, v56, s[12:13]
	v_cmp_lt_i32_e64 s[12:13], v68, v3
	s_or_b64 s[14:15], s[14:15], s[16:17]
	s_and_b64 s[12:13], s[12:13], s[14:15]
	v_cndmask_b32_e64 v65, v65, v66, s[22:23]
	v_cndmask_b32_e64 v63, v63, v64, s[20:21]
	v_cndmask_b32_e64 v61, v61, v62, s[18:19]
	v_cndmask_b32_e64 v56, v71, v72, s[12:13]
	s_barrier
	ds_write2_b32 v47, v55, v57 offset1:1
	ds_write2_b32 v47, v59, v61 offset0:2 offset1:3
	ds_write2_b32 v47, v63, v65 offset0:4 offset1:5
	;; [unrolled: 1-line block ×3, first 2 shown]
	v_mov_b32_e32 v57, v21
	s_waitcnt lgkmcnt(0)
	s_barrier
	s_and_saveexec_b64 s[14:15], s[0:1]
	s_cbranch_execz .LBB18_38
; %bb.35:                               ;   in Loop: Header=BB18_2 Depth=1
	s_mov_b64 s[16:17], 0
	v_mov_b32_e32 v57, v21
	v_mov_b32_e32 v55, v22
.LBB18_36:                              ;   Parent Loop BB18_2 Depth=1
                                        ; =>  This Inner Loop Header: Depth=2
	v_sub_u32_e32 v56, v55, v57
	v_lshrrev_b32_e32 v56, 1, v56
	v_add_u32_e32 v56, v56, v57
	v_not_b32_e32 v59, v56
	v_lshl_add_u32 v58, v56, 2, v49
	v_lshl_add_u32 v59, v59, 2, v38
	ds_read_b32 v58, v58
	ds_read_b32 v59, v59
	v_add_u32_e32 v60, 1, v56
	s_waitcnt lgkmcnt(0)
	v_cmp_lt_i32_e64 s[12:13], v59, v58
	v_cndmask_b32_e64 v55, v55, v56, s[12:13]
	v_cndmask_b32_e64 v57, v60, v57, s[12:13]
	v_cmp_ge_i32_e64 s[12:13], v57, v55
	s_or_b64 s[16:17], s[12:13], s[16:17]
	s_andn2_b64 exec, exec, s[16:17]
	s_cbranch_execnz .LBB18_36
; %bb.37:                               ;   in Loop: Header=BB18_2 Depth=1
	s_or_b64 exec, exec, s[16:17]
.LBB18_38:                              ;   in Loop: Header=BB18_2 Depth=1
	s_or_b64 exec, exec, s[14:15]
	v_sub_u32_e32 v59, v37, v57
	v_lshl_add_u32 v58, v57, 2, v49
	v_lshlrev_b32_e32 v61, 2, v59
	ds_read_b32 v55, v58
	ds_read_b32 v56, v61
	v_add_u32_e32 v60, v57, v4
	v_cmp_le_i32_e64 s[14:15], v5, v60
	v_cmp_gt_i32_e64 s[12:13], v6, v59
                                        ; implicit-def: $vgpr57
	s_waitcnt lgkmcnt(0)
	v_cmp_lt_i32_e64 s[16:17], v56, v55
	s_or_b64 s[14:15], s[14:15], s[16:17]
	s_and_b64 s[12:13], s[12:13], s[14:15]
	s_xor_b64 s[14:15], s[12:13], -1
	s_and_saveexec_b64 s[16:17], s[14:15]
	s_xor_b64 s[14:15], exec, s[16:17]
; %bb.39:                               ;   in Loop: Header=BB18_2 Depth=1
	ds_read_b32 v57, v58 offset:4
                                        ; implicit-def: $vgpr61
; %bb.40:                               ;   in Loop: Header=BB18_2 Depth=1
	s_or_saveexec_b64 s[14:15], s[14:15]
	v_mov_b32_e32 v58, v56
	s_xor_b64 exec, exec, s[14:15]
	s_cbranch_execz .LBB18_42
; %bb.41:                               ;   in Loop: Header=BB18_2 Depth=1
	ds_read_b32 v58, v61 offset:4
	s_waitcnt lgkmcnt(1)
	v_mov_b32_e32 v57, v55
.LBB18_42:                              ;   in Loop: Header=BB18_2 Depth=1
	s_or_b64 exec, exec, s[14:15]
	v_add_u32_e32 v62, 1, v60
	v_add_u32_e32 v61, 1, v59
	v_cndmask_b32_e64 v62, v62, v60, s[12:13]
	v_cndmask_b32_e64 v61, v59, v61, s[12:13]
	v_cmp_ge_i32_e64 s[16:17], v62, v5
	s_waitcnt lgkmcnt(0)
	v_cmp_lt_i32_e64 s[18:19], v58, v57
	v_cmp_lt_i32_e64 s[14:15], v61, v6
	s_or_b64 s[16:17], s[16:17], s[18:19]
	s_and_b64 s[14:15], s[14:15], s[16:17]
	s_xor_b64 s[16:17], s[14:15], -1
                                        ; implicit-def: $vgpr59
	s_and_saveexec_b64 s[18:19], s[16:17]
	s_xor_b64 s[16:17], exec, s[18:19]
; %bb.43:                               ;   in Loop: Header=BB18_2 Depth=1
	v_lshlrev_b32_e32 v59, 2, v62
	ds_read_b32 v59, v59 offset:4
; %bb.44:                               ;   in Loop: Header=BB18_2 Depth=1
	s_or_saveexec_b64 s[16:17], s[16:17]
	v_mov_b32_e32 v60, v58
	s_xor_b64 exec, exec, s[16:17]
	s_cbranch_execz .LBB18_46
; %bb.45:                               ;   in Loop: Header=BB18_2 Depth=1
	s_waitcnt lgkmcnt(0)
	v_lshlrev_b32_e32 v59, 2, v61
	ds_read_b32 v60, v59 offset:4
	v_mov_b32_e32 v59, v57
.LBB18_46:                              ;   in Loop: Header=BB18_2 Depth=1
	s_or_b64 exec, exec, s[16:17]
	v_add_u32_e32 v64, 1, v62
	v_add_u32_e32 v63, 1, v61
	v_cndmask_b32_e64 v64, v64, v62, s[14:15]
	v_cndmask_b32_e64 v63, v61, v63, s[14:15]
	v_cmp_ge_i32_e64 s[18:19], v64, v5
	s_waitcnt lgkmcnt(0)
	v_cmp_lt_i32_e64 s[20:21], v60, v59
	v_cmp_lt_i32_e64 s[16:17], v63, v6
	s_or_b64 s[18:19], s[18:19], s[20:21]
	s_and_b64 s[16:17], s[16:17], s[18:19]
	s_xor_b64 s[18:19], s[16:17], -1
                                        ; implicit-def: $vgpr61
	s_and_saveexec_b64 s[20:21], s[18:19]
	s_xor_b64 s[18:19], exec, s[20:21]
; %bb.47:                               ;   in Loop: Header=BB18_2 Depth=1
	v_lshlrev_b32_e32 v61, 2, v64
	ds_read_b32 v61, v61 offset:4
; %bb.48:                               ;   in Loop: Header=BB18_2 Depth=1
	s_or_saveexec_b64 s[18:19], s[18:19]
	v_mov_b32_e32 v62, v60
	s_xor_b64 exec, exec, s[18:19]
	s_cbranch_execz .LBB18_50
; %bb.49:                               ;   in Loop: Header=BB18_2 Depth=1
	s_waitcnt lgkmcnt(0)
	v_lshlrev_b32_e32 v61, 2, v63
	ds_read_b32 v62, v61 offset:4
	v_mov_b32_e32 v61, v59
.LBB18_50:                              ;   in Loop: Header=BB18_2 Depth=1
	s_or_b64 exec, exec, s[18:19]
	v_add_u32_e32 v66, 1, v64
	v_add_u32_e32 v65, 1, v63
	v_cndmask_b32_e64 v66, v66, v64, s[16:17]
	v_cndmask_b32_e64 v65, v63, v65, s[16:17]
	v_cmp_ge_i32_e64 s[20:21], v66, v5
	s_waitcnt lgkmcnt(0)
	v_cmp_lt_i32_e64 s[22:23], v62, v61
	v_cmp_lt_i32_e64 s[18:19], v65, v6
	s_or_b64 s[20:21], s[20:21], s[22:23]
	s_and_b64 s[18:19], s[18:19], s[20:21]
	s_xor_b64 s[20:21], s[18:19], -1
                                        ; implicit-def: $vgpr63
	s_and_saveexec_b64 s[22:23], s[20:21]
	s_xor_b64 s[20:21], exec, s[22:23]
; %bb.51:                               ;   in Loop: Header=BB18_2 Depth=1
	v_lshlrev_b32_e32 v63, 2, v66
	ds_read_b32 v63, v63 offset:4
; %bb.52:                               ;   in Loop: Header=BB18_2 Depth=1
	s_or_saveexec_b64 s[20:21], s[20:21]
	v_mov_b32_e32 v64, v62
	s_xor_b64 exec, exec, s[20:21]
	s_cbranch_execz .LBB18_54
; %bb.53:                               ;   in Loop: Header=BB18_2 Depth=1
	s_waitcnt lgkmcnt(0)
	v_lshlrev_b32_e32 v63, 2, v65
	ds_read_b32 v64, v63 offset:4
	v_mov_b32_e32 v63, v61
.LBB18_54:                              ;   in Loop: Header=BB18_2 Depth=1
	s_or_b64 exec, exec, s[20:21]
	v_add_u32_e32 v68, 1, v66
	v_add_u32_e32 v67, 1, v65
	v_cndmask_b32_e64 v68, v68, v66, s[18:19]
	v_cndmask_b32_e64 v67, v65, v67, s[18:19]
	v_cmp_ge_i32_e64 s[22:23], v68, v5
	s_waitcnt lgkmcnt(0)
	v_cmp_lt_i32_e64 s[24:25], v64, v63
	v_cmp_lt_i32_e64 s[20:21], v67, v6
	s_or_b64 s[22:23], s[22:23], s[24:25]
	s_and_b64 s[20:21], s[20:21], s[22:23]
	s_xor_b64 s[22:23], s[20:21], -1
                                        ; implicit-def: $vgpr65
	s_and_saveexec_b64 s[24:25], s[22:23]
	s_xor_b64 s[22:23], exec, s[24:25]
; %bb.55:                               ;   in Loop: Header=BB18_2 Depth=1
	v_lshlrev_b32_e32 v65, 2, v68
	ds_read_b32 v65, v65 offset:4
; %bb.56:                               ;   in Loop: Header=BB18_2 Depth=1
	s_or_saveexec_b64 s[22:23], s[22:23]
	v_mov_b32_e32 v66, v64
	s_xor_b64 exec, exec, s[22:23]
	s_cbranch_execz .LBB18_58
; %bb.57:                               ;   in Loop: Header=BB18_2 Depth=1
	s_waitcnt lgkmcnt(0)
	v_lshlrev_b32_e32 v65, 2, v67
	ds_read_b32 v66, v65 offset:4
	v_mov_b32_e32 v65, v63
.LBB18_58:                              ;   in Loop: Header=BB18_2 Depth=1
	s_or_b64 exec, exec, s[22:23]
	v_add_u32_e32 v70, 1, v68
	v_add_u32_e32 v69, 1, v67
	v_cndmask_b32_e64 v70, v70, v68, s[20:21]
	v_cndmask_b32_e64 v69, v67, v69, s[20:21]
	v_cmp_ge_i32_e64 s[24:25], v70, v5
	s_waitcnt lgkmcnt(0)
	v_cmp_lt_i32_e64 s[26:27], v66, v65
	v_cmp_lt_i32_e64 s[22:23], v69, v6
	s_or_b64 s[24:25], s[24:25], s[26:27]
	s_and_b64 s[22:23], s[22:23], s[24:25]
	s_xor_b64 s[24:25], s[22:23], -1
                                        ; implicit-def: $vgpr67
	s_and_saveexec_b64 s[26:27], s[24:25]
	s_xor_b64 s[24:25], exec, s[26:27]
; %bb.59:                               ;   in Loop: Header=BB18_2 Depth=1
	v_lshlrev_b32_e32 v67, 2, v70
	ds_read_b32 v67, v67 offset:4
; %bb.60:                               ;   in Loop: Header=BB18_2 Depth=1
	s_or_saveexec_b64 s[24:25], s[24:25]
	v_mov_b32_e32 v68, v66
	s_xor_b64 exec, exec, s[24:25]
	s_cbranch_execz .LBB18_62
; %bb.61:                               ;   in Loop: Header=BB18_2 Depth=1
	s_waitcnt lgkmcnt(0)
	v_lshlrev_b32_e32 v67, 2, v69
	ds_read_b32 v68, v67 offset:4
	v_mov_b32_e32 v67, v65
.LBB18_62:                              ;   in Loop: Header=BB18_2 Depth=1
	s_or_b64 exec, exec, s[24:25]
	v_add_u32_e32 v72, 1, v70
	v_add_u32_e32 v71, 1, v69
	v_cndmask_b32_e64 v70, v72, v70, s[22:23]
	v_cndmask_b32_e64 v69, v69, v71, s[22:23]
	v_cmp_ge_i32_e64 s[26:27], v70, v5
	s_waitcnt lgkmcnt(0)
	v_cmp_lt_i32_e64 s[28:29], v68, v67
	v_cmp_lt_i32_e64 s[24:25], v69, v6
	s_or_b64 s[26:27], s[26:27], s[28:29]
	s_and_b64 s[24:25], s[24:25], s[26:27]
	s_xor_b64 s[26:27], s[24:25], -1
                                        ; implicit-def: $vgpr71
	s_and_saveexec_b64 s[28:29], s[26:27]
	s_xor_b64 s[26:27], exec, s[28:29]
; %bb.63:                               ;   in Loop: Header=BB18_2 Depth=1
	v_lshlrev_b32_e32 v71, 2, v70
	ds_read_b32 v71, v71 offset:4
; %bb.64:                               ;   in Loop: Header=BB18_2 Depth=1
	s_or_saveexec_b64 s[26:27], s[26:27]
	v_mov_b32_e32 v72, v68
	s_xor_b64 exec, exec, s[26:27]
	s_cbranch_execz .LBB18_66
; %bb.65:                               ;   in Loop: Header=BB18_2 Depth=1
	s_waitcnt lgkmcnt(0)
	v_lshlrev_b32_e32 v71, 2, v69
	ds_read_b32 v72, v71 offset:4
	v_mov_b32_e32 v71, v67
.LBB18_66:                              ;   in Loop: Header=BB18_2 Depth=1
	s_or_b64 exec, exec, s[26:27]
	v_cndmask_b32_e64 v67, v67, v68, s[24:25]
	v_add_u32_e32 v68, 1, v69
	v_add_u32_e32 v73, 1, v70
	v_cndmask_b32_e64 v68, v69, v68, s[24:25]
	v_cndmask_b32_e64 v69, v73, v70, s[24:25]
	;; [unrolled: 1-line block ×4, first 2 shown]
	v_cmp_ge_i32_e64 s[14:15], v69, v5
	s_waitcnt lgkmcnt(0)
	v_cmp_lt_i32_e64 s[16:17], v72, v71
	v_cndmask_b32_e64 v55, v55, v56, s[12:13]
	v_cmp_lt_i32_e64 s[12:13], v68, v6
	s_or_b64 s[14:15], s[14:15], s[16:17]
	s_and_b64 s[12:13], s[12:13], s[14:15]
	v_cndmask_b32_e64 v65, v65, v66, s[22:23]
	v_cndmask_b32_e64 v63, v63, v64, s[20:21]
	;; [unrolled: 1-line block ×4, first 2 shown]
	s_barrier
	ds_write2_b32 v47, v55, v57 offset1:1
	ds_write2_b32 v47, v59, v61 offset0:2 offset1:3
	ds_write2_b32 v47, v63, v65 offset0:4 offset1:5
	;; [unrolled: 1-line block ×3, first 2 shown]
	v_mov_b32_e32 v57, v23
	s_waitcnt lgkmcnt(0)
	s_barrier
	s_and_saveexec_b64 s[14:15], s[2:3]
	s_cbranch_execz .LBB18_70
; %bb.67:                               ;   in Loop: Header=BB18_2 Depth=1
	s_mov_b64 s[16:17], 0
	v_mov_b32_e32 v57, v23
	v_mov_b32_e32 v55, v24
.LBB18_68:                              ;   Parent Loop BB18_2 Depth=1
                                        ; =>  This Inner Loop Header: Depth=2
	v_sub_u32_e32 v56, v55, v57
	v_lshrrev_b32_e32 v56, 1, v56
	v_add_u32_e32 v56, v56, v57
	v_not_b32_e32 v59, v56
	v_lshl_add_u32 v58, v56, 2, v50
	v_lshl_add_u32 v59, v59, 2, v40
	ds_read_b32 v58, v58
	ds_read_b32 v59, v59
	v_add_u32_e32 v60, 1, v56
	s_waitcnt lgkmcnt(0)
	v_cmp_lt_i32_e64 s[12:13], v59, v58
	v_cndmask_b32_e64 v55, v55, v56, s[12:13]
	v_cndmask_b32_e64 v57, v60, v57, s[12:13]
	v_cmp_ge_i32_e64 s[12:13], v57, v55
	s_or_b64 s[16:17], s[12:13], s[16:17]
	s_andn2_b64 exec, exec, s[16:17]
	s_cbranch_execnz .LBB18_68
; %bb.69:                               ;   in Loop: Header=BB18_2 Depth=1
	s_or_b64 exec, exec, s[16:17]
.LBB18_70:                              ;   in Loop: Header=BB18_2 Depth=1
	s_or_b64 exec, exec, s[14:15]
	v_sub_u32_e32 v59, v39, v57
	v_lshl_add_u32 v58, v57, 2, v50
	v_lshlrev_b32_e32 v61, 2, v59
	ds_read_b32 v55, v58
	ds_read_b32 v56, v61
	v_add_u32_e32 v60, v57, v7
	v_cmp_le_i32_e64 s[14:15], v8, v60
	v_cmp_gt_i32_e64 s[12:13], v9, v59
                                        ; implicit-def: $vgpr57
	s_waitcnt lgkmcnt(0)
	v_cmp_lt_i32_e64 s[16:17], v56, v55
	s_or_b64 s[14:15], s[14:15], s[16:17]
	s_and_b64 s[12:13], s[12:13], s[14:15]
	s_xor_b64 s[14:15], s[12:13], -1
	s_and_saveexec_b64 s[16:17], s[14:15]
	s_xor_b64 s[14:15], exec, s[16:17]
; %bb.71:                               ;   in Loop: Header=BB18_2 Depth=1
	ds_read_b32 v57, v58 offset:4
                                        ; implicit-def: $vgpr61
; %bb.72:                               ;   in Loop: Header=BB18_2 Depth=1
	s_or_saveexec_b64 s[14:15], s[14:15]
	v_mov_b32_e32 v58, v56
	s_xor_b64 exec, exec, s[14:15]
	s_cbranch_execz .LBB18_74
; %bb.73:                               ;   in Loop: Header=BB18_2 Depth=1
	ds_read_b32 v58, v61 offset:4
	s_waitcnt lgkmcnt(1)
	v_mov_b32_e32 v57, v55
.LBB18_74:                              ;   in Loop: Header=BB18_2 Depth=1
	s_or_b64 exec, exec, s[14:15]
	v_add_u32_e32 v62, 1, v60
	v_add_u32_e32 v61, 1, v59
	v_cndmask_b32_e64 v62, v62, v60, s[12:13]
	v_cndmask_b32_e64 v61, v59, v61, s[12:13]
	v_cmp_ge_i32_e64 s[16:17], v62, v8
	s_waitcnt lgkmcnt(0)
	v_cmp_lt_i32_e64 s[18:19], v58, v57
	v_cmp_lt_i32_e64 s[14:15], v61, v9
	s_or_b64 s[16:17], s[16:17], s[18:19]
	s_and_b64 s[14:15], s[14:15], s[16:17]
	s_xor_b64 s[16:17], s[14:15], -1
                                        ; implicit-def: $vgpr59
	s_and_saveexec_b64 s[18:19], s[16:17]
	s_xor_b64 s[16:17], exec, s[18:19]
; %bb.75:                               ;   in Loop: Header=BB18_2 Depth=1
	v_lshlrev_b32_e32 v59, 2, v62
	ds_read_b32 v59, v59 offset:4
; %bb.76:                               ;   in Loop: Header=BB18_2 Depth=1
	s_or_saveexec_b64 s[16:17], s[16:17]
	v_mov_b32_e32 v60, v58
	s_xor_b64 exec, exec, s[16:17]
	s_cbranch_execz .LBB18_78
; %bb.77:                               ;   in Loop: Header=BB18_2 Depth=1
	s_waitcnt lgkmcnt(0)
	v_lshlrev_b32_e32 v59, 2, v61
	ds_read_b32 v60, v59 offset:4
	v_mov_b32_e32 v59, v57
.LBB18_78:                              ;   in Loop: Header=BB18_2 Depth=1
	s_or_b64 exec, exec, s[16:17]
	v_add_u32_e32 v64, 1, v62
	v_add_u32_e32 v63, 1, v61
	v_cndmask_b32_e64 v64, v64, v62, s[14:15]
	v_cndmask_b32_e64 v63, v61, v63, s[14:15]
	v_cmp_ge_i32_e64 s[18:19], v64, v8
	s_waitcnt lgkmcnt(0)
	v_cmp_lt_i32_e64 s[20:21], v60, v59
	v_cmp_lt_i32_e64 s[16:17], v63, v9
	s_or_b64 s[18:19], s[18:19], s[20:21]
	s_and_b64 s[16:17], s[16:17], s[18:19]
	s_xor_b64 s[18:19], s[16:17], -1
                                        ; implicit-def: $vgpr61
	s_and_saveexec_b64 s[20:21], s[18:19]
	s_xor_b64 s[18:19], exec, s[20:21]
; %bb.79:                               ;   in Loop: Header=BB18_2 Depth=1
	v_lshlrev_b32_e32 v61, 2, v64
	ds_read_b32 v61, v61 offset:4
; %bb.80:                               ;   in Loop: Header=BB18_2 Depth=1
	s_or_saveexec_b64 s[18:19], s[18:19]
	v_mov_b32_e32 v62, v60
	s_xor_b64 exec, exec, s[18:19]
	s_cbranch_execz .LBB18_82
; %bb.81:                               ;   in Loop: Header=BB18_2 Depth=1
	s_waitcnt lgkmcnt(0)
	v_lshlrev_b32_e32 v61, 2, v63
	ds_read_b32 v62, v61 offset:4
	v_mov_b32_e32 v61, v59
.LBB18_82:                              ;   in Loop: Header=BB18_2 Depth=1
	s_or_b64 exec, exec, s[18:19]
	v_add_u32_e32 v66, 1, v64
	v_add_u32_e32 v65, 1, v63
	v_cndmask_b32_e64 v66, v66, v64, s[16:17]
	v_cndmask_b32_e64 v65, v63, v65, s[16:17]
	v_cmp_ge_i32_e64 s[20:21], v66, v8
	s_waitcnt lgkmcnt(0)
	v_cmp_lt_i32_e64 s[22:23], v62, v61
	v_cmp_lt_i32_e64 s[18:19], v65, v9
	s_or_b64 s[20:21], s[20:21], s[22:23]
	s_and_b64 s[18:19], s[18:19], s[20:21]
	s_xor_b64 s[20:21], s[18:19], -1
                                        ; implicit-def: $vgpr63
	s_and_saveexec_b64 s[22:23], s[20:21]
	s_xor_b64 s[20:21], exec, s[22:23]
; %bb.83:                               ;   in Loop: Header=BB18_2 Depth=1
	v_lshlrev_b32_e32 v63, 2, v66
	ds_read_b32 v63, v63 offset:4
; %bb.84:                               ;   in Loop: Header=BB18_2 Depth=1
	s_or_saveexec_b64 s[20:21], s[20:21]
	v_mov_b32_e32 v64, v62
	s_xor_b64 exec, exec, s[20:21]
	s_cbranch_execz .LBB18_86
; %bb.85:                               ;   in Loop: Header=BB18_2 Depth=1
	s_waitcnt lgkmcnt(0)
	v_lshlrev_b32_e32 v63, 2, v65
	ds_read_b32 v64, v63 offset:4
	v_mov_b32_e32 v63, v61
.LBB18_86:                              ;   in Loop: Header=BB18_2 Depth=1
	s_or_b64 exec, exec, s[20:21]
	v_add_u32_e32 v68, 1, v66
	v_add_u32_e32 v67, 1, v65
	v_cndmask_b32_e64 v68, v68, v66, s[18:19]
	v_cndmask_b32_e64 v67, v65, v67, s[18:19]
	v_cmp_ge_i32_e64 s[22:23], v68, v8
	s_waitcnt lgkmcnt(0)
	v_cmp_lt_i32_e64 s[24:25], v64, v63
	v_cmp_lt_i32_e64 s[20:21], v67, v9
	s_or_b64 s[22:23], s[22:23], s[24:25]
	s_and_b64 s[20:21], s[20:21], s[22:23]
	s_xor_b64 s[22:23], s[20:21], -1
                                        ; implicit-def: $vgpr65
	s_and_saveexec_b64 s[24:25], s[22:23]
	s_xor_b64 s[22:23], exec, s[24:25]
; %bb.87:                               ;   in Loop: Header=BB18_2 Depth=1
	v_lshlrev_b32_e32 v65, 2, v68
	ds_read_b32 v65, v65 offset:4
; %bb.88:                               ;   in Loop: Header=BB18_2 Depth=1
	s_or_saveexec_b64 s[22:23], s[22:23]
	v_mov_b32_e32 v66, v64
	s_xor_b64 exec, exec, s[22:23]
	s_cbranch_execz .LBB18_90
; %bb.89:                               ;   in Loop: Header=BB18_2 Depth=1
	s_waitcnt lgkmcnt(0)
	v_lshlrev_b32_e32 v65, 2, v67
	ds_read_b32 v66, v65 offset:4
	v_mov_b32_e32 v65, v63
.LBB18_90:                              ;   in Loop: Header=BB18_2 Depth=1
	s_or_b64 exec, exec, s[22:23]
	v_add_u32_e32 v70, 1, v68
	v_add_u32_e32 v69, 1, v67
	v_cndmask_b32_e64 v70, v70, v68, s[20:21]
	v_cndmask_b32_e64 v69, v67, v69, s[20:21]
	v_cmp_ge_i32_e64 s[24:25], v70, v8
	s_waitcnt lgkmcnt(0)
	v_cmp_lt_i32_e64 s[26:27], v66, v65
	v_cmp_lt_i32_e64 s[22:23], v69, v9
	s_or_b64 s[24:25], s[24:25], s[26:27]
	s_and_b64 s[22:23], s[22:23], s[24:25]
	s_xor_b64 s[24:25], s[22:23], -1
                                        ; implicit-def: $vgpr67
	s_and_saveexec_b64 s[26:27], s[24:25]
	s_xor_b64 s[24:25], exec, s[26:27]
; %bb.91:                               ;   in Loop: Header=BB18_2 Depth=1
	v_lshlrev_b32_e32 v67, 2, v70
	ds_read_b32 v67, v67 offset:4
; %bb.92:                               ;   in Loop: Header=BB18_2 Depth=1
	s_or_saveexec_b64 s[24:25], s[24:25]
	v_mov_b32_e32 v68, v66
	s_xor_b64 exec, exec, s[24:25]
	s_cbranch_execz .LBB18_94
; %bb.93:                               ;   in Loop: Header=BB18_2 Depth=1
	s_waitcnt lgkmcnt(0)
	v_lshlrev_b32_e32 v67, 2, v69
	ds_read_b32 v68, v67 offset:4
	v_mov_b32_e32 v67, v65
.LBB18_94:                              ;   in Loop: Header=BB18_2 Depth=1
	s_or_b64 exec, exec, s[24:25]
	v_add_u32_e32 v72, 1, v70
	v_add_u32_e32 v71, 1, v69
	v_cndmask_b32_e64 v70, v72, v70, s[22:23]
	v_cndmask_b32_e64 v69, v69, v71, s[22:23]
	v_cmp_ge_i32_e64 s[26:27], v70, v8
	s_waitcnt lgkmcnt(0)
	v_cmp_lt_i32_e64 s[28:29], v68, v67
	v_cmp_lt_i32_e64 s[24:25], v69, v9
	s_or_b64 s[26:27], s[26:27], s[28:29]
	s_and_b64 s[24:25], s[24:25], s[26:27]
	s_xor_b64 s[26:27], s[24:25], -1
                                        ; implicit-def: $vgpr71
	s_and_saveexec_b64 s[28:29], s[26:27]
	s_xor_b64 s[26:27], exec, s[28:29]
; %bb.95:                               ;   in Loop: Header=BB18_2 Depth=1
	v_lshlrev_b32_e32 v71, 2, v70
	ds_read_b32 v71, v71 offset:4
; %bb.96:                               ;   in Loop: Header=BB18_2 Depth=1
	s_or_saveexec_b64 s[26:27], s[26:27]
	v_mov_b32_e32 v72, v68
	s_xor_b64 exec, exec, s[26:27]
	s_cbranch_execz .LBB18_98
; %bb.97:                               ;   in Loop: Header=BB18_2 Depth=1
	s_waitcnt lgkmcnt(0)
	v_lshlrev_b32_e32 v71, 2, v69
	ds_read_b32 v72, v71 offset:4
	v_mov_b32_e32 v71, v67
.LBB18_98:                              ;   in Loop: Header=BB18_2 Depth=1
	s_or_b64 exec, exec, s[26:27]
	v_cndmask_b32_e64 v67, v67, v68, s[24:25]
	v_add_u32_e32 v68, 1, v69
	v_add_u32_e32 v73, 1, v70
	v_cndmask_b32_e64 v68, v69, v68, s[24:25]
	v_cndmask_b32_e64 v69, v73, v70, s[24:25]
	;; [unrolled: 1-line block ×4, first 2 shown]
	v_cmp_ge_i32_e64 s[14:15], v69, v8
	s_waitcnt lgkmcnt(0)
	v_cmp_lt_i32_e64 s[16:17], v72, v71
	v_cndmask_b32_e64 v55, v55, v56, s[12:13]
	v_cmp_lt_i32_e64 s[12:13], v68, v9
	s_or_b64 s[14:15], s[14:15], s[16:17]
	s_and_b64 s[12:13], s[12:13], s[14:15]
	v_cndmask_b32_e64 v65, v65, v66, s[22:23]
	v_cndmask_b32_e64 v63, v63, v64, s[20:21]
	;; [unrolled: 1-line block ×4, first 2 shown]
	s_barrier
	ds_write2_b32 v47, v55, v57 offset1:1
	ds_write2_b32 v47, v59, v61 offset0:2 offset1:3
	ds_write2_b32 v47, v63, v65 offset0:4 offset1:5
	ds_write2_b32 v47, v67, v56 offset0:6 offset1:7
	v_mov_b32_e32 v57, v25
	s_waitcnt lgkmcnt(0)
	s_barrier
	s_and_saveexec_b64 s[14:15], s[4:5]
	s_cbranch_execz .LBB18_102
; %bb.99:                               ;   in Loop: Header=BB18_2 Depth=1
	s_mov_b64 s[16:17], 0
	v_mov_b32_e32 v57, v25
	v_mov_b32_e32 v55, v26
.LBB18_100:                             ;   Parent Loop BB18_2 Depth=1
                                        ; =>  This Inner Loop Header: Depth=2
	v_sub_u32_e32 v56, v55, v57
	v_lshrrev_b32_e32 v56, 1, v56
	v_add_u32_e32 v56, v56, v57
	v_not_b32_e32 v59, v56
	v_lshl_add_u32 v58, v56, 2, v51
	v_lshl_add_u32 v59, v59, 2, v42
	ds_read_b32 v58, v58
	ds_read_b32 v59, v59
	v_add_u32_e32 v60, 1, v56
	s_waitcnt lgkmcnt(0)
	v_cmp_lt_i32_e64 s[12:13], v59, v58
	v_cndmask_b32_e64 v55, v55, v56, s[12:13]
	v_cndmask_b32_e64 v57, v60, v57, s[12:13]
	v_cmp_ge_i32_e64 s[12:13], v57, v55
	s_or_b64 s[16:17], s[12:13], s[16:17]
	s_andn2_b64 exec, exec, s[16:17]
	s_cbranch_execnz .LBB18_100
; %bb.101:                              ;   in Loop: Header=BB18_2 Depth=1
	s_or_b64 exec, exec, s[16:17]
.LBB18_102:                             ;   in Loop: Header=BB18_2 Depth=1
	s_or_b64 exec, exec, s[14:15]
	v_sub_u32_e32 v59, v41, v57
	v_lshl_add_u32 v58, v57, 2, v51
	v_lshlrev_b32_e32 v61, 2, v59
	ds_read_b32 v55, v58
	ds_read_b32 v56, v61
	v_add_u32_e32 v60, v57, v10
	v_cmp_le_i32_e64 s[14:15], v11, v60
	v_cmp_gt_i32_e64 s[12:13], v12, v59
                                        ; implicit-def: $vgpr57
	s_waitcnt lgkmcnt(0)
	v_cmp_lt_i32_e64 s[16:17], v56, v55
	s_or_b64 s[14:15], s[14:15], s[16:17]
	s_and_b64 s[12:13], s[12:13], s[14:15]
	s_xor_b64 s[14:15], s[12:13], -1
	s_and_saveexec_b64 s[16:17], s[14:15]
	s_xor_b64 s[14:15], exec, s[16:17]
; %bb.103:                              ;   in Loop: Header=BB18_2 Depth=1
	ds_read_b32 v57, v58 offset:4
                                        ; implicit-def: $vgpr61
; %bb.104:                              ;   in Loop: Header=BB18_2 Depth=1
	s_or_saveexec_b64 s[14:15], s[14:15]
	v_mov_b32_e32 v58, v56
	s_xor_b64 exec, exec, s[14:15]
	s_cbranch_execz .LBB18_106
; %bb.105:                              ;   in Loop: Header=BB18_2 Depth=1
	ds_read_b32 v58, v61 offset:4
	s_waitcnt lgkmcnt(1)
	v_mov_b32_e32 v57, v55
.LBB18_106:                             ;   in Loop: Header=BB18_2 Depth=1
	s_or_b64 exec, exec, s[14:15]
	v_add_u32_e32 v62, 1, v60
	v_add_u32_e32 v61, 1, v59
	v_cndmask_b32_e64 v62, v62, v60, s[12:13]
	v_cndmask_b32_e64 v61, v59, v61, s[12:13]
	v_cmp_ge_i32_e64 s[16:17], v62, v11
	s_waitcnt lgkmcnt(0)
	v_cmp_lt_i32_e64 s[18:19], v58, v57
	v_cmp_lt_i32_e64 s[14:15], v61, v12
	s_or_b64 s[16:17], s[16:17], s[18:19]
	s_and_b64 s[14:15], s[14:15], s[16:17]
	s_xor_b64 s[16:17], s[14:15], -1
                                        ; implicit-def: $vgpr59
	s_and_saveexec_b64 s[18:19], s[16:17]
	s_xor_b64 s[16:17], exec, s[18:19]
; %bb.107:                              ;   in Loop: Header=BB18_2 Depth=1
	v_lshlrev_b32_e32 v59, 2, v62
	ds_read_b32 v59, v59 offset:4
; %bb.108:                              ;   in Loop: Header=BB18_2 Depth=1
	s_or_saveexec_b64 s[16:17], s[16:17]
	v_mov_b32_e32 v60, v58
	s_xor_b64 exec, exec, s[16:17]
	s_cbranch_execz .LBB18_110
; %bb.109:                              ;   in Loop: Header=BB18_2 Depth=1
	s_waitcnt lgkmcnt(0)
	v_lshlrev_b32_e32 v59, 2, v61
	ds_read_b32 v60, v59 offset:4
	v_mov_b32_e32 v59, v57
.LBB18_110:                             ;   in Loop: Header=BB18_2 Depth=1
	s_or_b64 exec, exec, s[16:17]
	v_add_u32_e32 v64, 1, v62
	v_add_u32_e32 v63, 1, v61
	v_cndmask_b32_e64 v64, v64, v62, s[14:15]
	v_cndmask_b32_e64 v63, v61, v63, s[14:15]
	v_cmp_ge_i32_e64 s[18:19], v64, v11
	s_waitcnt lgkmcnt(0)
	v_cmp_lt_i32_e64 s[20:21], v60, v59
	v_cmp_lt_i32_e64 s[16:17], v63, v12
	s_or_b64 s[18:19], s[18:19], s[20:21]
	s_and_b64 s[16:17], s[16:17], s[18:19]
	s_xor_b64 s[18:19], s[16:17], -1
                                        ; implicit-def: $vgpr61
	s_and_saveexec_b64 s[20:21], s[18:19]
	s_xor_b64 s[18:19], exec, s[20:21]
; %bb.111:                              ;   in Loop: Header=BB18_2 Depth=1
	v_lshlrev_b32_e32 v61, 2, v64
	ds_read_b32 v61, v61 offset:4
; %bb.112:                              ;   in Loop: Header=BB18_2 Depth=1
	s_or_saveexec_b64 s[18:19], s[18:19]
	v_mov_b32_e32 v62, v60
	s_xor_b64 exec, exec, s[18:19]
	s_cbranch_execz .LBB18_114
; %bb.113:                              ;   in Loop: Header=BB18_2 Depth=1
	s_waitcnt lgkmcnt(0)
	v_lshlrev_b32_e32 v61, 2, v63
	ds_read_b32 v62, v61 offset:4
	v_mov_b32_e32 v61, v59
.LBB18_114:                             ;   in Loop: Header=BB18_2 Depth=1
	s_or_b64 exec, exec, s[18:19]
	v_add_u32_e32 v66, 1, v64
	v_add_u32_e32 v65, 1, v63
	v_cndmask_b32_e64 v66, v66, v64, s[16:17]
	v_cndmask_b32_e64 v65, v63, v65, s[16:17]
	v_cmp_ge_i32_e64 s[20:21], v66, v11
	s_waitcnt lgkmcnt(0)
	v_cmp_lt_i32_e64 s[22:23], v62, v61
	v_cmp_lt_i32_e64 s[18:19], v65, v12
	s_or_b64 s[20:21], s[20:21], s[22:23]
	s_and_b64 s[18:19], s[18:19], s[20:21]
	s_xor_b64 s[20:21], s[18:19], -1
                                        ; implicit-def: $vgpr63
	s_and_saveexec_b64 s[22:23], s[20:21]
	s_xor_b64 s[20:21], exec, s[22:23]
; %bb.115:                              ;   in Loop: Header=BB18_2 Depth=1
	v_lshlrev_b32_e32 v63, 2, v66
	ds_read_b32 v63, v63 offset:4
; %bb.116:                              ;   in Loop: Header=BB18_2 Depth=1
	s_or_saveexec_b64 s[20:21], s[20:21]
	v_mov_b32_e32 v64, v62
	s_xor_b64 exec, exec, s[20:21]
	s_cbranch_execz .LBB18_118
; %bb.117:                              ;   in Loop: Header=BB18_2 Depth=1
	s_waitcnt lgkmcnt(0)
	v_lshlrev_b32_e32 v63, 2, v65
	ds_read_b32 v64, v63 offset:4
	v_mov_b32_e32 v63, v61
.LBB18_118:                             ;   in Loop: Header=BB18_2 Depth=1
	s_or_b64 exec, exec, s[20:21]
	v_add_u32_e32 v68, 1, v66
	v_add_u32_e32 v67, 1, v65
	v_cndmask_b32_e64 v68, v68, v66, s[18:19]
	v_cndmask_b32_e64 v67, v65, v67, s[18:19]
	v_cmp_ge_i32_e64 s[22:23], v68, v11
	s_waitcnt lgkmcnt(0)
	v_cmp_lt_i32_e64 s[24:25], v64, v63
	v_cmp_lt_i32_e64 s[20:21], v67, v12
	s_or_b64 s[22:23], s[22:23], s[24:25]
	s_and_b64 s[20:21], s[20:21], s[22:23]
	s_xor_b64 s[22:23], s[20:21], -1
                                        ; implicit-def: $vgpr65
	s_and_saveexec_b64 s[24:25], s[22:23]
	s_xor_b64 s[22:23], exec, s[24:25]
; %bb.119:                              ;   in Loop: Header=BB18_2 Depth=1
	v_lshlrev_b32_e32 v65, 2, v68
	ds_read_b32 v65, v65 offset:4
; %bb.120:                              ;   in Loop: Header=BB18_2 Depth=1
	s_or_saveexec_b64 s[22:23], s[22:23]
	v_mov_b32_e32 v66, v64
	s_xor_b64 exec, exec, s[22:23]
	s_cbranch_execz .LBB18_122
; %bb.121:                              ;   in Loop: Header=BB18_2 Depth=1
	s_waitcnt lgkmcnt(0)
	v_lshlrev_b32_e32 v65, 2, v67
	ds_read_b32 v66, v65 offset:4
	v_mov_b32_e32 v65, v63
.LBB18_122:                             ;   in Loop: Header=BB18_2 Depth=1
	s_or_b64 exec, exec, s[22:23]
	v_add_u32_e32 v70, 1, v68
	v_add_u32_e32 v69, 1, v67
	v_cndmask_b32_e64 v70, v70, v68, s[20:21]
	v_cndmask_b32_e64 v69, v67, v69, s[20:21]
	v_cmp_ge_i32_e64 s[24:25], v70, v11
	s_waitcnt lgkmcnt(0)
	v_cmp_lt_i32_e64 s[26:27], v66, v65
	v_cmp_lt_i32_e64 s[22:23], v69, v12
	s_or_b64 s[24:25], s[24:25], s[26:27]
	s_and_b64 s[22:23], s[22:23], s[24:25]
	s_xor_b64 s[24:25], s[22:23], -1
                                        ; implicit-def: $vgpr67
	s_and_saveexec_b64 s[26:27], s[24:25]
	s_xor_b64 s[24:25], exec, s[26:27]
; %bb.123:                              ;   in Loop: Header=BB18_2 Depth=1
	v_lshlrev_b32_e32 v67, 2, v70
	ds_read_b32 v67, v67 offset:4
; %bb.124:                              ;   in Loop: Header=BB18_2 Depth=1
	s_or_saveexec_b64 s[24:25], s[24:25]
	v_mov_b32_e32 v68, v66
	s_xor_b64 exec, exec, s[24:25]
	s_cbranch_execz .LBB18_126
; %bb.125:                              ;   in Loop: Header=BB18_2 Depth=1
	s_waitcnt lgkmcnt(0)
	v_lshlrev_b32_e32 v67, 2, v69
	ds_read_b32 v68, v67 offset:4
	v_mov_b32_e32 v67, v65
.LBB18_126:                             ;   in Loop: Header=BB18_2 Depth=1
	s_or_b64 exec, exec, s[24:25]
	v_add_u32_e32 v72, 1, v70
	v_add_u32_e32 v71, 1, v69
	v_cndmask_b32_e64 v70, v72, v70, s[22:23]
	v_cndmask_b32_e64 v69, v69, v71, s[22:23]
	v_cmp_ge_i32_e64 s[26:27], v70, v11
	s_waitcnt lgkmcnt(0)
	v_cmp_lt_i32_e64 s[28:29], v68, v67
	v_cmp_lt_i32_e64 s[24:25], v69, v12
	s_or_b64 s[26:27], s[26:27], s[28:29]
	s_and_b64 s[24:25], s[24:25], s[26:27]
	s_xor_b64 s[26:27], s[24:25], -1
                                        ; implicit-def: $vgpr71
	s_and_saveexec_b64 s[28:29], s[26:27]
	s_xor_b64 s[26:27], exec, s[28:29]
; %bb.127:                              ;   in Loop: Header=BB18_2 Depth=1
	v_lshlrev_b32_e32 v71, 2, v70
	ds_read_b32 v71, v71 offset:4
; %bb.128:                              ;   in Loop: Header=BB18_2 Depth=1
	s_or_saveexec_b64 s[26:27], s[26:27]
	v_mov_b32_e32 v72, v68
	s_xor_b64 exec, exec, s[26:27]
	s_cbranch_execz .LBB18_130
; %bb.129:                              ;   in Loop: Header=BB18_2 Depth=1
	s_waitcnt lgkmcnt(0)
	v_lshlrev_b32_e32 v71, 2, v69
	ds_read_b32 v72, v71 offset:4
	v_mov_b32_e32 v71, v67
.LBB18_130:                             ;   in Loop: Header=BB18_2 Depth=1
	s_or_b64 exec, exec, s[26:27]
	v_cndmask_b32_e64 v67, v67, v68, s[24:25]
	v_add_u32_e32 v68, 1, v69
	v_add_u32_e32 v73, 1, v70
	v_cndmask_b32_e64 v68, v69, v68, s[24:25]
	v_cndmask_b32_e64 v69, v73, v70, s[24:25]
	;; [unrolled: 1-line block ×4, first 2 shown]
	v_cmp_ge_i32_e64 s[14:15], v69, v11
	s_waitcnt lgkmcnt(0)
	v_cmp_lt_i32_e64 s[16:17], v72, v71
	v_cndmask_b32_e64 v55, v55, v56, s[12:13]
	v_cmp_lt_i32_e64 s[12:13], v68, v12
	s_or_b64 s[14:15], s[14:15], s[16:17]
	s_and_b64 s[12:13], s[12:13], s[14:15]
	v_cndmask_b32_e64 v65, v65, v66, s[22:23]
	v_cndmask_b32_e64 v63, v63, v64, s[20:21]
	;; [unrolled: 1-line block ×4, first 2 shown]
	s_barrier
	ds_write2_b32 v47, v55, v57 offset1:1
	ds_write2_b32 v47, v59, v61 offset0:2 offset1:3
	ds_write2_b32 v47, v63, v65 offset0:4 offset1:5
	;; [unrolled: 1-line block ×3, first 2 shown]
	v_mov_b32_e32 v57, v27
	s_waitcnt lgkmcnt(0)
	s_barrier
	s_and_saveexec_b64 s[14:15], s[6:7]
	s_cbranch_execz .LBB18_134
; %bb.131:                              ;   in Loop: Header=BB18_2 Depth=1
	s_mov_b64 s[16:17], 0
	v_mov_b32_e32 v57, v27
	v_mov_b32_e32 v55, v28
.LBB18_132:                             ;   Parent Loop BB18_2 Depth=1
                                        ; =>  This Inner Loop Header: Depth=2
	v_sub_u32_e32 v56, v55, v57
	v_lshrrev_b32_e32 v56, 1, v56
	v_add_u32_e32 v56, v56, v57
	v_not_b32_e32 v59, v56
	v_lshl_add_u32 v58, v56, 2, v52
	v_lshl_add_u32 v59, v59, 2, v44
	ds_read_b32 v58, v58
	ds_read_b32 v59, v59
	v_add_u32_e32 v60, 1, v56
	s_waitcnt lgkmcnt(0)
	v_cmp_lt_i32_e64 s[12:13], v59, v58
	v_cndmask_b32_e64 v55, v55, v56, s[12:13]
	v_cndmask_b32_e64 v57, v60, v57, s[12:13]
	v_cmp_ge_i32_e64 s[12:13], v57, v55
	s_or_b64 s[16:17], s[12:13], s[16:17]
	s_andn2_b64 exec, exec, s[16:17]
	s_cbranch_execnz .LBB18_132
; %bb.133:                              ;   in Loop: Header=BB18_2 Depth=1
	s_or_b64 exec, exec, s[16:17]
.LBB18_134:                             ;   in Loop: Header=BB18_2 Depth=1
	s_or_b64 exec, exec, s[14:15]
	v_sub_u32_e32 v59, v43, v57
	v_lshl_add_u32 v58, v57, 2, v52
	v_lshlrev_b32_e32 v61, 2, v59
	ds_read_b32 v55, v58
	ds_read_b32 v56, v61
	v_add_u32_e32 v60, v57, v13
	v_cmp_le_i32_e64 s[14:15], v14, v60
	v_cmp_gt_i32_e64 s[12:13], v15, v59
                                        ; implicit-def: $vgpr57
	s_waitcnt lgkmcnt(0)
	v_cmp_lt_i32_e64 s[16:17], v56, v55
	s_or_b64 s[14:15], s[14:15], s[16:17]
	s_and_b64 s[12:13], s[12:13], s[14:15]
	s_xor_b64 s[14:15], s[12:13], -1
	s_and_saveexec_b64 s[16:17], s[14:15]
	s_xor_b64 s[14:15], exec, s[16:17]
; %bb.135:                              ;   in Loop: Header=BB18_2 Depth=1
	ds_read_b32 v57, v58 offset:4
                                        ; implicit-def: $vgpr61
; %bb.136:                              ;   in Loop: Header=BB18_2 Depth=1
	s_or_saveexec_b64 s[14:15], s[14:15]
	v_mov_b32_e32 v58, v56
	s_xor_b64 exec, exec, s[14:15]
	s_cbranch_execz .LBB18_138
; %bb.137:                              ;   in Loop: Header=BB18_2 Depth=1
	ds_read_b32 v58, v61 offset:4
	s_waitcnt lgkmcnt(1)
	v_mov_b32_e32 v57, v55
.LBB18_138:                             ;   in Loop: Header=BB18_2 Depth=1
	s_or_b64 exec, exec, s[14:15]
	v_add_u32_e32 v62, 1, v60
	v_add_u32_e32 v61, 1, v59
	v_cndmask_b32_e64 v62, v62, v60, s[12:13]
	v_cndmask_b32_e64 v61, v59, v61, s[12:13]
	v_cmp_ge_i32_e64 s[16:17], v62, v14
	s_waitcnt lgkmcnt(0)
	v_cmp_lt_i32_e64 s[18:19], v58, v57
	v_cmp_lt_i32_e64 s[14:15], v61, v15
	s_or_b64 s[16:17], s[16:17], s[18:19]
	s_and_b64 s[14:15], s[14:15], s[16:17]
	s_xor_b64 s[16:17], s[14:15], -1
                                        ; implicit-def: $vgpr59
	s_and_saveexec_b64 s[18:19], s[16:17]
	s_xor_b64 s[16:17], exec, s[18:19]
; %bb.139:                              ;   in Loop: Header=BB18_2 Depth=1
	v_lshlrev_b32_e32 v59, 2, v62
	ds_read_b32 v59, v59 offset:4
; %bb.140:                              ;   in Loop: Header=BB18_2 Depth=1
	s_or_saveexec_b64 s[16:17], s[16:17]
	v_mov_b32_e32 v60, v58
	s_xor_b64 exec, exec, s[16:17]
	s_cbranch_execz .LBB18_142
; %bb.141:                              ;   in Loop: Header=BB18_2 Depth=1
	s_waitcnt lgkmcnt(0)
	v_lshlrev_b32_e32 v59, 2, v61
	ds_read_b32 v60, v59 offset:4
	v_mov_b32_e32 v59, v57
.LBB18_142:                             ;   in Loop: Header=BB18_2 Depth=1
	s_or_b64 exec, exec, s[16:17]
	v_add_u32_e32 v64, 1, v62
	v_add_u32_e32 v63, 1, v61
	v_cndmask_b32_e64 v64, v64, v62, s[14:15]
	v_cndmask_b32_e64 v63, v61, v63, s[14:15]
	v_cmp_ge_i32_e64 s[18:19], v64, v14
	s_waitcnt lgkmcnt(0)
	v_cmp_lt_i32_e64 s[20:21], v60, v59
	v_cmp_lt_i32_e64 s[16:17], v63, v15
	s_or_b64 s[18:19], s[18:19], s[20:21]
	s_and_b64 s[16:17], s[16:17], s[18:19]
	s_xor_b64 s[18:19], s[16:17], -1
                                        ; implicit-def: $vgpr61
	s_and_saveexec_b64 s[20:21], s[18:19]
	s_xor_b64 s[18:19], exec, s[20:21]
; %bb.143:                              ;   in Loop: Header=BB18_2 Depth=1
	v_lshlrev_b32_e32 v61, 2, v64
	ds_read_b32 v61, v61 offset:4
; %bb.144:                              ;   in Loop: Header=BB18_2 Depth=1
	s_or_saveexec_b64 s[18:19], s[18:19]
	v_mov_b32_e32 v62, v60
	s_xor_b64 exec, exec, s[18:19]
	s_cbranch_execz .LBB18_146
; %bb.145:                              ;   in Loop: Header=BB18_2 Depth=1
	s_waitcnt lgkmcnt(0)
	v_lshlrev_b32_e32 v61, 2, v63
	ds_read_b32 v62, v61 offset:4
	v_mov_b32_e32 v61, v59
.LBB18_146:                             ;   in Loop: Header=BB18_2 Depth=1
	s_or_b64 exec, exec, s[18:19]
	v_add_u32_e32 v66, 1, v64
	v_add_u32_e32 v65, 1, v63
	v_cndmask_b32_e64 v66, v66, v64, s[16:17]
	v_cndmask_b32_e64 v65, v63, v65, s[16:17]
	v_cmp_ge_i32_e64 s[20:21], v66, v14
	s_waitcnt lgkmcnt(0)
	v_cmp_lt_i32_e64 s[22:23], v62, v61
	v_cmp_lt_i32_e64 s[18:19], v65, v15
	s_or_b64 s[20:21], s[20:21], s[22:23]
	s_and_b64 s[18:19], s[18:19], s[20:21]
	s_xor_b64 s[20:21], s[18:19], -1
                                        ; implicit-def: $vgpr63
	s_and_saveexec_b64 s[22:23], s[20:21]
	s_xor_b64 s[20:21], exec, s[22:23]
; %bb.147:                              ;   in Loop: Header=BB18_2 Depth=1
	v_lshlrev_b32_e32 v63, 2, v66
	ds_read_b32 v63, v63 offset:4
; %bb.148:                              ;   in Loop: Header=BB18_2 Depth=1
	s_or_saveexec_b64 s[20:21], s[20:21]
	v_mov_b32_e32 v64, v62
	s_xor_b64 exec, exec, s[20:21]
	s_cbranch_execz .LBB18_150
; %bb.149:                              ;   in Loop: Header=BB18_2 Depth=1
	s_waitcnt lgkmcnt(0)
	v_lshlrev_b32_e32 v63, 2, v65
	ds_read_b32 v64, v63 offset:4
	v_mov_b32_e32 v63, v61
.LBB18_150:                             ;   in Loop: Header=BB18_2 Depth=1
	s_or_b64 exec, exec, s[20:21]
	v_add_u32_e32 v68, 1, v66
	v_add_u32_e32 v67, 1, v65
	v_cndmask_b32_e64 v68, v68, v66, s[18:19]
	v_cndmask_b32_e64 v67, v65, v67, s[18:19]
	v_cmp_ge_i32_e64 s[22:23], v68, v14
	s_waitcnt lgkmcnt(0)
	v_cmp_lt_i32_e64 s[24:25], v64, v63
	v_cmp_lt_i32_e64 s[20:21], v67, v15
	s_or_b64 s[22:23], s[22:23], s[24:25]
	s_and_b64 s[20:21], s[20:21], s[22:23]
	s_xor_b64 s[22:23], s[20:21], -1
                                        ; implicit-def: $vgpr65
	s_and_saveexec_b64 s[24:25], s[22:23]
	s_xor_b64 s[22:23], exec, s[24:25]
; %bb.151:                              ;   in Loop: Header=BB18_2 Depth=1
	v_lshlrev_b32_e32 v65, 2, v68
	ds_read_b32 v65, v65 offset:4
; %bb.152:                              ;   in Loop: Header=BB18_2 Depth=1
	s_or_saveexec_b64 s[22:23], s[22:23]
	v_mov_b32_e32 v66, v64
	s_xor_b64 exec, exec, s[22:23]
	s_cbranch_execz .LBB18_154
; %bb.153:                              ;   in Loop: Header=BB18_2 Depth=1
	s_waitcnt lgkmcnt(0)
	v_lshlrev_b32_e32 v65, 2, v67
	ds_read_b32 v66, v65 offset:4
	v_mov_b32_e32 v65, v63
.LBB18_154:                             ;   in Loop: Header=BB18_2 Depth=1
	s_or_b64 exec, exec, s[22:23]
	v_add_u32_e32 v70, 1, v68
	v_add_u32_e32 v69, 1, v67
	v_cndmask_b32_e64 v70, v70, v68, s[20:21]
	v_cndmask_b32_e64 v69, v67, v69, s[20:21]
	v_cmp_ge_i32_e64 s[24:25], v70, v14
	s_waitcnt lgkmcnt(0)
	v_cmp_lt_i32_e64 s[26:27], v66, v65
	v_cmp_lt_i32_e64 s[22:23], v69, v15
	s_or_b64 s[24:25], s[24:25], s[26:27]
	s_and_b64 s[22:23], s[22:23], s[24:25]
	s_xor_b64 s[24:25], s[22:23], -1
                                        ; implicit-def: $vgpr67
	s_and_saveexec_b64 s[26:27], s[24:25]
	s_xor_b64 s[24:25], exec, s[26:27]
; %bb.155:                              ;   in Loop: Header=BB18_2 Depth=1
	v_lshlrev_b32_e32 v67, 2, v70
	ds_read_b32 v67, v67 offset:4
; %bb.156:                              ;   in Loop: Header=BB18_2 Depth=1
	s_or_saveexec_b64 s[24:25], s[24:25]
	v_mov_b32_e32 v68, v66
	s_xor_b64 exec, exec, s[24:25]
	s_cbranch_execz .LBB18_158
; %bb.157:                              ;   in Loop: Header=BB18_2 Depth=1
	s_waitcnt lgkmcnt(0)
	v_lshlrev_b32_e32 v67, 2, v69
	ds_read_b32 v68, v67 offset:4
	v_mov_b32_e32 v67, v65
.LBB18_158:                             ;   in Loop: Header=BB18_2 Depth=1
	s_or_b64 exec, exec, s[24:25]
	v_add_u32_e32 v72, 1, v70
	v_add_u32_e32 v71, 1, v69
	v_cndmask_b32_e64 v70, v72, v70, s[22:23]
	v_cndmask_b32_e64 v69, v69, v71, s[22:23]
	v_cmp_ge_i32_e64 s[26:27], v70, v14
	s_waitcnt lgkmcnt(0)
	v_cmp_lt_i32_e64 s[28:29], v68, v67
	v_cmp_lt_i32_e64 s[24:25], v69, v15
	s_or_b64 s[26:27], s[26:27], s[28:29]
	s_and_b64 s[24:25], s[24:25], s[26:27]
	s_xor_b64 s[26:27], s[24:25], -1
                                        ; implicit-def: $vgpr71
	s_and_saveexec_b64 s[28:29], s[26:27]
	s_xor_b64 s[26:27], exec, s[28:29]
; %bb.159:                              ;   in Loop: Header=BB18_2 Depth=1
	v_lshlrev_b32_e32 v71, 2, v70
	ds_read_b32 v71, v71 offset:4
; %bb.160:                              ;   in Loop: Header=BB18_2 Depth=1
	s_or_saveexec_b64 s[26:27], s[26:27]
	v_mov_b32_e32 v72, v68
	s_xor_b64 exec, exec, s[26:27]
	s_cbranch_execz .LBB18_162
; %bb.161:                              ;   in Loop: Header=BB18_2 Depth=1
	s_waitcnt lgkmcnt(0)
	v_lshlrev_b32_e32 v71, 2, v69
	ds_read_b32 v72, v71 offset:4
	v_mov_b32_e32 v71, v67
.LBB18_162:                             ;   in Loop: Header=BB18_2 Depth=1
	s_or_b64 exec, exec, s[26:27]
	v_cndmask_b32_e64 v67, v67, v68, s[24:25]
	v_add_u32_e32 v68, 1, v69
	v_add_u32_e32 v73, 1, v70
	v_cndmask_b32_e64 v68, v69, v68, s[24:25]
	v_cndmask_b32_e64 v69, v73, v70, s[24:25]
	;; [unrolled: 1-line block ×4, first 2 shown]
	v_cmp_ge_i32_e64 s[14:15], v69, v14
	s_waitcnt lgkmcnt(0)
	v_cmp_lt_i32_e64 s[16:17], v72, v71
	v_cndmask_b32_e64 v55, v55, v56, s[12:13]
	v_cmp_lt_i32_e64 s[12:13], v68, v15
	s_or_b64 s[14:15], s[14:15], s[16:17]
	s_and_b64 s[12:13], s[12:13], s[14:15]
	v_cndmask_b32_e64 v65, v65, v66, s[22:23]
	v_cndmask_b32_e64 v63, v63, v64, s[20:21]
	;; [unrolled: 1-line block ×4, first 2 shown]
	s_barrier
	ds_write2_b32 v47, v55, v57 offset1:1
	ds_write2_b32 v47, v59, v61 offset0:2 offset1:3
	ds_write2_b32 v47, v63, v65 offset0:4 offset1:5
	;; [unrolled: 1-line block ×3, first 2 shown]
	v_mov_b32_e32 v57, v29
	s_waitcnt lgkmcnt(0)
	s_barrier
	s_and_saveexec_b64 s[14:15], s[8:9]
	s_cbranch_execz .LBB18_166
; %bb.163:                              ;   in Loop: Header=BB18_2 Depth=1
	s_mov_b64 s[16:17], 0
	v_mov_b32_e32 v57, v29
	v_mov_b32_e32 v55, v30
.LBB18_164:                             ;   Parent Loop BB18_2 Depth=1
                                        ; =>  This Inner Loop Header: Depth=2
	v_sub_u32_e32 v56, v55, v57
	v_lshrrev_b32_e32 v56, 1, v56
	v_add_u32_e32 v56, v56, v57
	v_not_b32_e32 v59, v56
	v_lshl_add_u32 v58, v56, 2, v53
	v_lshl_add_u32 v59, v59, 2, v46
	ds_read_b32 v58, v58
	ds_read_b32 v59, v59
	v_add_u32_e32 v60, 1, v56
	s_waitcnt lgkmcnt(0)
	v_cmp_lt_i32_e64 s[12:13], v59, v58
	v_cndmask_b32_e64 v55, v55, v56, s[12:13]
	v_cndmask_b32_e64 v57, v60, v57, s[12:13]
	v_cmp_ge_i32_e64 s[12:13], v57, v55
	s_or_b64 s[16:17], s[12:13], s[16:17]
	s_andn2_b64 exec, exec, s[16:17]
	s_cbranch_execnz .LBB18_164
; %bb.165:                              ;   in Loop: Header=BB18_2 Depth=1
	s_or_b64 exec, exec, s[16:17]
.LBB18_166:                             ;   in Loop: Header=BB18_2 Depth=1
	s_or_b64 exec, exec, s[14:15]
	v_sub_u32_e32 v59, v45, v57
	v_lshl_add_u32 v58, v57, 2, v53
	v_lshlrev_b32_e32 v61, 2, v59
	ds_read_b32 v55, v58
	ds_read_b32 v56, v61
	v_add_u32_e32 v60, v57, v16
	v_cmp_le_i32_e64 s[14:15], v17, v60
	v_cmp_gt_i32_e64 s[12:13], v18, v59
                                        ; implicit-def: $vgpr57
	s_waitcnt lgkmcnt(0)
	v_cmp_lt_i32_e64 s[16:17], v56, v55
	s_or_b64 s[14:15], s[14:15], s[16:17]
	s_and_b64 s[12:13], s[12:13], s[14:15]
	s_xor_b64 s[14:15], s[12:13], -1
	s_and_saveexec_b64 s[16:17], s[14:15]
	s_xor_b64 s[14:15], exec, s[16:17]
; %bb.167:                              ;   in Loop: Header=BB18_2 Depth=1
	ds_read_b32 v57, v58 offset:4
                                        ; implicit-def: $vgpr61
; %bb.168:                              ;   in Loop: Header=BB18_2 Depth=1
	s_or_saveexec_b64 s[14:15], s[14:15]
	v_mov_b32_e32 v58, v56
	s_xor_b64 exec, exec, s[14:15]
	s_cbranch_execz .LBB18_170
; %bb.169:                              ;   in Loop: Header=BB18_2 Depth=1
	ds_read_b32 v58, v61 offset:4
	s_waitcnt lgkmcnt(1)
	v_mov_b32_e32 v57, v55
.LBB18_170:                             ;   in Loop: Header=BB18_2 Depth=1
	s_or_b64 exec, exec, s[14:15]
	v_add_u32_e32 v62, 1, v60
	v_add_u32_e32 v61, 1, v59
	v_cndmask_b32_e64 v62, v62, v60, s[12:13]
	v_cndmask_b32_e64 v61, v59, v61, s[12:13]
	v_cmp_ge_i32_e64 s[16:17], v62, v17
	s_waitcnt lgkmcnt(0)
	v_cmp_lt_i32_e64 s[18:19], v58, v57
	v_cmp_lt_i32_e64 s[14:15], v61, v18
	s_or_b64 s[16:17], s[16:17], s[18:19]
	s_and_b64 s[14:15], s[14:15], s[16:17]
	s_xor_b64 s[16:17], s[14:15], -1
                                        ; implicit-def: $vgpr59
	s_and_saveexec_b64 s[18:19], s[16:17]
	s_xor_b64 s[16:17], exec, s[18:19]
; %bb.171:                              ;   in Loop: Header=BB18_2 Depth=1
	v_lshlrev_b32_e32 v59, 2, v62
	ds_read_b32 v59, v59 offset:4
; %bb.172:                              ;   in Loop: Header=BB18_2 Depth=1
	s_or_saveexec_b64 s[16:17], s[16:17]
	v_mov_b32_e32 v60, v58
	s_xor_b64 exec, exec, s[16:17]
	s_cbranch_execz .LBB18_174
; %bb.173:                              ;   in Loop: Header=BB18_2 Depth=1
	s_waitcnt lgkmcnt(0)
	v_lshlrev_b32_e32 v59, 2, v61
	ds_read_b32 v60, v59 offset:4
	v_mov_b32_e32 v59, v57
.LBB18_174:                             ;   in Loop: Header=BB18_2 Depth=1
	s_or_b64 exec, exec, s[16:17]
	v_add_u32_e32 v64, 1, v62
	v_add_u32_e32 v63, 1, v61
	v_cndmask_b32_e64 v64, v64, v62, s[14:15]
	v_cndmask_b32_e64 v63, v61, v63, s[14:15]
	v_cmp_ge_i32_e64 s[18:19], v64, v17
	s_waitcnt lgkmcnt(0)
	v_cmp_lt_i32_e64 s[20:21], v60, v59
	v_cmp_lt_i32_e64 s[16:17], v63, v18
	s_or_b64 s[18:19], s[18:19], s[20:21]
	s_and_b64 s[16:17], s[16:17], s[18:19]
	s_xor_b64 s[18:19], s[16:17], -1
                                        ; implicit-def: $vgpr61
	s_and_saveexec_b64 s[20:21], s[18:19]
	s_xor_b64 s[18:19], exec, s[20:21]
; %bb.175:                              ;   in Loop: Header=BB18_2 Depth=1
	v_lshlrev_b32_e32 v61, 2, v64
	ds_read_b32 v61, v61 offset:4
; %bb.176:                              ;   in Loop: Header=BB18_2 Depth=1
	s_or_saveexec_b64 s[18:19], s[18:19]
	v_mov_b32_e32 v62, v60
	s_xor_b64 exec, exec, s[18:19]
	s_cbranch_execz .LBB18_178
; %bb.177:                              ;   in Loop: Header=BB18_2 Depth=1
	s_waitcnt lgkmcnt(0)
	v_lshlrev_b32_e32 v61, 2, v63
	ds_read_b32 v62, v61 offset:4
	v_mov_b32_e32 v61, v59
.LBB18_178:                             ;   in Loop: Header=BB18_2 Depth=1
	s_or_b64 exec, exec, s[18:19]
	v_add_u32_e32 v66, 1, v64
	v_add_u32_e32 v65, 1, v63
	v_cndmask_b32_e64 v66, v66, v64, s[16:17]
	v_cndmask_b32_e64 v65, v63, v65, s[16:17]
	v_cmp_ge_i32_e64 s[20:21], v66, v17
	s_waitcnt lgkmcnt(0)
	v_cmp_lt_i32_e64 s[22:23], v62, v61
	v_cmp_lt_i32_e64 s[18:19], v65, v18
	s_or_b64 s[20:21], s[20:21], s[22:23]
	s_and_b64 s[18:19], s[18:19], s[20:21]
	s_xor_b64 s[20:21], s[18:19], -1
                                        ; implicit-def: $vgpr63
	s_and_saveexec_b64 s[22:23], s[20:21]
	s_xor_b64 s[20:21], exec, s[22:23]
; %bb.179:                              ;   in Loop: Header=BB18_2 Depth=1
	v_lshlrev_b32_e32 v63, 2, v66
	ds_read_b32 v63, v63 offset:4
; %bb.180:                              ;   in Loop: Header=BB18_2 Depth=1
	s_or_saveexec_b64 s[20:21], s[20:21]
	v_mov_b32_e32 v64, v62
	s_xor_b64 exec, exec, s[20:21]
	s_cbranch_execz .LBB18_182
; %bb.181:                              ;   in Loop: Header=BB18_2 Depth=1
	s_waitcnt lgkmcnt(0)
	v_lshlrev_b32_e32 v63, 2, v65
	ds_read_b32 v64, v63 offset:4
	v_mov_b32_e32 v63, v61
.LBB18_182:                             ;   in Loop: Header=BB18_2 Depth=1
	s_or_b64 exec, exec, s[20:21]
	v_add_u32_e32 v68, 1, v66
	v_add_u32_e32 v67, 1, v65
	v_cndmask_b32_e64 v68, v68, v66, s[18:19]
	v_cndmask_b32_e64 v67, v65, v67, s[18:19]
	v_cmp_ge_i32_e64 s[22:23], v68, v17
	s_waitcnt lgkmcnt(0)
	v_cmp_lt_i32_e64 s[24:25], v64, v63
	v_cmp_lt_i32_e64 s[20:21], v67, v18
	s_or_b64 s[22:23], s[22:23], s[24:25]
	s_and_b64 s[20:21], s[20:21], s[22:23]
	s_xor_b64 s[22:23], s[20:21], -1
                                        ; implicit-def: $vgpr65
	s_and_saveexec_b64 s[24:25], s[22:23]
	s_xor_b64 s[22:23], exec, s[24:25]
; %bb.183:                              ;   in Loop: Header=BB18_2 Depth=1
	v_lshlrev_b32_e32 v65, 2, v68
	ds_read_b32 v65, v65 offset:4
; %bb.184:                              ;   in Loop: Header=BB18_2 Depth=1
	s_or_saveexec_b64 s[22:23], s[22:23]
	v_mov_b32_e32 v66, v64
	s_xor_b64 exec, exec, s[22:23]
	s_cbranch_execz .LBB18_186
; %bb.185:                              ;   in Loop: Header=BB18_2 Depth=1
	s_waitcnt lgkmcnt(0)
	v_lshlrev_b32_e32 v65, 2, v67
	ds_read_b32 v66, v65 offset:4
	v_mov_b32_e32 v65, v63
.LBB18_186:                             ;   in Loop: Header=BB18_2 Depth=1
	s_or_b64 exec, exec, s[22:23]
	v_add_u32_e32 v70, 1, v68
	v_add_u32_e32 v69, 1, v67
	v_cndmask_b32_e64 v70, v70, v68, s[20:21]
	v_cndmask_b32_e64 v69, v67, v69, s[20:21]
	v_cmp_ge_i32_e64 s[24:25], v70, v17
	s_waitcnt lgkmcnt(0)
	v_cmp_lt_i32_e64 s[26:27], v66, v65
	v_cmp_lt_i32_e64 s[22:23], v69, v18
	s_or_b64 s[24:25], s[24:25], s[26:27]
	s_and_b64 s[22:23], s[22:23], s[24:25]
	s_xor_b64 s[24:25], s[22:23], -1
                                        ; implicit-def: $vgpr67
	s_and_saveexec_b64 s[26:27], s[24:25]
	s_xor_b64 s[24:25], exec, s[26:27]
; %bb.187:                              ;   in Loop: Header=BB18_2 Depth=1
	v_lshlrev_b32_e32 v67, 2, v70
	ds_read_b32 v67, v67 offset:4
; %bb.188:                              ;   in Loop: Header=BB18_2 Depth=1
	s_or_saveexec_b64 s[24:25], s[24:25]
	v_mov_b32_e32 v68, v66
	s_xor_b64 exec, exec, s[24:25]
	s_cbranch_execz .LBB18_190
; %bb.189:                              ;   in Loop: Header=BB18_2 Depth=1
	s_waitcnt lgkmcnt(0)
	v_lshlrev_b32_e32 v67, 2, v69
	ds_read_b32 v68, v67 offset:4
	v_mov_b32_e32 v67, v65
.LBB18_190:                             ;   in Loop: Header=BB18_2 Depth=1
	s_or_b64 exec, exec, s[24:25]
	v_add_u32_e32 v72, 1, v70
	v_add_u32_e32 v71, 1, v69
	v_cndmask_b32_e64 v70, v72, v70, s[22:23]
	v_cndmask_b32_e64 v69, v69, v71, s[22:23]
	v_cmp_ge_i32_e64 s[26:27], v70, v17
	s_waitcnt lgkmcnt(0)
	v_cmp_lt_i32_e64 s[28:29], v68, v67
	v_cmp_lt_i32_e64 s[24:25], v69, v18
	s_or_b64 s[26:27], s[26:27], s[28:29]
	s_and_b64 s[24:25], s[24:25], s[26:27]
	s_xor_b64 s[26:27], s[24:25], -1
                                        ; implicit-def: $vgpr71
	s_and_saveexec_b64 s[28:29], s[26:27]
	s_xor_b64 s[26:27], exec, s[28:29]
; %bb.191:                              ;   in Loop: Header=BB18_2 Depth=1
	v_lshlrev_b32_e32 v71, 2, v70
	ds_read_b32 v71, v71 offset:4
; %bb.192:                              ;   in Loop: Header=BB18_2 Depth=1
	s_or_saveexec_b64 s[26:27], s[26:27]
	v_mov_b32_e32 v72, v68
	s_xor_b64 exec, exec, s[26:27]
	s_cbranch_execz .LBB18_194
; %bb.193:                              ;   in Loop: Header=BB18_2 Depth=1
	s_waitcnt lgkmcnt(0)
	v_lshlrev_b32_e32 v71, 2, v69
	ds_read_b32 v72, v71 offset:4
	v_mov_b32_e32 v71, v67
.LBB18_194:                             ;   in Loop: Header=BB18_2 Depth=1
	s_or_b64 exec, exec, s[26:27]
	v_cndmask_b32_e64 v67, v67, v68, s[24:25]
	v_add_u32_e32 v68, 1, v69
	v_add_u32_e32 v73, 1, v70
	v_cndmask_b32_e64 v68, v69, v68, s[24:25]
	v_cndmask_b32_e64 v69, v73, v70, s[24:25]
	;; [unrolled: 1-line block ×4, first 2 shown]
	v_cmp_ge_i32_e64 s[14:15], v69, v17
	s_waitcnt lgkmcnt(0)
	v_cmp_lt_i32_e64 s[16:17], v72, v71
	v_cndmask_b32_e64 v55, v55, v56, s[12:13]
	v_cmp_lt_i32_e64 s[12:13], v68, v18
	s_or_b64 s[14:15], s[14:15], s[16:17]
	s_and_b64 s[12:13], s[12:13], s[14:15]
	v_cndmask_b32_e64 v65, v65, v66, s[22:23]
	v_cndmask_b32_e64 v63, v63, v64, s[20:21]
	;; [unrolled: 1-line block ×4, first 2 shown]
	s_barrier
	ds_write2_b32 v47, v55, v57 offset1:1
	ds_write2_b32 v47, v59, v61 offset0:2 offset1:3
	ds_write2_b32 v47, v63, v65 offset0:4 offset1:5
	;; [unrolled: 1-line block ×3, first 2 shown]
	v_mov_b32_e32 v59, v32
	s_waitcnt lgkmcnt(0)
	s_barrier
	s_and_saveexec_b64 s[14:15], s[10:11]
	s_cbranch_execz .LBB18_198
; %bb.195:                              ;   in Loop: Header=BB18_2 Depth=1
	s_mov_b64 s[16:17], 0
	v_mov_b32_e32 v59, v32
	v_mov_b32_e32 v55, v33
.LBB18_196:                             ;   Parent Loop BB18_2 Depth=1
                                        ; =>  This Inner Loop Header: Depth=2
	v_sub_u32_e32 v56, v55, v59
	v_lshrrev_b32_e32 v56, 1, v56
	v_add_u32_e32 v56, v56, v59
	v_not_b32_e32 v58, v56
	v_lshlrev_b32_e32 v57, 2, v56
	v_lshl_add_u32 v58, v58, 2, v54
	ds_read_b32 v57, v57
	ds_read_b32 v58, v58
	v_add_u32_e32 v60, 1, v56
	s_waitcnt lgkmcnt(0)
	v_cmp_lt_i32_e64 s[12:13], v58, v57
	v_cndmask_b32_e64 v55, v55, v56, s[12:13]
	v_cndmask_b32_e64 v59, v60, v59, s[12:13]
	v_cmp_ge_i32_e64 s[12:13], v59, v55
	s_or_b64 s[16:17], s[12:13], s[16:17]
	s_andn2_b64 exec, exec, s[16:17]
	s_cbranch_execnz .LBB18_196
; %bb.197:                              ;   in Loop: Header=BB18_2 Depth=1
	s_or_b64 exec, exec, s[16:17]
.LBB18_198:                             ;   in Loop: Header=BB18_2 Depth=1
	s_or_b64 exec, exec, s[14:15]
	v_sub_u32_e32 v60, v34, v59
	v_lshlrev_b32_e32 v58, 2, v59
	v_lshlrev_b32_e32 v61, 2, v60
	ds_read_b32 v55, v58
	ds_read_b32 v56, v61
	v_cmp_le_i32_e64 s[14:15], v31, v59
	v_cmp_gt_i32_e64 s[12:13], s33, v60
                                        ; implicit-def: $vgpr57
	s_waitcnt lgkmcnt(0)
	v_cmp_lt_i32_e64 s[16:17], v56, v55
	s_or_b64 s[14:15], s[14:15], s[16:17]
	s_and_b64 s[12:13], s[12:13], s[14:15]
	s_xor_b64 s[14:15], s[12:13], -1
	s_and_saveexec_b64 s[16:17], s[14:15]
	s_xor_b64 s[14:15], exec, s[16:17]
; %bb.199:                              ;   in Loop: Header=BB18_2 Depth=1
	ds_read_b32 v57, v58 offset:4
                                        ; implicit-def: $vgpr61
; %bb.200:                              ;   in Loop: Header=BB18_2 Depth=1
	s_or_saveexec_b64 s[14:15], s[14:15]
	v_mov_b32_e32 v58, v56
	s_xor_b64 exec, exec, s[14:15]
	s_cbranch_execz .LBB18_202
; %bb.201:                              ;   in Loop: Header=BB18_2 Depth=1
	ds_read_b32 v58, v61 offset:4
	s_waitcnt lgkmcnt(1)
	v_mov_b32_e32 v57, v55
.LBB18_202:                             ;   in Loop: Header=BB18_2 Depth=1
	s_or_b64 exec, exec, s[14:15]
	v_add_u32_e32 v62, 1, v59
	v_add_u32_e32 v61, 1, v60
	v_cndmask_b32_e64 v62, v62, v59, s[12:13]
	v_cndmask_b32_e64 v61, v60, v61, s[12:13]
	v_cmp_ge_i32_e64 s[16:17], v62, v31
	s_waitcnt lgkmcnt(0)
	v_cmp_lt_i32_e64 s[18:19], v58, v57
	v_cmp_gt_i32_e64 s[14:15], s33, v61
	s_or_b64 s[16:17], s[16:17], s[18:19]
	s_and_b64 s[14:15], s[14:15], s[16:17]
	s_xor_b64 s[16:17], s[14:15], -1
                                        ; implicit-def: $vgpr59
	s_and_saveexec_b64 s[18:19], s[16:17]
	s_xor_b64 s[16:17], exec, s[18:19]
; %bb.203:                              ;   in Loop: Header=BB18_2 Depth=1
	v_lshlrev_b32_e32 v59, 2, v62
	ds_read_b32 v59, v59 offset:4
; %bb.204:                              ;   in Loop: Header=BB18_2 Depth=1
	s_or_saveexec_b64 s[16:17], s[16:17]
	v_mov_b32_e32 v60, v58
	s_xor_b64 exec, exec, s[16:17]
	s_cbranch_execz .LBB18_206
; %bb.205:                              ;   in Loop: Header=BB18_2 Depth=1
	s_waitcnt lgkmcnt(0)
	v_lshlrev_b32_e32 v59, 2, v61
	ds_read_b32 v60, v59 offset:4
	v_mov_b32_e32 v59, v57
.LBB18_206:                             ;   in Loop: Header=BB18_2 Depth=1
	s_or_b64 exec, exec, s[16:17]
	v_add_u32_e32 v64, 1, v62
	v_add_u32_e32 v63, 1, v61
	v_cndmask_b32_e64 v64, v64, v62, s[14:15]
	v_cndmask_b32_e64 v63, v61, v63, s[14:15]
	v_cmp_ge_i32_e64 s[18:19], v64, v31
	s_waitcnt lgkmcnt(0)
	v_cmp_lt_i32_e64 s[20:21], v60, v59
	v_cmp_gt_i32_e64 s[16:17], s33, v63
	s_or_b64 s[18:19], s[18:19], s[20:21]
	s_and_b64 s[16:17], s[16:17], s[18:19]
	s_xor_b64 s[18:19], s[16:17], -1
                                        ; implicit-def: $vgpr61
	s_and_saveexec_b64 s[20:21], s[18:19]
	s_xor_b64 s[18:19], exec, s[20:21]
; %bb.207:                              ;   in Loop: Header=BB18_2 Depth=1
	v_lshlrev_b32_e32 v61, 2, v64
	ds_read_b32 v61, v61 offset:4
; %bb.208:                              ;   in Loop: Header=BB18_2 Depth=1
	s_or_saveexec_b64 s[18:19], s[18:19]
	v_mov_b32_e32 v62, v60
	s_xor_b64 exec, exec, s[18:19]
	s_cbranch_execz .LBB18_210
; %bb.209:                              ;   in Loop: Header=BB18_2 Depth=1
	s_waitcnt lgkmcnt(0)
	v_lshlrev_b32_e32 v61, 2, v63
	ds_read_b32 v62, v61 offset:4
	v_mov_b32_e32 v61, v59
.LBB18_210:                             ;   in Loop: Header=BB18_2 Depth=1
	s_or_b64 exec, exec, s[18:19]
	v_add_u32_e32 v66, 1, v64
	v_add_u32_e32 v65, 1, v63
	v_cndmask_b32_e64 v66, v66, v64, s[16:17]
	v_cndmask_b32_e64 v65, v63, v65, s[16:17]
	v_cmp_ge_i32_e64 s[20:21], v66, v31
	s_waitcnt lgkmcnt(0)
	v_cmp_lt_i32_e64 s[22:23], v62, v61
	v_cmp_gt_i32_e64 s[18:19], s33, v65
	s_or_b64 s[20:21], s[20:21], s[22:23]
	s_and_b64 s[18:19], s[18:19], s[20:21]
	s_xor_b64 s[20:21], s[18:19], -1
                                        ; implicit-def: $vgpr63
	s_and_saveexec_b64 s[22:23], s[20:21]
	s_xor_b64 s[20:21], exec, s[22:23]
; %bb.211:                              ;   in Loop: Header=BB18_2 Depth=1
	v_lshlrev_b32_e32 v63, 2, v66
	ds_read_b32 v63, v63 offset:4
; %bb.212:                              ;   in Loop: Header=BB18_2 Depth=1
	s_or_saveexec_b64 s[20:21], s[20:21]
	v_mov_b32_e32 v64, v62
	s_xor_b64 exec, exec, s[20:21]
	s_cbranch_execz .LBB18_214
; %bb.213:                              ;   in Loop: Header=BB18_2 Depth=1
	s_waitcnt lgkmcnt(0)
	v_lshlrev_b32_e32 v63, 2, v65
	ds_read_b32 v64, v63 offset:4
	v_mov_b32_e32 v63, v61
.LBB18_214:                             ;   in Loop: Header=BB18_2 Depth=1
	s_or_b64 exec, exec, s[20:21]
	v_add_u32_e32 v68, 1, v66
	v_add_u32_e32 v67, 1, v65
	v_cndmask_b32_e64 v66, v68, v66, s[18:19]
	v_cndmask_b32_e64 v65, v65, v67, s[18:19]
	v_cmp_ge_i32_e64 s[22:23], v66, v31
	s_waitcnt lgkmcnt(0)
	v_cmp_lt_i32_e64 s[24:25], v64, v63
	v_cmp_gt_i32_e64 s[20:21], s33, v65
	s_or_b64 s[22:23], s[22:23], s[24:25]
	s_and_b64 s[20:21], s[20:21], s[22:23]
	s_xor_b64 s[22:23], s[20:21], -1
                                        ; implicit-def: $vgpr67
	s_and_saveexec_b64 s[24:25], s[22:23]
	s_xor_b64 s[22:23], exec, s[24:25]
; %bb.215:                              ;   in Loop: Header=BB18_2 Depth=1
	v_lshlrev_b32_e32 v67, 2, v66
	ds_read_b32 v67, v67 offset:4
; %bb.216:                              ;   in Loop: Header=BB18_2 Depth=1
	s_or_saveexec_b64 s[22:23], s[22:23]
	v_mov_b32_e32 v68, v64
	s_xor_b64 exec, exec, s[22:23]
	s_cbranch_execz .LBB18_218
; %bb.217:                              ;   in Loop: Header=BB18_2 Depth=1
	s_waitcnt lgkmcnt(0)
	v_lshlrev_b32_e32 v67, 2, v65
	ds_read_b32 v68, v67 offset:4
	v_mov_b32_e32 v67, v63
.LBB18_218:                             ;   in Loop: Header=BB18_2 Depth=1
	s_or_b64 exec, exec, s[22:23]
	v_add_u32_e32 v70, 1, v66
	v_add_u32_e32 v69, 1, v65
	v_cndmask_b32_e64 v66, v70, v66, s[20:21]
	v_cndmask_b32_e64 v65, v65, v69, s[20:21]
	v_cmp_ge_i32_e64 s[24:25], v66, v31
	s_waitcnt lgkmcnt(0)
	v_cmp_lt_i32_e64 s[26:27], v68, v67
	v_cmp_gt_i32_e64 s[22:23], s33, v65
	s_or_b64 s[24:25], s[24:25], s[26:27]
	s_and_b64 s[22:23], s[22:23], s[24:25]
	s_xor_b64 s[24:25], s[22:23], -1
                                        ; implicit-def: $vgpr69
	s_and_saveexec_b64 s[26:27], s[24:25]
	s_xor_b64 s[24:25], exec, s[26:27]
; %bb.219:                              ;   in Loop: Header=BB18_2 Depth=1
	v_lshlrev_b32_e32 v69, 2, v66
	ds_read_b32 v69, v69 offset:4
; %bb.220:                              ;   in Loop: Header=BB18_2 Depth=1
	s_or_saveexec_b64 s[24:25], s[24:25]
	v_mov_b32_e32 v70, v68
	s_xor_b64 exec, exec, s[24:25]
	s_cbranch_execz .LBB18_222
; %bb.221:                              ;   in Loop: Header=BB18_2 Depth=1
	s_waitcnt lgkmcnt(0)
	v_lshlrev_b32_e32 v69, 2, v65
	ds_read_b32 v70, v69 offset:4
	v_mov_b32_e32 v69, v67
.LBB18_222:                             ;   in Loop: Header=BB18_2 Depth=1
	s_or_b64 exec, exec, s[24:25]
	v_add_u32_e32 v71, 1, v65
	v_add_u32_e32 v72, 1, v66
	v_cndmask_b32_e64 v71, v65, v71, s[22:23]
	v_cndmask_b32_e64 v65, v72, v66, s[22:23]
	v_cmp_ge_i32_e64 s[26:27], v65, v31
	s_waitcnt lgkmcnt(0)
	v_cmp_lt_i32_e64 s[28:29], v70, v69
	v_cmp_gt_i32_e64 s[24:25], s33, v71
	s_or_b64 s[26:27], s[26:27], s[28:29]
	s_and_b64 s[24:25], s[24:25], s[26:27]
	s_xor_b64 s[26:27], s[24:25], -1
                                        ; implicit-def: $vgpr72
                                        ; implicit-def: $vgpr73
	s_and_saveexec_b64 s[28:29], s[26:27]
	s_xor_b64 s[26:27], exec, s[28:29]
; %bb.223:                              ;   in Loop: Header=BB18_2 Depth=1
	v_lshlrev_b32_e32 v66, 2, v65
	ds_read_b32 v72, v66 offset:4
	v_add_u32_e32 v73, 1, v65
                                        ; implicit-def: $vgpr65
; %bb.224:                              ;   in Loop: Header=BB18_2 Depth=1
	s_or_saveexec_b64 s[26:27], s[26:27]
	v_mov_b32_e32 v74, v70
	s_xor_b64 exec, exec, s[26:27]
	s_cbranch_execz .LBB18_1
; %bb.225:                              ;   in Loop: Header=BB18_2 Depth=1
	v_lshlrev_b32_e32 v66, 2, v71
	ds_read_b32 v74, v66 offset:4
	v_add_u32_e32 v71, 1, v71
	v_mov_b32_e32 v73, v65
	s_waitcnt lgkmcnt(1)
	v_mov_b32_e32 v72, v69
	s_branch .LBB18_1
.LBB18_226:
	s_add_u32 s0, s30, s34
	s_addc_u32 s1, s31, s35
	v_lshlrev_b32_e32 v0, 2, v0
	global_store_dword v0, v65, s[0:1]
	global_store_dword v0, v66, s[0:1] offset:512
	global_store_dword v0, v58, s[0:1] offset:1024
	;; [unrolled: 1-line block ×7, first 2 shown]
	s_endpgm
	.section	.rodata,"a",@progbits
	.p2align	6, 0x0
	.amdhsa_kernel _Z16sort_keys_kernelIiLj128ELj8EN10test_utils4lessELj10EEvPKT_PS2_T2_
		.amdhsa_group_segment_fixed_size 4100
		.amdhsa_private_segment_fixed_size 0
		.amdhsa_kernarg_size 20
		.amdhsa_user_sgpr_count 6
		.amdhsa_user_sgpr_private_segment_buffer 1
		.amdhsa_user_sgpr_dispatch_ptr 0
		.amdhsa_user_sgpr_queue_ptr 0
		.amdhsa_user_sgpr_kernarg_segment_ptr 1
		.amdhsa_user_sgpr_dispatch_id 0
		.amdhsa_user_sgpr_flat_scratch_init 0
		.amdhsa_user_sgpr_private_segment_size 0
		.amdhsa_uses_dynamic_stack 0
		.amdhsa_system_sgpr_private_segment_wavefront_offset 0
		.amdhsa_system_sgpr_workgroup_id_x 1
		.amdhsa_system_sgpr_workgroup_id_y 0
		.amdhsa_system_sgpr_workgroup_id_z 0
		.amdhsa_system_sgpr_workgroup_info 0
		.amdhsa_system_vgpr_workitem_id 0
		.amdhsa_next_free_vgpr 75
		.amdhsa_next_free_sgpr 61
		.amdhsa_reserve_vcc 1
		.amdhsa_reserve_flat_scratch 0
		.amdhsa_float_round_mode_32 0
		.amdhsa_float_round_mode_16_64 0
		.amdhsa_float_denorm_mode_32 3
		.amdhsa_float_denorm_mode_16_64 3
		.amdhsa_dx10_clamp 1
		.amdhsa_ieee_mode 1
		.amdhsa_fp16_overflow 0
		.amdhsa_exception_fp_ieee_invalid_op 0
		.amdhsa_exception_fp_denorm_src 0
		.amdhsa_exception_fp_ieee_div_zero 0
		.amdhsa_exception_fp_ieee_overflow 0
		.amdhsa_exception_fp_ieee_underflow 0
		.amdhsa_exception_fp_ieee_inexact 0
		.amdhsa_exception_int_div_zero 0
	.end_amdhsa_kernel
	.section	.text._Z16sort_keys_kernelIiLj128ELj8EN10test_utils4lessELj10EEvPKT_PS2_T2_,"axG",@progbits,_Z16sort_keys_kernelIiLj128ELj8EN10test_utils4lessELj10EEvPKT_PS2_T2_,comdat
.Lfunc_end18:
	.size	_Z16sort_keys_kernelIiLj128ELj8EN10test_utils4lessELj10EEvPKT_PS2_T2_, .Lfunc_end18-_Z16sort_keys_kernelIiLj128ELj8EN10test_utils4lessELj10EEvPKT_PS2_T2_
                                        ; -- End function
	.set _Z16sort_keys_kernelIiLj128ELj8EN10test_utils4lessELj10EEvPKT_PS2_T2_.num_vgpr, 75
	.set _Z16sort_keys_kernelIiLj128ELj8EN10test_utils4lessELj10EEvPKT_PS2_T2_.num_agpr, 0
	.set _Z16sort_keys_kernelIiLj128ELj8EN10test_utils4lessELj10EEvPKT_PS2_T2_.numbered_sgpr, 38
	.set _Z16sort_keys_kernelIiLj128ELj8EN10test_utils4lessELj10EEvPKT_PS2_T2_.num_named_barrier, 0
	.set _Z16sort_keys_kernelIiLj128ELj8EN10test_utils4lessELj10EEvPKT_PS2_T2_.private_seg_size, 0
	.set _Z16sort_keys_kernelIiLj128ELj8EN10test_utils4lessELj10EEvPKT_PS2_T2_.uses_vcc, 1
	.set _Z16sort_keys_kernelIiLj128ELj8EN10test_utils4lessELj10EEvPKT_PS2_T2_.uses_flat_scratch, 0
	.set _Z16sort_keys_kernelIiLj128ELj8EN10test_utils4lessELj10EEvPKT_PS2_T2_.has_dyn_sized_stack, 0
	.set _Z16sort_keys_kernelIiLj128ELj8EN10test_utils4lessELj10EEvPKT_PS2_T2_.has_recursion, 0
	.set _Z16sort_keys_kernelIiLj128ELj8EN10test_utils4lessELj10EEvPKT_PS2_T2_.has_indirect_call, 0
	.section	.AMDGPU.csdata,"",@progbits
; Kernel info:
; codeLenInByte = 9844
; TotalNumSgprs: 42
; NumVgprs: 75
; ScratchSize: 0
; MemoryBound: 0
; FloatMode: 240
; IeeeMode: 1
; LDSByteSize: 4100 bytes/workgroup (compile time only)
; SGPRBlocks: 8
; VGPRBlocks: 18
; NumSGPRsForWavesPerEU: 65
; NumVGPRsForWavesPerEU: 75
; Occupancy: 3
; WaveLimiterHint : 1
; COMPUTE_PGM_RSRC2:SCRATCH_EN: 0
; COMPUTE_PGM_RSRC2:USER_SGPR: 6
; COMPUTE_PGM_RSRC2:TRAP_HANDLER: 0
; COMPUTE_PGM_RSRC2:TGID_X_EN: 1
; COMPUTE_PGM_RSRC2:TGID_Y_EN: 0
; COMPUTE_PGM_RSRC2:TGID_Z_EN: 0
; COMPUTE_PGM_RSRC2:TIDIG_COMP_CNT: 0
	.section	.text._Z17sort_pairs_kernelIiLj128ELj8EN10test_utils4lessELj10EEvPKT_PS2_T2_,"axG",@progbits,_Z17sort_pairs_kernelIiLj128ELj8EN10test_utils4lessELj10EEvPKT_PS2_T2_,comdat
	.protected	_Z17sort_pairs_kernelIiLj128ELj8EN10test_utils4lessELj10EEvPKT_PS2_T2_ ; -- Begin function _Z17sort_pairs_kernelIiLj128ELj8EN10test_utils4lessELj10EEvPKT_PS2_T2_
	.globl	_Z17sort_pairs_kernelIiLj128ELj8EN10test_utils4lessELj10EEvPKT_PS2_T2_
	.p2align	8
	.type	_Z17sort_pairs_kernelIiLj128ELj8EN10test_utils4lessELj10EEvPKT_PS2_T2_,@function
_Z17sort_pairs_kernelIiLj128ELj8EN10test_utils4lessELj10EEvPKT_PS2_T2_: ; @_Z17sort_pairs_kernelIiLj128ELj8EN10test_utils4lessELj10EEvPKT_PS2_T2_
; %bb.0:
	s_load_dwordx4 s[88:91], s[4:5], 0x0
	s_lshl_b32 s94, s6, 10
	s_mov_b32 s95, 0
	s_lshl_b64 s[92:93], s[94:95], 2
	v_lshlrev_b32_e32 v10, 2, v0
	s_waitcnt lgkmcnt(0)
	s_add_u32 s0, s88, s92
	s_addc_u32 s1, s89, s93
	global_load_dword v75, v10, s[0:1]
	global_load_dword v68, v10, s[0:1] offset:512
	global_load_dword v66, v10, s[0:1] offset:1024
	;; [unrolled: 1-line block ×7, first 2 shown]
	v_lshlrev_b32_e32 v34, 3, v0
	v_and_b32_e32 v1, 0x3f0, v34
	v_and_b32_e32 v4, 0x3e0, v34
	;; [unrolled: 1-line block ×6, first 2 shown]
	v_or_b32_e32 v2, 8, v1
	v_add_u32_e32 v3, 16, v1
	v_or_b32_e32 v5, 16, v4
	v_add_u32_e32 v6, 32, v4
	;; [unrolled: 2-line block ×6, first 2 shown]
	v_and_b32_e32 v36, 8, v34
	v_sub_u32_e32 v19, v3, v2
	v_and_b32_e32 v38, 24, v34
	v_sub_u32_e32 v21, v6, v5
	;; [unrolled: 2-line block ×6, first 2 shown]
	v_sub_u32_e32 v20, v36, v19
	v_sub_u32_e32 v22, v38, v21
	;; [unrolled: 1-line block ×6, first 2 shown]
	v_cmp_ge_i32_e32 vcc, v36, v19
	v_cmp_ge_i32_e64 s[0:1], v38, v21
	v_cmp_ge_i32_e64 s[2:3], v40, v23
	;; [unrolled: 1-line block ×5, first 2 shown]
	v_cndmask_b32_e32 v19, 0, v20, vcc
	v_sub_u32_e32 v20, v2, v1
	v_cndmask_b32_e64 v21, 0, v22, s[0:1]
	v_sub_u32_e32 v22, v5, v4
	v_cndmask_b32_e64 v23, 0, v24, s[2:3]
	;; [unrolled: 2-line block ×5, first 2 shown]
	v_sub_u32_e32 v30, v17, v16
	v_mov_b32_e32 v31, 0x200
	v_min_i32_e32 v20, v36, v20
	v_min_i32_e32 v22, v38, v22
	;; [unrolled: 1-line block ×6, first 2 shown]
	v_sub_u32_e64 v32, v34, v31 clamp
	v_min_i32_e32 v33, 0x200, v34
	v_add_u32_e32 v35, v2, v36
	v_lshlrev_b32_e32 v36, 2, v36
	v_add_u32_e32 v37, v5, v38
	v_lshlrev_b32_e32 v38, 2, v38
	;; [unrolled: 2-line block ×6, first 2 shown]
	v_lshlrev_b32_e32 v47, 5, v0
	v_cmp_lt_i32_e32 vcc, v19, v20
	v_cmp_lt_i32_e64 s[0:1], v21, v22
	v_cmp_lt_i32_e64 s[2:3], v23, v24
	;; [unrolled: 1-line block ×6, first 2 shown]
	v_add_u32_e32 v34, 0x200, v34
	v_lshl_add_u32 v36, v2, 2, v36
	v_lshl_add_u32 v38, v5, 2, v38
	;; [unrolled: 1-line block ×6, first 2 shown]
	s_movk_i32 s33, 0x400
	s_waitcnt vmcnt(7)
	v_add_u32_e32 v55, 1, v75
	s_waitcnt vmcnt(6)
	v_add_u32_e32 v59, 1, v68
	;; [unrolled: 2-line block ×8, first 2 shown]
	v_lshlrev_b32_e32 v48, 2, v1
	v_lshlrev_b32_e32 v49, 2, v4
	;; [unrolled: 1-line block ×6, first 2 shown]
	v_add_u32_e32 v54, 0x800, v47
	s_branch .LBB19_2
.LBB19_1:                               ;   in Loop: Header=BB19_2 Depth=1
	s_or_b64 exec, exec, s[26:27]
	v_cndmask_b32_e64 v75, v65, v66, s[12:13]
	v_cndmask_b32_e64 v68, v67, v68, s[14:15]
	;; [unrolled: 1-line block ×5, first 2 shown]
	v_cmp_ge_i32_e64 s[14:15], v92, v31
	s_waitcnt lgkmcnt(0)
	v_cmp_lt_i32_e64 s[16:17], v94, v93
	v_cndmask_b32_e64 v64, v63, v64, s[12:13]
	v_cmp_gt_i32_e64 s[12:13], s33, v90
	s_or_b64 s[14:15], s[14:15], s[16:17]
	v_cndmask_b32_e64 v67, v76, v77, s[18:19]
	v_cndmask_b32_e64 v71, v89, v88, s[20:21]
	;; [unrolled: 1-line block ×4, first 2 shown]
	s_and_b64 s[12:13], s[12:13], s[14:15]
	v_cndmask_b32_e64 v70, v92, v90, s[12:13]
	s_barrier
	ds_write2_b32 v47, v55, v56 offset1:1
	ds_write2_b32 v47, v57, v58 offset0:2 offset1:3
	ds_write2_b32 v47, v59, v60 offset0:4 offset1:5
	;; [unrolled: 1-line block ×3, first 2 shown]
	v_lshlrev_b32_e32 v55, 2, v64
	v_lshlrev_b32_e32 v56, 2, v69
	;; [unrolled: 1-line block ×6, first 2 shown]
	s_waitcnt lgkmcnt(0)
	s_barrier
	v_lshlrev_b32_e32 v64, 2, v91
	v_lshlrev_b32_e32 v69, 2, v70
	ds_read_b32 v55, v55
	ds_read_b32 v59, v56
	;; [unrolled: 1-line block ×8, first 2 shown]
	s_add_i32 s95, s95, 1
	v_cndmask_b32_e64 v65, v81, v83, s[22:23]
	v_cndmask_b32_e64 v63, v93, v94, s[12:13]
	;; [unrolled: 1-line block ×3, first 2 shown]
	s_cmp_eq_u32 s95, 10
	v_cndmask_b32_e64 v69, v86, v87, s[24:25]
	s_cbranch_scc1 .LBB19_226
.LBB19_2:                               ; =>This Loop Header: Depth=1
                                        ;     Child Loop BB19_4 Depth 2
                                        ;     Child Loop BB19_36 Depth 2
	;; [unrolled: 1-line block ×7, first 2 shown]
	v_cmp_lt_i32_e64 s[12:13], v68, v75
	v_cmp_lt_i32_e64 s[14:15], v67, v66
	v_cmp_lt_i32_e64 s[16:17], v64, v65
	v_cmp_lt_i32_e64 s[18:19], v63, v69
	v_cndmask_b32_e64 v70, v75, v68, s[12:13]
	v_cndmask_b32_e64 v68, v68, v75, s[12:13]
	v_cndmask_b32_e64 v71, v67, v66, s[14:15]
	v_cndmask_b32_e64 v66, v66, v67, s[14:15]
	v_cndmask_b32_e64 v67, v64, v65, s[16:17]
	v_cndmask_b32_e64 v64, v65, v64, s[16:17]
	v_cndmask_b32_e64 v65, v63, v69, s[18:19]
	v_cndmask_b32_e64 v63, v69, v63, s[18:19]
	v_cmp_lt_i32_e64 s[20:21], v66, v68
	v_cmp_lt_i32_e64 s[22:23], v64, v71
	v_cmp_lt_i32_e64 s[24:25], v63, v67
	v_cndmask_b32_e64 v69, v66, v68, s[20:21]
	v_cndmask_b32_e64 v66, v68, v66, s[20:21]
	v_cndmask_b32_e64 v68, v64, v71, s[22:23]
	v_cndmask_b32_e64 v64, v71, v64, s[22:23]
	v_cndmask_b32_e64 v71, v63, v67, s[24:25]
	v_cndmask_b32_e64 v63, v67, v63, s[24:25]
	v_cmp_lt_i32_e64 s[26:27], v66, v70
	v_cmp_lt_i32_e64 s[28:29], v64, v69
	v_cmp_lt_i32_e64 s[30:31], v63, v68
	v_cmp_lt_i32_e64 s[34:35], v65, v71
	v_cndmask_b32_e64 v67, v70, v66, s[26:27]
	v_cndmask_b32_e64 v66, v66, v70, s[26:27]
	v_cndmask_b32_e64 v70, v64, v69, s[28:29]
	v_cndmask_b32_e64 v64, v69, v64, s[28:29]
	v_cndmask_b32_e64 v69, v63, v68, s[30:31]
	v_cndmask_b32_e64 v63, v68, v63, s[30:31]
	v_cndmask_b32_e64 v68, v65, v71, s[34:35]
	v_cndmask_b32_e64 v65, v71, v65, s[34:35]
	v_cmp_lt_i32_e64 s[36:37], v64, v66
	v_cmp_lt_i32_e64 s[38:39], v63, v70
	v_cmp_lt_i32_e64 s[40:41], v65, v69
	v_cndmask_b32_e64 v71, v64, v66, s[36:37]
	v_cndmask_b32_e64 v64, v66, v64, s[36:37]
	v_cndmask_b32_e64 v66, v63, v70, s[38:39]
	v_cndmask_b32_e64 v63, v70, v63, s[38:39]
	v_cndmask_b32_e64 v70, v65, v69, s[40:41]
	v_cndmask_b32_e64 v65, v69, v65, s[40:41]
	;; [unrolled: 21-line block ×3, first 2 shown]
	v_cmp_lt_i32_e64 s[56:57], v63, v69
	v_cmp_lt_i32_e64 s[58:59], v65, v70
	v_cmp_lt_i32_e64 s[60:61], v68, v64
	v_cndmask_b32_e64 v71, v69, v63, s[56:57]
	v_cndmask_b32_e64 v63, v63, v69, s[56:57]
	v_cndmask_b32_e64 v69, v65, v70, s[58:59]
	v_cndmask_b32_e64 v65, v70, v65, s[58:59]
	v_cndmask_b32_e64 v70, v68, v64, s[60:61]
	v_cndmask_b32_e64 v64, v64, v68, s[60:61]
	v_cmp_lt_i32_e64 s[62:63], v66, v67
	v_cndmask_b32_e64 v68, v66, v67, s[62:63]
	v_cndmask_b32_e64 v66, v67, v66, s[62:63]
	v_cmp_lt_i32_e64 s[64:65], v65, v63
	v_cmp_lt_i32_e64 s[66:67], v64, v69
	v_cndmask_b32_e64 v67, v65, v63, s[64:65]
	v_cndmask_b32_e64 v63, v63, v65, s[64:65]
	v_cndmask_b32_e64 v65, v64, v69, s[66:67]
	v_cmp_lt_i32_e64 s[68:69], v66, v70
	v_cndmask_b32_e64 v64, v69, v64, s[66:67]
	v_cndmask_b32_e64 v69, v66, v70, s[68:69]
	;; [unrolled: 1-line block ×3, first 2 shown]
	s_waitcnt lgkmcnt(0)
	s_barrier
	ds_write2_b32 v47, v71, v63 offset1:1
	ds_write2_b32 v47, v67, v64 offset0:2 offset1:3
	ds_write2_b32 v47, v65, v66 offset0:4 offset1:5
	;; [unrolled: 1-line block ×3, first 2 shown]
	v_mov_b32_e32 v65, v19
	s_waitcnt lgkmcnt(0)
	s_barrier
	s_and_saveexec_b64 s[72:73], vcc
	s_cbranch_execz .LBB19_6
; %bb.3:                                ;   in Loop: Header=BB19_2 Depth=1
	s_mov_b64 s[74:75], 0
	v_mov_b32_e32 v65, v19
	v_mov_b32_e32 v63, v20
.LBB19_4:                               ;   Parent Loop BB19_2 Depth=1
                                        ; =>  This Inner Loop Header: Depth=2
	v_sub_u32_e32 v64, v63, v65
	v_lshrrev_b32_e32 v64, 1, v64
	v_add_u32_e32 v64, v64, v65
	v_not_b32_e32 v67, v64
	v_lshl_add_u32 v66, v64, 2, v48
	v_lshl_add_u32 v67, v67, 2, v36
	ds_read_b32 v66, v66
	ds_read_b32 v67, v67
	v_add_u32_e32 v68, 1, v64
	s_waitcnt lgkmcnt(0)
	v_cmp_lt_i32_e64 s[70:71], v67, v66
	v_cndmask_b32_e64 v63, v63, v64, s[70:71]
	v_cndmask_b32_e64 v65, v68, v65, s[70:71]
	v_cmp_ge_i32_e64 s[70:71], v65, v63
	s_or_b64 s[74:75], s[70:71], s[74:75]
	s_andn2_b64 exec, exec, s[74:75]
	s_cbranch_execnz .LBB19_4
; %bb.5:                                ;   in Loop: Header=BB19_2 Depth=1
	s_or_b64 exec, exec, s[74:75]
.LBB19_6:                               ;   in Loop: Header=BB19_2 Depth=1
	s_or_b64 exec, exec, s[72:73]
	v_sub_u32_e32 v63, v35, v65
	v_lshl_add_u32 v68, v65, 2, v48
	v_lshlrev_b32_e32 v69, 2, v63
	ds_read_b32 v64, v68
	ds_read_b32 v66, v69
	v_add_u32_e32 v65, v65, v1
	v_cmp_le_i32_e64 s[72:73], v2, v65
	v_cmp_gt_i32_e64 s[70:71], v3, v63
                                        ; implicit-def: $vgpr67
	s_waitcnt lgkmcnt(0)
	v_cmp_lt_i32_e64 s[74:75], v66, v64
	s_or_b64 s[72:73], s[72:73], s[74:75]
	s_and_b64 s[70:71], s[70:71], s[72:73]
	s_xor_b64 s[72:73], s[70:71], -1
	s_and_saveexec_b64 s[74:75], s[72:73]
	s_xor_b64 s[72:73], exec, s[74:75]
; %bb.7:                                ;   in Loop: Header=BB19_2 Depth=1
	ds_read_b32 v67, v68 offset:4
                                        ; implicit-def: $vgpr69
; %bb.8:                                ;   in Loop: Header=BB19_2 Depth=1
	s_or_saveexec_b64 s[72:73], s[72:73]
	v_mov_b32_e32 v68, v66
	s_xor_b64 exec, exec, s[72:73]
	s_cbranch_execz .LBB19_10
; %bb.9:                                ;   in Loop: Header=BB19_2 Depth=1
	ds_read_b32 v68, v69 offset:4
	s_waitcnt lgkmcnt(1)
	v_mov_b32_e32 v67, v64
.LBB19_10:                              ;   in Loop: Header=BB19_2 Depth=1
	s_or_b64 exec, exec, s[72:73]
	v_add_u32_e32 v70, 1, v65
	v_add_u32_e32 v69, 1, v63
	v_cndmask_b32_e64 v70, v70, v65, s[70:71]
	v_cndmask_b32_e64 v69, v63, v69, s[70:71]
	v_cmp_ge_i32_e64 s[74:75], v70, v2
	s_waitcnt lgkmcnt(0)
	v_cmp_lt_i32_e64 s[76:77], v68, v67
	v_cmp_lt_i32_e64 s[72:73], v69, v3
	s_or_b64 s[74:75], s[74:75], s[76:77]
	s_and_b64 s[72:73], s[72:73], s[74:75]
	s_xor_b64 s[74:75], s[72:73], -1
                                        ; implicit-def: $vgpr71
	s_and_saveexec_b64 s[76:77], s[74:75]
	s_xor_b64 s[74:75], exec, s[76:77]
; %bb.11:                               ;   in Loop: Header=BB19_2 Depth=1
	v_lshlrev_b32_e32 v71, 2, v70
	ds_read_b32 v71, v71 offset:4
; %bb.12:                               ;   in Loop: Header=BB19_2 Depth=1
	s_or_saveexec_b64 s[74:75], s[74:75]
	v_mov_b32_e32 v72, v68
	s_xor_b64 exec, exec, s[74:75]
	s_cbranch_execz .LBB19_14
; %bb.13:                               ;   in Loop: Header=BB19_2 Depth=1
	s_waitcnt lgkmcnt(0)
	v_lshlrev_b32_e32 v71, 2, v69
	ds_read_b32 v72, v71 offset:4
	v_mov_b32_e32 v71, v67
.LBB19_14:                              ;   in Loop: Header=BB19_2 Depth=1
	s_or_b64 exec, exec, s[74:75]
	v_add_u32_e32 v74, 1, v70
	v_add_u32_e32 v73, 1, v69
	v_cndmask_b32_e64 v74, v74, v70, s[72:73]
	v_cndmask_b32_e64 v73, v69, v73, s[72:73]
	v_cmp_ge_i32_e64 s[76:77], v74, v2
	s_waitcnt lgkmcnt(0)
	v_cmp_lt_i32_e64 s[78:79], v72, v71
	v_cmp_lt_i32_e64 s[74:75], v73, v3
	s_or_b64 s[76:77], s[76:77], s[78:79]
	s_and_b64 s[74:75], s[74:75], s[76:77]
	s_xor_b64 s[76:77], s[74:75], -1
                                        ; implicit-def: $vgpr75
	s_and_saveexec_b64 s[78:79], s[76:77]
	s_xor_b64 s[76:77], exec, s[78:79]
; %bb.15:                               ;   in Loop: Header=BB19_2 Depth=1
	v_lshlrev_b32_e32 v75, 2, v74
	ds_read_b32 v75, v75 offset:4
; %bb.16:                               ;   in Loop: Header=BB19_2 Depth=1
	s_or_saveexec_b64 s[76:77], s[76:77]
	v_mov_b32_e32 v76, v72
	s_xor_b64 exec, exec, s[76:77]
	s_cbranch_execz .LBB19_18
; %bb.17:                               ;   in Loop: Header=BB19_2 Depth=1
	s_waitcnt lgkmcnt(0)
	v_lshlrev_b32_e32 v75, 2, v73
	ds_read_b32 v76, v75 offset:4
	v_mov_b32_e32 v75, v71
.LBB19_18:                              ;   in Loop: Header=BB19_2 Depth=1
	s_or_b64 exec, exec, s[76:77]
	v_add_u32_e32 v78, 1, v74
	v_add_u32_e32 v77, 1, v73
	v_cndmask_b32_e64 v78, v78, v74, s[74:75]
	v_cndmask_b32_e64 v77, v73, v77, s[74:75]
	v_cmp_ge_i32_e64 s[78:79], v78, v2
	s_waitcnt lgkmcnt(0)
	v_cmp_lt_i32_e64 s[80:81], v76, v75
	v_cmp_lt_i32_e64 s[76:77], v77, v3
	s_or_b64 s[78:79], s[78:79], s[80:81]
	s_and_b64 s[76:77], s[76:77], s[78:79]
	s_xor_b64 s[78:79], s[76:77], -1
                                        ; implicit-def: $vgpr79
	s_and_saveexec_b64 s[80:81], s[78:79]
	s_xor_b64 s[78:79], exec, s[80:81]
; %bb.19:                               ;   in Loop: Header=BB19_2 Depth=1
	v_lshlrev_b32_e32 v79, 2, v78
	ds_read_b32 v79, v79 offset:4
; %bb.20:                               ;   in Loop: Header=BB19_2 Depth=1
	s_or_saveexec_b64 s[78:79], s[78:79]
	v_mov_b32_e32 v80, v76
	s_xor_b64 exec, exec, s[78:79]
	s_cbranch_execz .LBB19_22
; %bb.21:                               ;   in Loop: Header=BB19_2 Depth=1
	s_waitcnt lgkmcnt(0)
	v_lshlrev_b32_e32 v79, 2, v77
	ds_read_b32 v80, v79 offset:4
	v_mov_b32_e32 v79, v75
.LBB19_22:                              ;   in Loop: Header=BB19_2 Depth=1
	s_or_b64 exec, exec, s[78:79]
	v_add_u32_e32 v82, 1, v78
	v_add_u32_e32 v81, 1, v77
	v_cndmask_b32_e64 v82, v82, v78, s[76:77]
	v_cndmask_b32_e64 v81, v77, v81, s[76:77]
	v_cmp_ge_i32_e64 s[80:81], v82, v2
	s_waitcnt lgkmcnt(0)
	v_cmp_lt_i32_e64 s[82:83], v80, v79
	v_cmp_lt_i32_e64 s[78:79], v81, v3
	s_or_b64 s[80:81], s[80:81], s[82:83]
	s_and_b64 s[78:79], s[78:79], s[80:81]
	s_xor_b64 s[80:81], s[78:79], -1
                                        ; implicit-def: $vgpr83
	s_and_saveexec_b64 s[82:83], s[80:81]
	s_xor_b64 s[80:81], exec, s[82:83]
; %bb.23:                               ;   in Loop: Header=BB19_2 Depth=1
	v_lshlrev_b32_e32 v83, 2, v82
	ds_read_b32 v83, v83 offset:4
; %bb.24:                               ;   in Loop: Header=BB19_2 Depth=1
	s_or_saveexec_b64 s[80:81], s[80:81]
	v_mov_b32_e32 v85, v80
	s_xor_b64 exec, exec, s[80:81]
	s_cbranch_execz .LBB19_26
; %bb.25:                               ;   in Loop: Header=BB19_2 Depth=1
	s_waitcnt lgkmcnt(0)
	v_lshlrev_b32_e32 v83, 2, v81
	ds_read_b32 v85, v83 offset:4
	v_mov_b32_e32 v83, v79
.LBB19_26:                              ;   in Loop: Header=BB19_2 Depth=1
	s_or_b64 exec, exec, s[80:81]
	v_add_u32_e32 v86, 1, v82
	v_add_u32_e32 v84, 1, v81
	v_cndmask_b32_e64 v88, v86, v82, s[78:79]
	v_cndmask_b32_e64 v87, v81, v84, s[78:79]
	v_cmp_ge_i32_e64 s[82:83], v88, v2
	s_waitcnt lgkmcnt(0)
	v_cmp_lt_i32_e64 s[84:85], v85, v83
	v_cmp_lt_i32_e64 s[80:81], v87, v3
	s_or_b64 s[82:83], s[82:83], s[84:85]
	s_and_b64 s[80:81], s[80:81], s[82:83]
	s_xor_b64 s[82:83], s[80:81], -1
                                        ; implicit-def: $vgpr89
	s_and_saveexec_b64 s[84:85], s[82:83]
	s_xor_b64 s[82:83], exec, s[84:85]
; %bb.27:                               ;   in Loop: Header=BB19_2 Depth=1
	v_lshlrev_b32_e32 v84, 2, v88
	ds_read_b32 v89, v84 offset:4
; %bb.28:                               ;   in Loop: Header=BB19_2 Depth=1
	s_or_saveexec_b64 s[82:83], s[82:83]
	v_mov_b32_e32 v90, v85
	s_xor_b64 exec, exec, s[82:83]
	s_cbranch_execz .LBB19_30
; %bb.29:                               ;   in Loop: Header=BB19_2 Depth=1
	v_lshlrev_b32_e32 v84, 2, v87
	ds_read_b32 v90, v84 offset:4
	s_waitcnt lgkmcnt(1)
	v_mov_b32_e32 v89, v83
.LBB19_30:                              ;   in Loop: Header=BB19_2 Depth=1
	s_or_b64 exec, exec, s[82:83]
	v_add_u32_e32 v86, 1, v88
	v_add_u32_e32 v84, 1, v87
	v_cndmask_b32_e64 v92, v86, v88, s[80:81]
	v_cndmask_b32_e64 v91, v87, v84, s[80:81]
	v_cmp_ge_i32_e64 s[84:85], v92, v2
	s_waitcnt lgkmcnt(0)
	v_cmp_lt_i32_e64 s[86:87], v90, v89
	v_cmp_lt_i32_e64 s[82:83], v91, v3
	s_or_b64 s[84:85], s[84:85], s[86:87]
	s_and_b64 s[82:83], s[82:83], s[84:85]
	s_xor_b64 s[84:85], s[82:83], -1
                                        ; implicit-def: $vgpr84
	s_and_saveexec_b64 s[86:87], s[84:85]
	s_xor_b64 s[84:85], exec, s[86:87]
; %bb.31:                               ;   in Loop: Header=BB19_2 Depth=1
	v_lshlrev_b32_e32 v84, 2, v92
	ds_read_b32 v84, v84 offset:4
; %bb.32:                               ;   in Loop: Header=BB19_2 Depth=1
	s_or_saveexec_b64 s[84:85], s[84:85]
	v_mov_b32_e32 v86, v90
	s_xor_b64 exec, exec, s[84:85]
	s_cbranch_execz .LBB19_34
; %bb.33:                               ;   in Loop: Header=BB19_2 Depth=1
	s_waitcnt lgkmcnt(0)
	v_lshlrev_b32_e32 v84, 2, v91
	ds_read_b32 v86, v84 offset:4
	v_mov_b32_e32 v84, v89
.LBB19_34:                              ;   in Loop: Header=BB19_2 Depth=1
	s_or_b64 exec, exec, s[84:85]
	v_cndmask_b32_e64 v63, v65, v63, s[70:71]
	v_cndmask_b32_e64 v65, v55, v59, s[12:13]
	;; [unrolled: 1-line block ×15, first 2 shown]
	v_add_u32_e32 v93, 1, v92
	v_cndmask_b32_e64 v60, v65, v55, s[26:27]
	v_cndmask_b32_e64 v55, v55, v65, s[26:27]
	;; [unrolled: 1-line block ×9, first 2 shown]
	v_add_u32_e32 v90, 1, v91
	v_cndmask_b32_e64 v93, v93, v92, s[82:83]
	v_cndmask_b32_e64 v61, v57, v55, s[36:37]
	v_cndmask_b32_e64 v55, v55, v57, s[36:37]
	v_cndmask_b32_e64 v57, v56, v65, s[38:39]
	v_cndmask_b32_e64 v56, v65, v56, s[38:39]
	v_cndmask_b32_e64 v65, v59, v62, s[40:41]
	v_cndmask_b32_e64 v59, v62, v59, s[40:41]
	v_cndmask_b32_e64 v90, v91, v90, s[82:83]
	v_cndmask_b32_e64 v62, v60, v55, s[42:43]
	v_cndmask_b32_e64 v55, v55, v60, s[42:43]
	v_cndmask_b32_e64 v60, v56, v61, s[44:45]
	v_cndmask_b32_e64 v56, v61, v56, s[44:45]
	v_cndmask_b32_e64 v61, v59, v57, s[46:47]
	v_cndmask_b32_e64 v57, v57, v59, s[46:47]
	v_cndmask_b32_e64 v59, v58, v65, s[48:49]
	v_cndmask_b32_e64 v58, v65, v58, s[48:49]
	v_cmp_ge_i32_e64 s[14:15], v93, v2
	s_waitcnt lgkmcnt(0)
	v_cmp_lt_i32_e64 s[16:17], v86, v84
	v_cndmask_b32_e64 v65, v56, v55, s[50:51]
	v_cndmask_b32_e64 v55, v55, v56, s[50:51]
	;; [unrolled: 1-line block ×6, first 2 shown]
	v_cmp_lt_i32_e64 s[12:13], v90, v3
	s_or_b64 s[14:15], s[14:15], s[16:17]
	v_cndmask_b32_e64 v61, v62, v55, s[56:57]
	v_cndmask_b32_e64 v55, v55, v62, s[56:57]
	;; [unrolled: 1-line block ×8, first 2 shown]
	s_and_b64 s[12:13], s[12:13], s[14:15]
	v_cndmask_b32_e64 v91, v92, v91, s[82:83]
	v_cndmask_b32_e64 v83, v83, v85, s[80:81]
	;; [unrolled: 1-line block ×19, first 2 shown]
	s_barrier
	ds_write2_b32 v47, v61, v55 offset1:1
	ds_write2_b32 v47, v60, v56 offset0:2 offset1:3
	ds_write2_b32 v47, v57, v59 offset0:4 offset1:5
	;; [unrolled: 1-line block ×3, first 2 shown]
	v_lshlrev_b32_e32 v55, 2, v63
	v_lshlrev_b32_e32 v56, 2, v68
	;; [unrolled: 1-line block ×8, first 2 shown]
	s_waitcnt lgkmcnt(0)
	s_barrier
	ds_read_b32 v55, v55
	ds_read_b32 v56, v56
	ds_read_b32 v57, v57
	ds_read_b32 v58, v58
	ds_read_b32 v59, v59
	ds_read_b32 v60, v60
	ds_read_b32 v61, v61
	ds_read_b32 v62, v62
	v_cndmask_b32_e64 v65, v84, v86, s[12:13]
	s_waitcnt lgkmcnt(0)
	s_barrier
	ds_write2_b32 v47, v64, v67 offset1:1
	ds_write2_b32 v47, v71, v75 offset0:2 offset1:3
	ds_write2_b32 v47, v79, v83 offset0:4 offset1:5
	;; [unrolled: 1-line block ×3, first 2 shown]
	v_mov_b32_e32 v65, v21
	s_waitcnt lgkmcnt(0)
	s_barrier
	s_and_saveexec_b64 s[14:15], s[0:1]
	s_cbranch_execz .LBB19_38
; %bb.35:                               ;   in Loop: Header=BB19_2 Depth=1
	s_mov_b64 s[16:17], 0
	v_mov_b32_e32 v65, v21
	v_mov_b32_e32 v63, v22
.LBB19_36:                              ;   Parent Loop BB19_2 Depth=1
                                        ; =>  This Inner Loop Header: Depth=2
	v_sub_u32_e32 v64, v63, v65
	v_lshrrev_b32_e32 v64, 1, v64
	v_add_u32_e32 v64, v64, v65
	v_not_b32_e32 v67, v64
	v_lshl_add_u32 v66, v64, 2, v49
	v_lshl_add_u32 v67, v67, 2, v38
	ds_read_b32 v66, v66
	ds_read_b32 v67, v67
	v_add_u32_e32 v68, 1, v64
	s_waitcnt lgkmcnt(0)
	v_cmp_lt_i32_e64 s[12:13], v67, v66
	v_cndmask_b32_e64 v63, v63, v64, s[12:13]
	v_cndmask_b32_e64 v65, v68, v65, s[12:13]
	v_cmp_ge_i32_e64 s[12:13], v65, v63
	s_or_b64 s[16:17], s[12:13], s[16:17]
	s_andn2_b64 exec, exec, s[16:17]
	s_cbranch_execnz .LBB19_36
; %bb.37:                               ;   in Loop: Header=BB19_2 Depth=1
	s_or_b64 exec, exec, s[16:17]
.LBB19_38:                              ;   in Loop: Header=BB19_2 Depth=1
	s_or_b64 exec, exec, s[14:15]
	v_sub_u32_e32 v63, v37, v65
	v_lshl_add_u32 v68, v65, 2, v49
	v_lshlrev_b32_e32 v69, 2, v63
	ds_read_b32 v64, v68
	ds_read_b32 v66, v69
	v_add_u32_e32 v65, v65, v4
	v_cmp_le_i32_e64 s[14:15], v5, v65
	v_cmp_gt_i32_e64 s[12:13], v6, v63
                                        ; implicit-def: $vgpr67
	s_waitcnt lgkmcnt(0)
	v_cmp_lt_i32_e64 s[16:17], v66, v64
	s_or_b64 s[14:15], s[14:15], s[16:17]
	s_and_b64 s[12:13], s[12:13], s[14:15]
	s_xor_b64 s[14:15], s[12:13], -1
	s_and_saveexec_b64 s[16:17], s[14:15]
	s_xor_b64 s[14:15], exec, s[16:17]
; %bb.39:                               ;   in Loop: Header=BB19_2 Depth=1
	ds_read_b32 v67, v68 offset:4
                                        ; implicit-def: $vgpr69
; %bb.40:                               ;   in Loop: Header=BB19_2 Depth=1
	s_or_saveexec_b64 s[14:15], s[14:15]
	v_mov_b32_e32 v68, v66
	s_xor_b64 exec, exec, s[14:15]
	s_cbranch_execz .LBB19_42
; %bb.41:                               ;   in Loop: Header=BB19_2 Depth=1
	ds_read_b32 v68, v69 offset:4
	s_waitcnt lgkmcnt(1)
	v_mov_b32_e32 v67, v64
.LBB19_42:                              ;   in Loop: Header=BB19_2 Depth=1
	s_or_b64 exec, exec, s[14:15]
	v_add_u32_e32 v70, 1, v65
	v_add_u32_e32 v69, 1, v63
	v_cndmask_b32_e64 v70, v70, v65, s[12:13]
	v_cndmask_b32_e64 v69, v63, v69, s[12:13]
	v_cmp_ge_i32_e64 s[16:17], v70, v5
	s_waitcnt lgkmcnt(0)
	v_cmp_lt_i32_e64 s[18:19], v68, v67
	v_cmp_lt_i32_e64 s[14:15], v69, v6
	s_or_b64 s[16:17], s[16:17], s[18:19]
	s_and_b64 s[14:15], s[14:15], s[16:17]
	s_xor_b64 s[16:17], s[14:15], -1
                                        ; implicit-def: $vgpr71
	s_and_saveexec_b64 s[18:19], s[16:17]
	s_xor_b64 s[16:17], exec, s[18:19]
; %bb.43:                               ;   in Loop: Header=BB19_2 Depth=1
	v_lshlrev_b32_e32 v71, 2, v70
	ds_read_b32 v71, v71 offset:4
; %bb.44:                               ;   in Loop: Header=BB19_2 Depth=1
	s_or_saveexec_b64 s[16:17], s[16:17]
	v_mov_b32_e32 v72, v68
	s_xor_b64 exec, exec, s[16:17]
	s_cbranch_execz .LBB19_46
; %bb.45:                               ;   in Loop: Header=BB19_2 Depth=1
	s_waitcnt lgkmcnt(0)
	v_lshlrev_b32_e32 v71, 2, v69
	ds_read_b32 v72, v71 offset:4
	v_mov_b32_e32 v71, v67
.LBB19_46:                              ;   in Loop: Header=BB19_2 Depth=1
	s_or_b64 exec, exec, s[16:17]
	v_add_u32_e32 v74, 1, v70
	v_add_u32_e32 v73, 1, v69
	v_cndmask_b32_e64 v74, v74, v70, s[14:15]
	v_cndmask_b32_e64 v73, v69, v73, s[14:15]
	v_cmp_ge_i32_e64 s[18:19], v74, v5
	s_waitcnt lgkmcnt(0)
	v_cmp_lt_i32_e64 s[20:21], v72, v71
	v_cmp_lt_i32_e64 s[16:17], v73, v6
	s_or_b64 s[18:19], s[18:19], s[20:21]
	s_and_b64 s[16:17], s[16:17], s[18:19]
	s_xor_b64 s[18:19], s[16:17], -1
                                        ; implicit-def: $vgpr75
	s_and_saveexec_b64 s[20:21], s[18:19]
	s_xor_b64 s[18:19], exec, s[20:21]
; %bb.47:                               ;   in Loop: Header=BB19_2 Depth=1
	v_lshlrev_b32_e32 v75, 2, v74
	ds_read_b32 v75, v75 offset:4
; %bb.48:                               ;   in Loop: Header=BB19_2 Depth=1
	s_or_saveexec_b64 s[18:19], s[18:19]
	v_mov_b32_e32 v76, v72
	s_xor_b64 exec, exec, s[18:19]
	s_cbranch_execz .LBB19_50
; %bb.49:                               ;   in Loop: Header=BB19_2 Depth=1
	s_waitcnt lgkmcnt(0)
	v_lshlrev_b32_e32 v75, 2, v73
	ds_read_b32 v76, v75 offset:4
	v_mov_b32_e32 v75, v71
.LBB19_50:                              ;   in Loop: Header=BB19_2 Depth=1
	s_or_b64 exec, exec, s[18:19]
	v_add_u32_e32 v78, 1, v74
	v_add_u32_e32 v77, 1, v73
	v_cndmask_b32_e64 v78, v78, v74, s[16:17]
	v_cndmask_b32_e64 v77, v73, v77, s[16:17]
	v_cmp_ge_i32_e64 s[20:21], v78, v5
	s_waitcnt lgkmcnt(0)
	v_cmp_lt_i32_e64 s[22:23], v76, v75
	v_cmp_lt_i32_e64 s[18:19], v77, v6
	s_or_b64 s[20:21], s[20:21], s[22:23]
	s_and_b64 s[18:19], s[18:19], s[20:21]
	s_xor_b64 s[20:21], s[18:19], -1
                                        ; implicit-def: $vgpr79
	s_and_saveexec_b64 s[22:23], s[20:21]
	s_xor_b64 s[20:21], exec, s[22:23]
; %bb.51:                               ;   in Loop: Header=BB19_2 Depth=1
	v_lshlrev_b32_e32 v79, 2, v78
	ds_read_b32 v79, v79 offset:4
; %bb.52:                               ;   in Loop: Header=BB19_2 Depth=1
	s_or_saveexec_b64 s[20:21], s[20:21]
	v_mov_b32_e32 v80, v76
	s_xor_b64 exec, exec, s[20:21]
	s_cbranch_execz .LBB19_54
; %bb.53:                               ;   in Loop: Header=BB19_2 Depth=1
	s_waitcnt lgkmcnt(0)
	v_lshlrev_b32_e32 v79, 2, v77
	ds_read_b32 v80, v79 offset:4
	v_mov_b32_e32 v79, v75
.LBB19_54:                              ;   in Loop: Header=BB19_2 Depth=1
	s_or_b64 exec, exec, s[20:21]
	v_add_u32_e32 v82, 1, v78
	v_add_u32_e32 v81, 1, v77
	v_cndmask_b32_e64 v82, v82, v78, s[18:19]
	v_cndmask_b32_e64 v81, v77, v81, s[18:19]
	v_cmp_ge_i32_e64 s[22:23], v82, v5
	s_waitcnt lgkmcnt(0)
	v_cmp_lt_i32_e64 s[24:25], v80, v79
	v_cmp_lt_i32_e64 s[20:21], v81, v6
	s_or_b64 s[22:23], s[22:23], s[24:25]
	s_and_b64 s[20:21], s[20:21], s[22:23]
	s_xor_b64 s[22:23], s[20:21], -1
                                        ; implicit-def: $vgpr83
	s_and_saveexec_b64 s[24:25], s[22:23]
	s_xor_b64 s[22:23], exec, s[24:25]
; %bb.55:                               ;   in Loop: Header=BB19_2 Depth=1
	v_lshlrev_b32_e32 v83, 2, v82
	ds_read_b32 v83, v83 offset:4
; %bb.56:                               ;   in Loop: Header=BB19_2 Depth=1
	s_or_saveexec_b64 s[22:23], s[22:23]
	v_mov_b32_e32 v84, v80
	s_xor_b64 exec, exec, s[22:23]
	s_cbranch_execz .LBB19_58
; %bb.57:                               ;   in Loop: Header=BB19_2 Depth=1
	s_waitcnt lgkmcnt(0)
	v_lshlrev_b32_e32 v83, 2, v81
	ds_read_b32 v84, v83 offset:4
	v_mov_b32_e32 v83, v79
.LBB19_58:                              ;   in Loop: Header=BB19_2 Depth=1
	s_or_b64 exec, exec, s[22:23]
	v_add_u32_e32 v86, 1, v82
	v_add_u32_e32 v85, 1, v81
	v_cndmask_b32_e64 v86, v86, v82, s[20:21]
	v_cndmask_b32_e64 v85, v81, v85, s[20:21]
	v_cmp_ge_i32_e64 s[24:25], v86, v5
	s_waitcnt lgkmcnt(0)
	v_cmp_lt_i32_e64 s[26:27], v84, v83
	v_cmp_lt_i32_e64 s[22:23], v85, v6
	s_or_b64 s[24:25], s[24:25], s[26:27]
	s_and_b64 s[22:23], s[22:23], s[24:25]
	s_xor_b64 s[24:25], s[22:23], -1
                                        ; implicit-def: $vgpr87
	s_and_saveexec_b64 s[26:27], s[24:25]
	s_xor_b64 s[24:25], exec, s[26:27]
; %bb.59:                               ;   in Loop: Header=BB19_2 Depth=1
	v_lshlrev_b32_e32 v87, 2, v86
	ds_read_b32 v87, v87 offset:4
; %bb.60:                               ;   in Loop: Header=BB19_2 Depth=1
	s_or_saveexec_b64 s[24:25], s[24:25]
	v_mov_b32_e32 v88, v84
	s_xor_b64 exec, exec, s[24:25]
	s_cbranch_execz .LBB19_62
; %bb.61:                               ;   in Loop: Header=BB19_2 Depth=1
	s_waitcnt lgkmcnt(0)
	v_lshlrev_b32_e32 v87, 2, v85
	ds_read_b32 v88, v87 offset:4
	v_mov_b32_e32 v87, v83
.LBB19_62:                              ;   in Loop: Header=BB19_2 Depth=1
	s_or_b64 exec, exec, s[24:25]
	v_add_u32_e32 v91, 1, v86
	v_add_u32_e32 v89, 1, v85
	v_cndmask_b32_e64 v91, v91, v86, s[22:23]
	v_cndmask_b32_e64 v90, v85, v89, s[22:23]
	v_cmp_ge_i32_e64 s[26:27], v91, v5
	s_waitcnt lgkmcnt(0)
	v_cmp_lt_i32_e64 s[28:29], v88, v87
	v_cmp_lt_i32_e64 s[24:25], v90, v6
	s_or_b64 s[26:27], s[26:27], s[28:29]
	s_and_b64 s[24:25], s[24:25], s[26:27]
	s_xor_b64 s[26:27], s[24:25], -1
                                        ; implicit-def: $vgpr89
	s_and_saveexec_b64 s[28:29], s[26:27]
	s_xor_b64 s[26:27], exec, s[28:29]
; %bb.63:                               ;   in Loop: Header=BB19_2 Depth=1
	v_lshlrev_b32_e32 v89, 2, v91
	ds_read_b32 v89, v89 offset:4
; %bb.64:                               ;   in Loop: Header=BB19_2 Depth=1
	s_or_saveexec_b64 s[26:27], s[26:27]
	v_mov_b32_e32 v92, v88
	s_xor_b64 exec, exec, s[26:27]
	s_cbranch_execz .LBB19_66
; %bb.65:                               ;   in Loop: Header=BB19_2 Depth=1
	s_waitcnt lgkmcnt(0)
	v_lshlrev_b32_e32 v89, 2, v90
	ds_read_b32 v92, v89 offset:4
	v_mov_b32_e32 v89, v87
.LBB19_66:                              ;   in Loop: Header=BB19_2 Depth=1
	s_or_b64 exec, exec, s[26:27]
	v_add_u32_e32 v93, 1, v91
	v_cndmask_b32_e64 v87, v87, v88, s[24:25]
	v_add_u32_e32 v88, 1, v90
	v_cndmask_b32_e64 v93, v93, v91, s[24:25]
	v_cndmask_b32_e64 v88, v90, v88, s[24:25]
	;; [unrolled: 1-line block ×6, first 2 shown]
	v_cmp_ge_i32_e64 s[14:15], v93, v5
	s_waitcnt lgkmcnt(0)
	v_cmp_lt_i32_e64 s[16:17], v92, v89
	v_cndmask_b32_e64 v64, v64, v66, s[12:13]
	v_cndmask_b32_e64 v63, v65, v63, s[12:13]
	v_cmp_lt_i32_e64 s[12:13], v88, v6
	s_or_b64 s[14:15], s[14:15], s[16:17]
	s_and_b64 s[12:13], s[12:13], s[14:15]
	v_cndmask_b32_e64 v90, v91, v90, s[24:25]
	v_cndmask_b32_e64 v83, v83, v84, s[22:23]
	;; [unrolled: 1-line block ×8, first 2 shown]
	s_barrier
	ds_write2_b32 v47, v55, v56 offset1:1
	ds_write2_b32 v47, v57, v58 offset0:2 offset1:3
	ds_write2_b32 v47, v59, v60 offset0:4 offset1:5
	;; [unrolled: 1-line block ×3, first 2 shown]
	v_lshlrev_b32_e32 v55, 2, v63
	v_lshlrev_b32_e32 v56, 2, v68
	v_lshlrev_b32_e32 v57, 2, v72
	v_lshlrev_b32_e32 v58, 2, v76
	v_lshlrev_b32_e32 v59, 2, v80
	v_lshlrev_b32_e32 v60, 2, v84
	v_lshlrev_b32_e32 v61, 2, v90
	v_lshlrev_b32_e32 v62, 2, v66
	s_waitcnt lgkmcnt(0)
	s_barrier
	ds_read_b32 v55, v55
	ds_read_b32 v56, v56
	;; [unrolled: 1-line block ×8, first 2 shown]
	v_cndmask_b32_e64 v65, v89, v92, s[12:13]
	s_waitcnt lgkmcnt(0)
	s_barrier
	ds_write2_b32 v47, v64, v67 offset1:1
	ds_write2_b32 v47, v71, v75 offset0:2 offset1:3
	ds_write2_b32 v47, v79, v83 offset0:4 offset1:5
	;; [unrolled: 1-line block ×3, first 2 shown]
	v_mov_b32_e32 v65, v23
	s_waitcnt lgkmcnt(0)
	s_barrier
	s_and_saveexec_b64 s[14:15], s[2:3]
	s_cbranch_execz .LBB19_70
; %bb.67:                               ;   in Loop: Header=BB19_2 Depth=1
	s_mov_b64 s[16:17], 0
	v_mov_b32_e32 v65, v23
	v_mov_b32_e32 v63, v24
.LBB19_68:                              ;   Parent Loop BB19_2 Depth=1
                                        ; =>  This Inner Loop Header: Depth=2
	v_sub_u32_e32 v64, v63, v65
	v_lshrrev_b32_e32 v64, 1, v64
	v_add_u32_e32 v64, v64, v65
	v_not_b32_e32 v67, v64
	v_lshl_add_u32 v66, v64, 2, v50
	v_lshl_add_u32 v67, v67, 2, v40
	ds_read_b32 v66, v66
	ds_read_b32 v67, v67
	v_add_u32_e32 v68, 1, v64
	s_waitcnt lgkmcnt(0)
	v_cmp_lt_i32_e64 s[12:13], v67, v66
	v_cndmask_b32_e64 v63, v63, v64, s[12:13]
	v_cndmask_b32_e64 v65, v68, v65, s[12:13]
	v_cmp_ge_i32_e64 s[12:13], v65, v63
	s_or_b64 s[16:17], s[12:13], s[16:17]
	s_andn2_b64 exec, exec, s[16:17]
	s_cbranch_execnz .LBB19_68
; %bb.69:                               ;   in Loop: Header=BB19_2 Depth=1
	s_or_b64 exec, exec, s[16:17]
.LBB19_70:                              ;   in Loop: Header=BB19_2 Depth=1
	s_or_b64 exec, exec, s[14:15]
	v_sub_u32_e32 v63, v39, v65
	v_lshl_add_u32 v68, v65, 2, v50
	v_lshlrev_b32_e32 v69, 2, v63
	ds_read_b32 v64, v68
	ds_read_b32 v66, v69
	v_add_u32_e32 v65, v65, v7
	v_cmp_le_i32_e64 s[14:15], v8, v65
	v_cmp_gt_i32_e64 s[12:13], v9, v63
                                        ; implicit-def: $vgpr67
	s_waitcnt lgkmcnt(0)
	v_cmp_lt_i32_e64 s[16:17], v66, v64
	s_or_b64 s[14:15], s[14:15], s[16:17]
	s_and_b64 s[12:13], s[12:13], s[14:15]
	s_xor_b64 s[14:15], s[12:13], -1
	s_and_saveexec_b64 s[16:17], s[14:15]
	s_xor_b64 s[14:15], exec, s[16:17]
; %bb.71:                               ;   in Loop: Header=BB19_2 Depth=1
	ds_read_b32 v67, v68 offset:4
                                        ; implicit-def: $vgpr69
; %bb.72:                               ;   in Loop: Header=BB19_2 Depth=1
	s_or_saveexec_b64 s[14:15], s[14:15]
	v_mov_b32_e32 v68, v66
	s_xor_b64 exec, exec, s[14:15]
	s_cbranch_execz .LBB19_74
; %bb.73:                               ;   in Loop: Header=BB19_2 Depth=1
	ds_read_b32 v68, v69 offset:4
	s_waitcnt lgkmcnt(1)
	v_mov_b32_e32 v67, v64
.LBB19_74:                              ;   in Loop: Header=BB19_2 Depth=1
	s_or_b64 exec, exec, s[14:15]
	v_add_u32_e32 v70, 1, v65
	v_add_u32_e32 v69, 1, v63
	v_cndmask_b32_e64 v70, v70, v65, s[12:13]
	v_cndmask_b32_e64 v69, v63, v69, s[12:13]
	v_cmp_ge_i32_e64 s[16:17], v70, v8
	s_waitcnt lgkmcnt(0)
	v_cmp_lt_i32_e64 s[18:19], v68, v67
	v_cmp_lt_i32_e64 s[14:15], v69, v9
	s_or_b64 s[16:17], s[16:17], s[18:19]
	s_and_b64 s[14:15], s[14:15], s[16:17]
	s_xor_b64 s[16:17], s[14:15], -1
                                        ; implicit-def: $vgpr71
	s_and_saveexec_b64 s[18:19], s[16:17]
	s_xor_b64 s[16:17], exec, s[18:19]
; %bb.75:                               ;   in Loop: Header=BB19_2 Depth=1
	v_lshlrev_b32_e32 v71, 2, v70
	ds_read_b32 v71, v71 offset:4
; %bb.76:                               ;   in Loop: Header=BB19_2 Depth=1
	s_or_saveexec_b64 s[16:17], s[16:17]
	v_mov_b32_e32 v72, v68
	s_xor_b64 exec, exec, s[16:17]
	s_cbranch_execz .LBB19_78
; %bb.77:                               ;   in Loop: Header=BB19_2 Depth=1
	s_waitcnt lgkmcnt(0)
	v_lshlrev_b32_e32 v71, 2, v69
	ds_read_b32 v72, v71 offset:4
	v_mov_b32_e32 v71, v67
.LBB19_78:                              ;   in Loop: Header=BB19_2 Depth=1
	s_or_b64 exec, exec, s[16:17]
	v_add_u32_e32 v74, 1, v70
	v_add_u32_e32 v73, 1, v69
	v_cndmask_b32_e64 v74, v74, v70, s[14:15]
	v_cndmask_b32_e64 v73, v69, v73, s[14:15]
	v_cmp_ge_i32_e64 s[18:19], v74, v8
	s_waitcnt lgkmcnt(0)
	v_cmp_lt_i32_e64 s[20:21], v72, v71
	v_cmp_lt_i32_e64 s[16:17], v73, v9
	s_or_b64 s[18:19], s[18:19], s[20:21]
	s_and_b64 s[16:17], s[16:17], s[18:19]
	s_xor_b64 s[18:19], s[16:17], -1
                                        ; implicit-def: $vgpr75
	s_and_saveexec_b64 s[20:21], s[18:19]
	s_xor_b64 s[18:19], exec, s[20:21]
; %bb.79:                               ;   in Loop: Header=BB19_2 Depth=1
	v_lshlrev_b32_e32 v75, 2, v74
	ds_read_b32 v75, v75 offset:4
; %bb.80:                               ;   in Loop: Header=BB19_2 Depth=1
	s_or_saveexec_b64 s[18:19], s[18:19]
	v_mov_b32_e32 v76, v72
	s_xor_b64 exec, exec, s[18:19]
	s_cbranch_execz .LBB19_82
; %bb.81:                               ;   in Loop: Header=BB19_2 Depth=1
	s_waitcnt lgkmcnt(0)
	v_lshlrev_b32_e32 v75, 2, v73
	ds_read_b32 v76, v75 offset:4
	v_mov_b32_e32 v75, v71
.LBB19_82:                              ;   in Loop: Header=BB19_2 Depth=1
	s_or_b64 exec, exec, s[18:19]
	v_add_u32_e32 v78, 1, v74
	v_add_u32_e32 v77, 1, v73
	v_cndmask_b32_e64 v78, v78, v74, s[16:17]
	v_cndmask_b32_e64 v77, v73, v77, s[16:17]
	v_cmp_ge_i32_e64 s[20:21], v78, v8
	s_waitcnt lgkmcnt(0)
	v_cmp_lt_i32_e64 s[22:23], v76, v75
	v_cmp_lt_i32_e64 s[18:19], v77, v9
	s_or_b64 s[20:21], s[20:21], s[22:23]
	s_and_b64 s[18:19], s[18:19], s[20:21]
	s_xor_b64 s[20:21], s[18:19], -1
                                        ; implicit-def: $vgpr79
	s_and_saveexec_b64 s[22:23], s[20:21]
	s_xor_b64 s[20:21], exec, s[22:23]
; %bb.83:                               ;   in Loop: Header=BB19_2 Depth=1
	v_lshlrev_b32_e32 v79, 2, v78
	ds_read_b32 v79, v79 offset:4
; %bb.84:                               ;   in Loop: Header=BB19_2 Depth=1
	s_or_saveexec_b64 s[20:21], s[20:21]
	v_mov_b32_e32 v80, v76
	s_xor_b64 exec, exec, s[20:21]
	s_cbranch_execz .LBB19_86
; %bb.85:                               ;   in Loop: Header=BB19_2 Depth=1
	s_waitcnt lgkmcnt(0)
	v_lshlrev_b32_e32 v79, 2, v77
	ds_read_b32 v80, v79 offset:4
	v_mov_b32_e32 v79, v75
.LBB19_86:                              ;   in Loop: Header=BB19_2 Depth=1
	s_or_b64 exec, exec, s[20:21]
	v_add_u32_e32 v82, 1, v78
	v_add_u32_e32 v81, 1, v77
	v_cndmask_b32_e64 v82, v82, v78, s[18:19]
	v_cndmask_b32_e64 v81, v77, v81, s[18:19]
	v_cmp_ge_i32_e64 s[22:23], v82, v8
	s_waitcnt lgkmcnt(0)
	v_cmp_lt_i32_e64 s[24:25], v80, v79
	v_cmp_lt_i32_e64 s[20:21], v81, v9
	s_or_b64 s[22:23], s[22:23], s[24:25]
	s_and_b64 s[20:21], s[20:21], s[22:23]
	s_xor_b64 s[22:23], s[20:21], -1
                                        ; implicit-def: $vgpr83
	s_and_saveexec_b64 s[24:25], s[22:23]
	s_xor_b64 s[22:23], exec, s[24:25]
; %bb.87:                               ;   in Loop: Header=BB19_2 Depth=1
	v_lshlrev_b32_e32 v83, 2, v82
	ds_read_b32 v83, v83 offset:4
; %bb.88:                               ;   in Loop: Header=BB19_2 Depth=1
	s_or_saveexec_b64 s[22:23], s[22:23]
	v_mov_b32_e32 v84, v80
	s_xor_b64 exec, exec, s[22:23]
	s_cbranch_execz .LBB19_90
; %bb.89:                               ;   in Loop: Header=BB19_2 Depth=1
	s_waitcnt lgkmcnt(0)
	v_lshlrev_b32_e32 v83, 2, v81
	ds_read_b32 v84, v83 offset:4
	v_mov_b32_e32 v83, v79
.LBB19_90:                              ;   in Loop: Header=BB19_2 Depth=1
	s_or_b64 exec, exec, s[22:23]
	v_add_u32_e32 v86, 1, v82
	v_add_u32_e32 v85, 1, v81
	v_cndmask_b32_e64 v86, v86, v82, s[20:21]
	v_cndmask_b32_e64 v85, v81, v85, s[20:21]
	v_cmp_ge_i32_e64 s[24:25], v86, v8
	s_waitcnt lgkmcnt(0)
	v_cmp_lt_i32_e64 s[26:27], v84, v83
	v_cmp_lt_i32_e64 s[22:23], v85, v9
	s_or_b64 s[24:25], s[24:25], s[26:27]
	s_and_b64 s[22:23], s[22:23], s[24:25]
	s_xor_b64 s[24:25], s[22:23], -1
                                        ; implicit-def: $vgpr87
	s_and_saveexec_b64 s[26:27], s[24:25]
	s_xor_b64 s[24:25], exec, s[26:27]
; %bb.91:                               ;   in Loop: Header=BB19_2 Depth=1
	v_lshlrev_b32_e32 v87, 2, v86
	ds_read_b32 v87, v87 offset:4
; %bb.92:                               ;   in Loop: Header=BB19_2 Depth=1
	s_or_saveexec_b64 s[24:25], s[24:25]
	v_mov_b32_e32 v88, v84
	s_xor_b64 exec, exec, s[24:25]
	s_cbranch_execz .LBB19_94
; %bb.93:                               ;   in Loop: Header=BB19_2 Depth=1
	s_waitcnt lgkmcnt(0)
	v_lshlrev_b32_e32 v87, 2, v85
	ds_read_b32 v88, v87 offset:4
	v_mov_b32_e32 v87, v83
.LBB19_94:                              ;   in Loop: Header=BB19_2 Depth=1
	s_or_b64 exec, exec, s[24:25]
	v_add_u32_e32 v91, 1, v86
	v_add_u32_e32 v89, 1, v85
	v_cndmask_b32_e64 v91, v91, v86, s[22:23]
	v_cndmask_b32_e64 v90, v85, v89, s[22:23]
	v_cmp_ge_i32_e64 s[26:27], v91, v8
	s_waitcnt lgkmcnt(0)
	v_cmp_lt_i32_e64 s[28:29], v88, v87
	v_cmp_lt_i32_e64 s[24:25], v90, v9
	s_or_b64 s[26:27], s[26:27], s[28:29]
	s_and_b64 s[24:25], s[24:25], s[26:27]
	s_xor_b64 s[26:27], s[24:25], -1
                                        ; implicit-def: $vgpr89
	s_and_saveexec_b64 s[28:29], s[26:27]
	s_xor_b64 s[26:27], exec, s[28:29]
; %bb.95:                               ;   in Loop: Header=BB19_2 Depth=1
	v_lshlrev_b32_e32 v89, 2, v91
	ds_read_b32 v89, v89 offset:4
; %bb.96:                               ;   in Loop: Header=BB19_2 Depth=1
	s_or_saveexec_b64 s[26:27], s[26:27]
	v_mov_b32_e32 v92, v88
	s_xor_b64 exec, exec, s[26:27]
	s_cbranch_execz .LBB19_98
; %bb.97:                               ;   in Loop: Header=BB19_2 Depth=1
	s_waitcnt lgkmcnt(0)
	v_lshlrev_b32_e32 v89, 2, v90
	ds_read_b32 v92, v89 offset:4
	v_mov_b32_e32 v89, v87
.LBB19_98:                              ;   in Loop: Header=BB19_2 Depth=1
	s_or_b64 exec, exec, s[26:27]
	v_add_u32_e32 v93, 1, v91
	v_cndmask_b32_e64 v87, v87, v88, s[24:25]
	v_add_u32_e32 v88, 1, v90
	v_cndmask_b32_e64 v93, v93, v91, s[24:25]
	v_cndmask_b32_e64 v88, v90, v88, s[24:25]
	;; [unrolled: 1-line block ×6, first 2 shown]
	v_cmp_ge_i32_e64 s[14:15], v93, v8
	s_waitcnt lgkmcnt(0)
	v_cmp_lt_i32_e64 s[16:17], v92, v89
	v_cndmask_b32_e64 v64, v64, v66, s[12:13]
	v_cndmask_b32_e64 v63, v65, v63, s[12:13]
	v_cmp_lt_i32_e64 s[12:13], v88, v9
	s_or_b64 s[14:15], s[14:15], s[16:17]
	s_and_b64 s[12:13], s[12:13], s[14:15]
	v_cndmask_b32_e64 v90, v91, v90, s[24:25]
	v_cndmask_b32_e64 v83, v83, v84, s[22:23]
	;; [unrolled: 1-line block ×8, first 2 shown]
	s_barrier
	ds_write2_b32 v47, v55, v56 offset1:1
	ds_write2_b32 v47, v57, v58 offset0:2 offset1:3
	ds_write2_b32 v47, v59, v60 offset0:4 offset1:5
	;; [unrolled: 1-line block ×3, first 2 shown]
	v_lshlrev_b32_e32 v55, 2, v63
	v_lshlrev_b32_e32 v56, 2, v68
	;; [unrolled: 1-line block ×8, first 2 shown]
	s_waitcnt lgkmcnt(0)
	s_barrier
	ds_read_b32 v55, v55
	ds_read_b32 v56, v56
	;; [unrolled: 1-line block ×8, first 2 shown]
	v_cndmask_b32_e64 v65, v89, v92, s[12:13]
	s_waitcnt lgkmcnt(0)
	s_barrier
	ds_write2_b32 v47, v64, v67 offset1:1
	ds_write2_b32 v47, v71, v75 offset0:2 offset1:3
	ds_write2_b32 v47, v79, v83 offset0:4 offset1:5
	;; [unrolled: 1-line block ×3, first 2 shown]
	v_mov_b32_e32 v65, v25
	s_waitcnt lgkmcnt(0)
	s_barrier
	s_and_saveexec_b64 s[14:15], s[4:5]
	s_cbranch_execz .LBB19_102
; %bb.99:                               ;   in Loop: Header=BB19_2 Depth=1
	s_mov_b64 s[16:17], 0
	v_mov_b32_e32 v65, v25
	v_mov_b32_e32 v63, v26
.LBB19_100:                             ;   Parent Loop BB19_2 Depth=1
                                        ; =>  This Inner Loop Header: Depth=2
	v_sub_u32_e32 v64, v63, v65
	v_lshrrev_b32_e32 v64, 1, v64
	v_add_u32_e32 v64, v64, v65
	v_not_b32_e32 v67, v64
	v_lshl_add_u32 v66, v64, 2, v51
	v_lshl_add_u32 v67, v67, 2, v42
	ds_read_b32 v66, v66
	ds_read_b32 v67, v67
	v_add_u32_e32 v68, 1, v64
	s_waitcnt lgkmcnt(0)
	v_cmp_lt_i32_e64 s[12:13], v67, v66
	v_cndmask_b32_e64 v63, v63, v64, s[12:13]
	v_cndmask_b32_e64 v65, v68, v65, s[12:13]
	v_cmp_ge_i32_e64 s[12:13], v65, v63
	s_or_b64 s[16:17], s[12:13], s[16:17]
	s_andn2_b64 exec, exec, s[16:17]
	s_cbranch_execnz .LBB19_100
; %bb.101:                              ;   in Loop: Header=BB19_2 Depth=1
	s_or_b64 exec, exec, s[16:17]
.LBB19_102:                             ;   in Loop: Header=BB19_2 Depth=1
	s_or_b64 exec, exec, s[14:15]
	v_sub_u32_e32 v63, v41, v65
	v_lshl_add_u32 v68, v65, 2, v51
	v_lshlrev_b32_e32 v69, 2, v63
	ds_read_b32 v64, v68
	ds_read_b32 v66, v69
	v_add_u32_e32 v65, v65, v10
	v_cmp_le_i32_e64 s[14:15], v11, v65
	v_cmp_gt_i32_e64 s[12:13], v12, v63
                                        ; implicit-def: $vgpr67
	s_waitcnt lgkmcnt(0)
	v_cmp_lt_i32_e64 s[16:17], v66, v64
	s_or_b64 s[14:15], s[14:15], s[16:17]
	s_and_b64 s[12:13], s[12:13], s[14:15]
	s_xor_b64 s[14:15], s[12:13], -1
	s_and_saveexec_b64 s[16:17], s[14:15]
	s_xor_b64 s[14:15], exec, s[16:17]
; %bb.103:                              ;   in Loop: Header=BB19_2 Depth=1
	ds_read_b32 v67, v68 offset:4
                                        ; implicit-def: $vgpr69
; %bb.104:                              ;   in Loop: Header=BB19_2 Depth=1
	s_or_saveexec_b64 s[14:15], s[14:15]
	v_mov_b32_e32 v68, v66
	s_xor_b64 exec, exec, s[14:15]
	s_cbranch_execz .LBB19_106
; %bb.105:                              ;   in Loop: Header=BB19_2 Depth=1
	ds_read_b32 v68, v69 offset:4
	s_waitcnt lgkmcnt(1)
	v_mov_b32_e32 v67, v64
.LBB19_106:                             ;   in Loop: Header=BB19_2 Depth=1
	s_or_b64 exec, exec, s[14:15]
	v_add_u32_e32 v70, 1, v65
	v_add_u32_e32 v69, 1, v63
	v_cndmask_b32_e64 v70, v70, v65, s[12:13]
	v_cndmask_b32_e64 v69, v63, v69, s[12:13]
	v_cmp_ge_i32_e64 s[16:17], v70, v11
	s_waitcnt lgkmcnt(0)
	v_cmp_lt_i32_e64 s[18:19], v68, v67
	v_cmp_lt_i32_e64 s[14:15], v69, v12
	s_or_b64 s[16:17], s[16:17], s[18:19]
	s_and_b64 s[14:15], s[14:15], s[16:17]
	s_xor_b64 s[16:17], s[14:15], -1
                                        ; implicit-def: $vgpr71
	s_and_saveexec_b64 s[18:19], s[16:17]
	s_xor_b64 s[16:17], exec, s[18:19]
; %bb.107:                              ;   in Loop: Header=BB19_2 Depth=1
	v_lshlrev_b32_e32 v71, 2, v70
	ds_read_b32 v71, v71 offset:4
; %bb.108:                              ;   in Loop: Header=BB19_2 Depth=1
	s_or_saveexec_b64 s[16:17], s[16:17]
	v_mov_b32_e32 v72, v68
	s_xor_b64 exec, exec, s[16:17]
	s_cbranch_execz .LBB19_110
; %bb.109:                              ;   in Loop: Header=BB19_2 Depth=1
	s_waitcnt lgkmcnt(0)
	v_lshlrev_b32_e32 v71, 2, v69
	ds_read_b32 v72, v71 offset:4
	v_mov_b32_e32 v71, v67
.LBB19_110:                             ;   in Loop: Header=BB19_2 Depth=1
	s_or_b64 exec, exec, s[16:17]
	v_add_u32_e32 v74, 1, v70
	v_add_u32_e32 v73, 1, v69
	v_cndmask_b32_e64 v74, v74, v70, s[14:15]
	v_cndmask_b32_e64 v73, v69, v73, s[14:15]
	v_cmp_ge_i32_e64 s[18:19], v74, v11
	s_waitcnt lgkmcnt(0)
	v_cmp_lt_i32_e64 s[20:21], v72, v71
	v_cmp_lt_i32_e64 s[16:17], v73, v12
	s_or_b64 s[18:19], s[18:19], s[20:21]
	s_and_b64 s[16:17], s[16:17], s[18:19]
	s_xor_b64 s[18:19], s[16:17], -1
                                        ; implicit-def: $vgpr75
	s_and_saveexec_b64 s[20:21], s[18:19]
	s_xor_b64 s[18:19], exec, s[20:21]
; %bb.111:                              ;   in Loop: Header=BB19_2 Depth=1
	v_lshlrev_b32_e32 v75, 2, v74
	ds_read_b32 v75, v75 offset:4
; %bb.112:                              ;   in Loop: Header=BB19_2 Depth=1
	s_or_saveexec_b64 s[18:19], s[18:19]
	v_mov_b32_e32 v76, v72
	s_xor_b64 exec, exec, s[18:19]
	s_cbranch_execz .LBB19_114
; %bb.113:                              ;   in Loop: Header=BB19_2 Depth=1
	s_waitcnt lgkmcnt(0)
	v_lshlrev_b32_e32 v75, 2, v73
	ds_read_b32 v76, v75 offset:4
	v_mov_b32_e32 v75, v71
.LBB19_114:                             ;   in Loop: Header=BB19_2 Depth=1
	s_or_b64 exec, exec, s[18:19]
	v_add_u32_e32 v78, 1, v74
	v_add_u32_e32 v77, 1, v73
	v_cndmask_b32_e64 v78, v78, v74, s[16:17]
	v_cndmask_b32_e64 v77, v73, v77, s[16:17]
	v_cmp_ge_i32_e64 s[20:21], v78, v11
	s_waitcnt lgkmcnt(0)
	v_cmp_lt_i32_e64 s[22:23], v76, v75
	v_cmp_lt_i32_e64 s[18:19], v77, v12
	s_or_b64 s[20:21], s[20:21], s[22:23]
	s_and_b64 s[18:19], s[18:19], s[20:21]
	s_xor_b64 s[20:21], s[18:19], -1
                                        ; implicit-def: $vgpr79
	s_and_saveexec_b64 s[22:23], s[20:21]
	s_xor_b64 s[20:21], exec, s[22:23]
; %bb.115:                              ;   in Loop: Header=BB19_2 Depth=1
	v_lshlrev_b32_e32 v79, 2, v78
	ds_read_b32 v79, v79 offset:4
; %bb.116:                              ;   in Loop: Header=BB19_2 Depth=1
	s_or_saveexec_b64 s[20:21], s[20:21]
	v_mov_b32_e32 v80, v76
	s_xor_b64 exec, exec, s[20:21]
	s_cbranch_execz .LBB19_118
; %bb.117:                              ;   in Loop: Header=BB19_2 Depth=1
	s_waitcnt lgkmcnt(0)
	v_lshlrev_b32_e32 v79, 2, v77
	ds_read_b32 v80, v79 offset:4
	v_mov_b32_e32 v79, v75
.LBB19_118:                             ;   in Loop: Header=BB19_2 Depth=1
	s_or_b64 exec, exec, s[20:21]
	v_add_u32_e32 v82, 1, v78
	v_add_u32_e32 v81, 1, v77
	v_cndmask_b32_e64 v82, v82, v78, s[18:19]
	v_cndmask_b32_e64 v81, v77, v81, s[18:19]
	v_cmp_ge_i32_e64 s[22:23], v82, v11
	s_waitcnt lgkmcnt(0)
	v_cmp_lt_i32_e64 s[24:25], v80, v79
	v_cmp_lt_i32_e64 s[20:21], v81, v12
	s_or_b64 s[22:23], s[22:23], s[24:25]
	s_and_b64 s[20:21], s[20:21], s[22:23]
	s_xor_b64 s[22:23], s[20:21], -1
                                        ; implicit-def: $vgpr83
	s_and_saveexec_b64 s[24:25], s[22:23]
	s_xor_b64 s[22:23], exec, s[24:25]
; %bb.119:                              ;   in Loop: Header=BB19_2 Depth=1
	v_lshlrev_b32_e32 v83, 2, v82
	ds_read_b32 v83, v83 offset:4
; %bb.120:                              ;   in Loop: Header=BB19_2 Depth=1
	s_or_saveexec_b64 s[22:23], s[22:23]
	v_mov_b32_e32 v84, v80
	s_xor_b64 exec, exec, s[22:23]
	s_cbranch_execz .LBB19_122
; %bb.121:                              ;   in Loop: Header=BB19_2 Depth=1
	s_waitcnt lgkmcnt(0)
	v_lshlrev_b32_e32 v83, 2, v81
	ds_read_b32 v84, v83 offset:4
	v_mov_b32_e32 v83, v79
.LBB19_122:                             ;   in Loop: Header=BB19_2 Depth=1
	s_or_b64 exec, exec, s[22:23]
	v_add_u32_e32 v86, 1, v82
	v_add_u32_e32 v85, 1, v81
	v_cndmask_b32_e64 v86, v86, v82, s[20:21]
	v_cndmask_b32_e64 v85, v81, v85, s[20:21]
	v_cmp_ge_i32_e64 s[24:25], v86, v11
	s_waitcnt lgkmcnt(0)
	v_cmp_lt_i32_e64 s[26:27], v84, v83
	v_cmp_lt_i32_e64 s[22:23], v85, v12
	s_or_b64 s[24:25], s[24:25], s[26:27]
	s_and_b64 s[22:23], s[22:23], s[24:25]
	s_xor_b64 s[24:25], s[22:23], -1
                                        ; implicit-def: $vgpr87
	s_and_saveexec_b64 s[26:27], s[24:25]
	s_xor_b64 s[24:25], exec, s[26:27]
; %bb.123:                              ;   in Loop: Header=BB19_2 Depth=1
	v_lshlrev_b32_e32 v87, 2, v86
	ds_read_b32 v87, v87 offset:4
; %bb.124:                              ;   in Loop: Header=BB19_2 Depth=1
	s_or_saveexec_b64 s[24:25], s[24:25]
	v_mov_b32_e32 v88, v84
	s_xor_b64 exec, exec, s[24:25]
	s_cbranch_execz .LBB19_126
; %bb.125:                              ;   in Loop: Header=BB19_2 Depth=1
	s_waitcnt lgkmcnt(0)
	v_lshlrev_b32_e32 v87, 2, v85
	ds_read_b32 v88, v87 offset:4
	v_mov_b32_e32 v87, v83
.LBB19_126:                             ;   in Loop: Header=BB19_2 Depth=1
	s_or_b64 exec, exec, s[24:25]
	v_add_u32_e32 v91, 1, v86
	v_add_u32_e32 v89, 1, v85
	v_cndmask_b32_e64 v91, v91, v86, s[22:23]
	v_cndmask_b32_e64 v90, v85, v89, s[22:23]
	v_cmp_ge_i32_e64 s[26:27], v91, v11
	s_waitcnt lgkmcnt(0)
	v_cmp_lt_i32_e64 s[28:29], v88, v87
	v_cmp_lt_i32_e64 s[24:25], v90, v12
	s_or_b64 s[26:27], s[26:27], s[28:29]
	s_and_b64 s[24:25], s[24:25], s[26:27]
	s_xor_b64 s[26:27], s[24:25], -1
                                        ; implicit-def: $vgpr89
	s_and_saveexec_b64 s[28:29], s[26:27]
	s_xor_b64 s[26:27], exec, s[28:29]
; %bb.127:                              ;   in Loop: Header=BB19_2 Depth=1
	v_lshlrev_b32_e32 v89, 2, v91
	ds_read_b32 v89, v89 offset:4
; %bb.128:                              ;   in Loop: Header=BB19_2 Depth=1
	s_or_saveexec_b64 s[26:27], s[26:27]
	v_mov_b32_e32 v92, v88
	s_xor_b64 exec, exec, s[26:27]
	s_cbranch_execz .LBB19_130
; %bb.129:                              ;   in Loop: Header=BB19_2 Depth=1
	s_waitcnt lgkmcnt(0)
	v_lshlrev_b32_e32 v89, 2, v90
	ds_read_b32 v92, v89 offset:4
	v_mov_b32_e32 v89, v87
.LBB19_130:                             ;   in Loop: Header=BB19_2 Depth=1
	s_or_b64 exec, exec, s[26:27]
	v_add_u32_e32 v93, 1, v91
	v_cndmask_b32_e64 v87, v87, v88, s[24:25]
	v_add_u32_e32 v88, 1, v90
	v_cndmask_b32_e64 v93, v93, v91, s[24:25]
	v_cndmask_b32_e64 v88, v90, v88, s[24:25]
	;; [unrolled: 1-line block ×6, first 2 shown]
	v_cmp_ge_i32_e64 s[14:15], v93, v11
	s_waitcnt lgkmcnt(0)
	v_cmp_lt_i32_e64 s[16:17], v92, v89
	v_cndmask_b32_e64 v64, v64, v66, s[12:13]
	v_cndmask_b32_e64 v63, v65, v63, s[12:13]
	v_cmp_lt_i32_e64 s[12:13], v88, v12
	s_or_b64 s[14:15], s[14:15], s[16:17]
	s_and_b64 s[12:13], s[12:13], s[14:15]
	v_cndmask_b32_e64 v90, v91, v90, s[24:25]
	v_cndmask_b32_e64 v83, v83, v84, s[22:23]
	;; [unrolled: 1-line block ×8, first 2 shown]
	s_barrier
	ds_write2_b32 v47, v55, v56 offset1:1
	ds_write2_b32 v47, v57, v58 offset0:2 offset1:3
	ds_write2_b32 v47, v59, v60 offset0:4 offset1:5
	ds_write2_b32 v47, v61, v62 offset0:6 offset1:7
	v_lshlrev_b32_e32 v55, 2, v63
	v_lshlrev_b32_e32 v56, 2, v68
	;; [unrolled: 1-line block ×8, first 2 shown]
	s_waitcnt lgkmcnt(0)
	s_barrier
	ds_read_b32 v55, v55
	ds_read_b32 v56, v56
	;; [unrolled: 1-line block ×8, first 2 shown]
	v_cndmask_b32_e64 v65, v89, v92, s[12:13]
	s_waitcnt lgkmcnt(0)
	s_barrier
	ds_write2_b32 v47, v64, v67 offset1:1
	ds_write2_b32 v47, v71, v75 offset0:2 offset1:3
	ds_write2_b32 v47, v79, v83 offset0:4 offset1:5
	;; [unrolled: 1-line block ×3, first 2 shown]
	v_mov_b32_e32 v65, v27
	s_waitcnt lgkmcnt(0)
	s_barrier
	s_and_saveexec_b64 s[14:15], s[6:7]
	s_cbranch_execz .LBB19_134
; %bb.131:                              ;   in Loop: Header=BB19_2 Depth=1
	s_mov_b64 s[16:17], 0
	v_mov_b32_e32 v65, v27
	v_mov_b32_e32 v63, v28
.LBB19_132:                             ;   Parent Loop BB19_2 Depth=1
                                        ; =>  This Inner Loop Header: Depth=2
	v_sub_u32_e32 v64, v63, v65
	v_lshrrev_b32_e32 v64, 1, v64
	v_add_u32_e32 v64, v64, v65
	v_not_b32_e32 v67, v64
	v_lshl_add_u32 v66, v64, 2, v52
	v_lshl_add_u32 v67, v67, 2, v44
	ds_read_b32 v66, v66
	ds_read_b32 v67, v67
	v_add_u32_e32 v68, 1, v64
	s_waitcnt lgkmcnt(0)
	v_cmp_lt_i32_e64 s[12:13], v67, v66
	v_cndmask_b32_e64 v63, v63, v64, s[12:13]
	v_cndmask_b32_e64 v65, v68, v65, s[12:13]
	v_cmp_ge_i32_e64 s[12:13], v65, v63
	s_or_b64 s[16:17], s[12:13], s[16:17]
	s_andn2_b64 exec, exec, s[16:17]
	s_cbranch_execnz .LBB19_132
; %bb.133:                              ;   in Loop: Header=BB19_2 Depth=1
	s_or_b64 exec, exec, s[16:17]
.LBB19_134:                             ;   in Loop: Header=BB19_2 Depth=1
	s_or_b64 exec, exec, s[14:15]
	v_sub_u32_e32 v63, v43, v65
	v_lshl_add_u32 v68, v65, 2, v52
	v_lshlrev_b32_e32 v69, 2, v63
	ds_read_b32 v64, v68
	ds_read_b32 v66, v69
	v_add_u32_e32 v65, v65, v13
	v_cmp_le_i32_e64 s[14:15], v14, v65
	v_cmp_gt_i32_e64 s[12:13], v15, v63
                                        ; implicit-def: $vgpr67
	s_waitcnt lgkmcnt(0)
	v_cmp_lt_i32_e64 s[16:17], v66, v64
	s_or_b64 s[14:15], s[14:15], s[16:17]
	s_and_b64 s[12:13], s[12:13], s[14:15]
	s_xor_b64 s[14:15], s[12:13], -1
	s_and_saveexec_b64 s[16:17], s[14:15]
	s_xor_b64 s[14:15], exec, s[16:17]
; %bb.135:                              ;   in Loop: Header=BB19_2 Depth=1
	ds_read_b32 v67, v68 offset:4
                                        ; implicit-def: $vgpr69
; %bb.136:                              ;   in Loop: Header=BB19_2 Depth=1
	s_or_saveexec_b64 s[14:15], s[14:15]
	v_mov_b32_e32 v68, v66
	s_xor_b64 exec, exec, s[14:15]
	s_cbranch_execz .LBB19_138
; %bb.137:                              ;   in Loop: Header=BB19_2 Depth=1
	ds_read_b32 v68, v69 offset:4
	s_waitcnt lgkmcnt(1)
	v_mov_b32_e32 v67, v64
.LBB19_138:                             ;   in Loop: Header=BB19_2 Depth=1
	s_or_b64 exec, exec, s[14:15]
	v_add_u32_e32 v70, 1, v65
	v_add_u32_e32 v69, 1, v63
	v_cndmask_b32_e64 v70, v70, v65, s[12:13]
	v_cndmask_b32_e64 v69, v63, v69, s[12:13]
	v_cmp_ge_i32_e64 s[16:17], v70, v14
	s_waitcnt lgkmcnt(0)
	v_cmp_lt_i32_e64 s[18:19], v68, v67
	v_cmp_lt_i32_e64 s[14:15], v69, v15
	s_or_b64 s[16:17], s[16:17], s[18:19]
	s_and_b64 s[14:15], s[14:15], s[16:17]
	s_xor_b64 s[16:17], s[14:15], -1
                                        ; implicit-def: $vgpr71
	s_and_saveexec_b64 s[18:19], s[16:17]
	s_xor_b64 s[16:17], exec, s[18:19]
; %bb.139:                              ;   in Loop: Header=BB19_2 Depth=1
	v_lshlrev_b32_e32 v71, 2, v70
	ds_read_b32 v71, v71 offset:4
; %bb.140:                              ;   in Loop: Header=BB19_2 Depth=1
	s_or_saveexec_b64 s[16:17], s[16:17]
	v_mov_b32_e32 v72, v68
	s_xor_b64 exec, exec, s[16:17]
	s_cbranch_execz .LBB19_142
; %bb.141:                              ;   in Loop: Header=BB19_2 Depth=1
	s_waitcnt lgkmcnt(0)
	v_lshlrev_b32_e32 v71, 2, v69
	ds_read_b32 v72, v71 offset:4
	v_mov_b32_e32 v71, v67
.LBB19_142:                             ;   in Loop: Header=BB19_2 Depth=1
	s_or_b64 exec, exec, s[16:17]
	v_add_u32_e32 v74, 1, v70
	v_add_u32_e32 v73, 1, v69
	v_cndmask_b32_e64 v74, v74, v70, s[14:15]
	v_cndmask_b32_e64 v73, v69, v73, s[14:15]
	v_cmp_ge_i32_e64 s[18:19], v74, v14
	s_waitcnt lgkmcnt(0)
	v_cmp_lt_i32_e64 s[20:21], v72, v71
	v_cmp_lt_i32_e64 s[16:17], v73, v15
	s_or_b64 s[18:19], s[18:19], s[20:21]
	s_and_b64 s[16:17], s[16:17], s[18:19]
	s_xor_b64 s[18:19], s[16:17], -1
                                        ; implicit-def: $vgpr75
	s_and_saveexec_b64 s[20:21], s[18:19]
	s_xor_b64 s[18:19], exec, s[20:21]
; %bb.143:                              ;   in Loop: Header=BB19_2 Depth=1
	v_lshlrev_b32_e32 v75, 2, v74
	ds_read_b32 v75, v75 offset:4
; %bb.144:                              ;   in Loop: Header=BB19_2 Depth=1
	s_or_saveexec_b64 s[18:19], s[18:19]
	v_mov_b32_e32 v76, v72
	s_xor_b64 exec, exec, s[18:19]
	s_cbranch_execz .LBB19_146
; %bb.145:                              ;   in Loop: Header=BB19_2 Depth=1
	s_waitcnt lgkmcnt(0)
	v_lshlrev_b32_e32 v75, 2, v73
	ds_read_b32 v76, v75 offset:4
	v_mov_b32_e32 v75, v71
.LBB19_146:                             ;   in Loop: Header=BB19_2 Depth=1
	s_or_b64 exec, exec, s[18:19]
	v_add_u32_e32 v78, 1, v74
	v_add_u32_e32 v77, 1, v73
	v_cndmask_b32_e64 v78, v78, v74, s[16:17]
	v_cndmask_b32_e64 v77, v73, v77, s[16:17]
	v_cmp_ge_i32_e64 s[20:21], v78, v14
	s_waitcnt lgkmcnt(0)
	v_cmp_lt_i32_e64 s[22:23], v76, v75
	v_cmp_lt_i32_e64 s[18:19], v77, v15
	s_or_b64 s[20:21], s[20:21], s[22:23]
	s_and_b64 s[18:19], s[18:19], s[20:21]
	s_xor_b64 s[20:21], s[18:19], -1
                                        ; implicit-def: $vgpr79
	s_and_saveexec_b64 s[22:23], s[20:21]
	s_xor_b64 s[20:21], exec, s[22:23]
; %bb.147:                              ;   in Loop: Header=BB19_2 Depth=1
	v_lshlrev_b32_e32 v79, 2, v78
	ds_read_b32 v79, v79 offset:4
; %bb.148:                              ;   in Loop: Header=BB19_2 Depth=1
	s_or_saveexec_b64 s[20:21], s[20:21]
	v_mov_b32_e32 v80, v76
	s_xor_b64 exec, exec, s[20:21]
	s_cbranch_execz .LBB19_150
; %bb.149:                              ;   in Loop: Header=BB19_2 Depth=1
	s_waitcnt lgkmcnt(0)
	v_lshlrev_b32_e32 v79, 2, v77
	ds_read_b32 v80, v79 offset:4
	v_mov_b32_e32 v79, v75
.LBB19_150:                             ;   in Loop: Header=BB19_2 Depth=1
	s_or_b64 exec, exec, s[20:21]
	v_add_u32_e32 v82, 1, v78
	v_add_u32_e32 v81, 1, v77
	v_cndmask_b32_e64 v82, v82, v78, s[18:19]
	v_cndmask_b32_e64 v81, v77, v81, s[18:19]
	v_cmp_ge_i32_e64 s[22:23], v82, v14
	s_waitcnt lgkmcnt(0)
	v_cmp_lt_i32_e64 s[24:25], v80, v79
	v_cmp_lt_i32_e64 s[20:21], v81, v15
	s_or_b64 s[22:23], s[22:23], s[24:25]
	s_and_b64 s[20:21], s[20:21], s[22:23]
	s_xor_b64 s[22:23], s[20:21], -1
                                        ; implicit-def: $vgpr83
	s_and_saveexec_b64 s[24:25], s[22:23]
	s_xor_b64 s[22:23], exec, s[24:25]
; %bb.151:                              ;   in Loop: Header=BB19_2 Depth=1
	v_lshlrev_b32_e32 v83, 2, v82
	ds_read_b32 v83, v83 offset:4
; %bb.152:                              ;   in Loop: Header=BB19_2 Depth=1
	s_or_saveexec_b64 s[22:23], s[22:23]
	v_mov_b32_e32 v84, v80
	s_xor_b64 exec, exec, s[22:23]
	s_cbranch_execz .LBB19_154
; %bb.153:                              ;   in Loop: Header=BB19_2 Depth=1
	s_waitcnt lgkmcnt(0)
	v_lshlrev_b32_e32 v83, 2, v81
	ds_read_b32 v84, v83 offset:4
	v_mov_b32_e32 v83, v79
.LBB19_154:                             ;   in Loop: Header=BB19_2 Depth=1
	s_or_b64 exec, exec, s[22:23]
	v_add_u32_e32 v86, 1, v82
	v_add_u32_e32 v85, 1, v81
	v_cndmask_b32_e64 v86, v86, v82, s[20:21]
	v_cndmask_b32_e64 v85, v81, v85, s[20:21]
	v_cmp_ge_i32_e64 s[24:25], v86, v14
	s_waitcnt lgkmcnt(0)
	v_cmp_lt_i32_e64 s[26:27], v84, v83
	v_cmp_lt_i32_e64 s[22:23], v85, v15
	s_or_b64 s[24:25], s[24:25], s[26:27]
	s_and_b64 s[22:23], s[22:23], s[24:25]
	s_xor_b64 s[24:25], s[22:23], -1
                                        ; implicit-def: $vgpr87
	s_and_saveexec_b64 s[26:27], s[24:25]
	s_xor_b64 s[24:25], exec, s[26:27]
; %bb.155:                              ;   in Loop: Header=BB19_2 Depth=1
	v_lshlrev_b32_e32 v87, 2, v86
	ds_read_b32 v87, v87 offset:4
; %bb.156:                              ;   in Loop: Header=BB19_2 Depth=1
	s_or_saveexec_b64 s[24:25], s[24:25]
	v_mov_b32_e32 v88, v84
	s_xor_b64 exec, exec, s[24:25]
	s_cbranch_execz .LBB19_158
; %bb.157:                              ;   in Loop: Header=BB19_2 Depth=1
	s_waitcnt lgkmcnt(0)
	v_lshlrev_b32_e32 v87, 2, v85
	ds_read_b32 v88, v87 offset:4
	v_mov_b32_e32 v87, v83
.LBB19_158:                             ;   in Loop: Header=BB19_2 Depth=1
	s_or_b64 exec, exec, s[24:25]
	v_add_u32_e32 v91, 1, v86
	v_add_u32_e32 v89, 1, v85
	v_cndmask_b32_e64 v91, v91, v86, s[22:23]
	v_cndmask_b32_e64 v90, v85, v89, s[22:23]
	v_cmp_ge_i32_e64 s[26:27], v91, v14
	s_waitcnt lgkmcnt(0)
	v_cmp_lt_i32_e64 s[28:29], v88, v87
	v_cmp_lt_i32_e64 s[24:25], v90, v15
	s_or_b64 s[26:27], s[26:27], s[28:29]
	s_and_b64 s[24:25], s[24:25], s[26:27]
	s_xor_b64 s[26:27], s[24:25], -1
                                        ; implicit-def: $vgpr89
	s_and_saveexec_b64 s[28:29], s[26:27]
	s_xor_b64 s[26:27], exec, s[28:29]
; %bb.159:                              ;   in Loop: Header=BB19_2 Depth=1
	v_lshlrev_b32_e32 v89, 2, v91
	ds_read_b32 v89, v89 offset:4
; %bb.160:                              ;   in Loop: Header=BB19_2 Depth=1
	s_or_saveexec_b64 s[26:27], s[26:27]
	v_mov_b32_e32 v92, v88
	s_xor_b64 exec, exec, s[26:27]
	s_cbranch_execz .LBB19_162
; %bb.161:                              ;   in Loop: Header=BB19_2 Depth=1
	s_waitcnt lgkmcnt(0)
	v_lshlrev_b32_e32 v89, 2, v90
	ds_read_b32 v92, v89 offset:4
	v_mov_b32_e32 v89, v87
.LBB19_162:                             ;   in Loop: Header=BB19_2 Depth=1
	s_or_b64 exec, exec, s[26:27]
	v_add_u32_e32 v93, 1, v91
	v_cndmask_b32_e64 v87, v87, v88, s[24:25]
	v_add_u32_e32 v88, 1, v90
	v_cndmask_b32_e64 v93, v93, v91, s[24:25]
	v_cndmask_b32_e64 v88, v90, v88, s[24:25]
	v_cndmask_b32_e64 v71, v71, v72, s[16:17]
	v_cndmask_b32_e64 v72, v74, v73, s[16:17]
	v_cndmask_b32_e64 v67, v67, v68, s[14:15]
	v_cndmask_b32_e64 v68, v70, v69, s[14:15]
	v_cmp_ge_i32_e64 s[14:15], v93, v14
	s_waitcnt lgkmcnt(0)
	v_cmp_lt_i32_e64 s[16:17], v92, v89
	v_cndmask_b32_e64 v64, v64, v66, s[12:13]
	v_cndmask_b32_e64 v63, v65, v63, s[12:13]
	v_cmp_lt_i32_e64 s[12:13], v88, v15
	s_or_b64 s[14:15], s[14:15], s[16:17]
	s_and_b64 s[12:13], s[12:13], s[14:15]
	v_cndmask_b32_e64 v90, v91, v90, s[24:25]
	v_cndmask_b32_e64 v83, v83, v84, s[22:23]
	;; [unrolled: 1-line block ×8, first 2 shown]
	s_barrier
	ds_write2_b32 v47, v55, v56 offset1:1
	ds_write2_b32 v47, v57, v58 offset0:2 offset1:3
	ds_write2_b32 v47, v59, v60 offset0:4 offset1:5
	;; [unrolled: 1-line block ×3, first 2 shown]
	v_lshlrev_b32_e32 v55, 2, v63
	v_lshlrev_b32_e32 v56, 2, v68
	;; [unrolled: 1-line block ×8, first 2 shown]
	s_waitcnt lgkmcnt(0)
	s_barrier
	ds_read_b32 v55, v55
	ds_read_b32 v56, v56
	;; [unrolled: 1-line block ×8, first 2 shown]
	v_cndmask_b32_e64 v65, v89, v92, s[12:13]
	s_waitcnt lgkmcnt(0)
	s_barrier
	ds_write2_b32 v47, v64, v67 offset1:1
	ds_write2_b32 v47, v71, v75 offset0:2 offset1:3
	ds_write2_b32 v47, v79, v83 offset0:4 offset1:5
	;; [unrolled: 1-line block ×3, first 2 shown]
	v_mov_b32_e32 v65, v29
	s_waitcnt lgkmcnt(0)
	s_barrier
	s_and_saveexec_b64 s[14:15], s[8:9]
	s_cbranch_execz .LBB19_166
; %bb.163:                              ;   in Loop: Header=BB19_2 Depth=1
	s_mov_b64 s[16:17], 0
	v_mov_b32_e32 v65, v29
	v_mov_b32_e32 v63, v30
.LBB19_164:                             ;   Parent Loop BB19_2 Depth=1
                                        ; =>  This Inner Loop Header: Depth=2
	v_sub_u32_e32 v64, v63, v65
	v_lshrrev_b32_e32 v64, 1, v64
	v_add_u32_e32 v64, v64, v65
	v_not_b32_e32 v67, v64
	v_lshl_add_u32 v66, v64, 2, v53
	v_lshl_add_u32 v67, v67, 2, v46
	ds_read_b32 v66, v66
	ds_read_b32 v67, v67
	v_add_u32_e32 v68, 1, v64
	s_waitcnt lgkmcnt(0)
	v_cmp_lt_i32_e64 s[12:13], v67, v66
	v_cndmask_b32_e64 v63, v63, v64, s[12:13]
	v_cndmask_b32_e64 v65, v68, v65, s[12:13]
	v_cmp_ge_i32_e64 s[12:13], v65, v63
	s_or_b64 s[16:17], s[12:13], s[16:17]
	s_andn2_b64 exec, exec, s[16:17]
	s_cbranch_execnz .LBB19_164
; %bb.165:                              ;   in Loop: Header=BB19_2 Depth=1
	s_or_b64 exec, exec, s[16:17]
.LBB19_166:                             ;   in Loop: Header=BB19_2 Depth=1
	s_or_b64 exec, exec, s[14:15]
	v_sub_u32_e32 v63, v45, v65
	v_lshl_add_u32 v68, v65, 2, v53
	v_lshlrev_b32_e32 v69, 2, v63
	ds_read_b32 v64, v68
	ds_read_b32 v66, v69
	v_add_u32_e32 v65, v65, v16
	v_cmp_le_i32_e64 s[14:15], v17, v65
	v_cmp_gt_i32_e64 s[12:13], v18, v63
                                        ; implicit-def: $vgpr67
	s_waitcnt lgkmcnt(0)
	v_cmp_lt_i32_e64 s[16:17], v66, v64
	s_or_b64 s[14:15], s[14:15], s[16:17]
	s_and_b64 s[12:13], s[12:13], s[14:15]
	s_xor_b64 s[14:15], s[12:13], -1
	s_and_saveexec_b64 s[16:17], s[14:15]
	s_xor_b64 s[14:15], exec, s[16:17]
; %bb.167:                              ;   in Loop: Header=BB19_2 Depth=1
	ds_read_b32 v67, v68 offset:4
                                        ; implicit-def: $vgpr69
; %bb.168:                              ;   in Loop: Header=BB19_2 Depth=1
	s_or_saveexec_b64 s[14:15], s[14:15]
	v_mov_b32_e32 v68, v66
	s_xor_b64 exec, exec, s[14:15]
	s_cbranch_execz .LBB19_170
; %bb.169:                              ;   in Loop: Header=BB19_2 Depth=1
	ds_read_b32 v68, v69 offset:4
	s_waitcnt lgkmcnt(1)
	v_mov_b32_e32 v67, v64
.LBB19_170:                             ;   in Loop: Header=BB19_2 Depth=1
	s_or_b64 exec, exec, s[14:15]
	v_add_u32_e32 v70, 1, v65
	v_add_u32_e32 v69, 1, v63
	v_cndmask_b32_e64 v70, v70, v65, s[12:13]
	v_cndmask_b32_e64 v69, v63, v69, s[12:13]
	v_cmp_ge_i32_e64 s[16:17], v70, v17
	s_waitcnt lgkmcnt(0)
	v_cmp_lt_i32_e64 s[18:19], v68, v67
	v_cmp_lt_i32_e64 s[14:15], v69, v18
	s_or_b64 s[16:17], s[16:17], s[18:19]
	s_and_b64 s[14:15], s[14:15], s[16:17]
	s_xor_b64 s[16:17], s[14:15], -1
                                        ; implicit-def: $vgpr71
	s_and_saveexec_b64 s[18:19], s[16:17]
	s_xor_b64 s[16:17], exec, s[18:19]
; %bb.171:                              ;   in Loop: Header=BB19_2 Depth=1
	v_lshlrev_b32_e32 v71, 2, v70
	ds_read_b32 v71, v71 offset:4
; %bb.172:                              ;   in Loop: Header=BB19_2 Depth=1
	s_or_saveexec_b64 s[16:17], s[16:17]
	v_mov_b32_e32 v72, v68
	s_xor_b64 exec, exec, s[16:17]
	s_cbranch_execz .LBB19_174
; %bb.173:                              ;   in Loop: Header=BB19_2 Depth=1
	s_waitcnt lgkmcnt(0)
	v_lshlrev_b32_e32 v71, 2, v69
	ds_read_b32 v72, v71 offset:4
	v_mov_b32_e32 v71, v67
.LBB19_174:                             ;   in Loop: Header=BB19_2 Depth=1
	s_or_b64 exec, exec, s[16:17]
	v_add_u32_e32 v74, 1, v70
	v_add_u32_e32 v73, 1, v69
	v_cndmask_b32_e64 v74, v74, v70, s[14:15]
	v_cndmask_b32_e64 v73, v69, v73, s[14:15]
	v_cmp_ge_i32_e64 s[18:19], v74, v17
	s_waitcnt lgkmcnt(0)
	v_cmp_lt_i32_e64 s[20:21], v72, v71
	v_cmp_lt_i32_e64 s[16:17], v73, v18
	s_or_b64 s[18:19], s[18:19], s[20:21]
	s_and_b64 s[16:17], s[16:17], s[18:19]
	s_xor_b64 s[18:19], s[16:17], -1
                                        ; implicit-def: $vgpr75
	s_and_saveexec_b64 s[20:21], s[18:19]
	s_xor_b64 s[18:19], exec, s[20:21]
; %bb.175:                              ;   in Loop: Header=BB19_2 Depth=1
	v_lshlrev_b32_e32 v75, 2, v74
	ds_read_b32 v75, v75 offset:4
; %bb.176:                              ;   in Loop: Header=BB19_2 Depth=1
	s_or_saveexec_b64 s[18:19], s[18:19]
	v_mov_b32_e32 v76, v72
	s_xor_b64 exec, exec, s[18:19]
	s_cbranch_execz .LBB19_178
; %bb.177:                              ;   in Loop: Header=BB19_2 Depth=1
	s_waitcnt lgkmcnt(0)
	v_lshlrev_b32_e32 v75, 2, v73
	ds_read_b32 v76, v75 offset:4
	v_mov_b32_e32 v75, v71
.LBB19_178:                             ;   in Loop: Header=BB19_2 Depth=1
	s_or_b64 exec, exec, s[18:19]
	v_add_u32_e32 v78, 1, v74
	v_add_u32_e32 v77, 1, v73
	v_cndmask_b32_e64 v78, v78, v74, s[16:17]
	v_cndmask_b32_e64 v77, v73, v77, s[16:17]
	v_cmp_ge_i32_e64 s[20:21], v78, v17
	s_waitcnt lgkmcnt(0)
	v_cmp_lt_i32_e64 s[22:23], v76, v75
	v_cmp_lt_i32_e64 s[18:19], v77, v18
	s_or_b64 s[20:21], s[20:21], s[22:23]
	s_and_b64 s[18:19], s[18:19], s[20:21]
	s_xor_b64 s[20:21], s[18:19], -1
                                        ; implicit-def: $vgpr79
	s_and_saveexec_b64 s[22:23], s[20:21]
	s_xor_b64 s[20:21], exec, s[22:23]
; %bb.179:                              ;   in Loop: Header=BB19_2 Depth=1
	v_lshlrev_b32_e32 v79, 2, v78
	ds_read_b32 v79, v79 offset:4
; %bb.180:                              ;   in Loop: Header=BB19_2 Depth=1
	s_or_saveexec_b64 s[20:21], s[20:21]
	v_mov_b32_e32 v80, v76
	s_xor_b64 exec, exec, s[20:21]
	s_cbranch_execz .LBB19_182
; %bb.181:                              ;   in Loop: Header=BB19_2 Depth=1
	s_waitcnt lgkmcnt(0)
	v_lshlrev_b32_e32 v79, 2, v77
	ds_read_b32 v80, v79 offset:4
	v_mov_b32_e32 v79, v75
.LBB19_182:                             ;   in Loop: Header=BB19_2 Depth=1
	s_or_b64 exec, exec, s[20:21]
	v_add_u32_e32 v82, 1, v78
	v_add_u32_e32 v81, 1, v77
	v_cndmask_b32_e64 v82, v82, v78, s[18:19]
	v_cndmask_b32_e64 v81, v77, v81, s[18:19]
	v_cmp_ge_i32_e64 s[22:23], v82, v17
	s_waitcnt lgkmcnt(0)
	v_cmp_lt_i32_e64 s[24:25], v80, v79
	v_cmp_lt_i32_e64 s[20:21], v81, v18
	s_or_b64 s[22:23], s[22:23], s[24:25]
	s_and_b64 s[20:21], s[20:21], s[22:23]
	s_xor_b64 s[22:23], s[20:21], -1
                                        ; implicit-def: $vgpr83
	s_and_saveexec_b64 s[24:25], s[22:23]
	s_xor_b64 s[22:23], exec, s[24:25]
; %bb.183:                              ;   in Loop: Header=BB19_2 Depth=1
	v_lshlrev_b32_e32 v83, 2, v82
	ds_read_b32 v83, v83 offset:4
; %bb.184:                              ;   in Loop: Header=BB19_2 Depth=1
	s_or_saveexec_b64 s[22:23], s[22:23]
	v_mov_b32_e32 v84, v80
	s_xor_b64 exec, exec, s[22:23]
	s_cbranch_execz .LBB19_186
; %bb.185:                              ;   in Loop: Header=BB19_2 Depth=1
	s_waitcnt lgkmcnt(0)
	v_lshlrev_b32_e32 v83, 2, v81
	ds_read_b32 v84, v83 offset:4
	v_mov_b32_e32 v83, v79
.LBB19_186:                             ;   in Loop: Header=BB19_2 Depth=1
	s_or_b64 exec, exec, s[22:23]
	v_add_u32_e32 v86, 1, v82
	v_add_u32_e32 v85, 1, v81
	v_cndmask_b32_e64 v86, v86, v82, s[20:21]
	v_cndmask_b32_e64 v85, v81, v85, s[20:21]
	v_cmp_ge_i32_e64 s[24:25], v86, v17
	s_waitcnt lgkmcnt(0)
	v_cmp_lt_i32_e64 s[26:27], v84, v83
	v_cmp_lt_i32_e64 s[22:23], v85, v18
	s_or_b64 s[24:25], s[24:25], s[26:27]
	s_and_b64 s[22:23], s[22:23], s[24:25]
	s_xor_b64 s[24:25], s[22:23], -1
                                        ; implicit-def: $vgpr87
	s_and_saveexec_b64 s[26:27], s[24:25]
	s_xor_b64 s[24:25], exec, s[26:27]
; %bb.187:                              ;   in Loop: Header=BB19_2 Depth=1
	v_lshlrev_b32_e32 v87, 2, v86
	ds_read_b32 v87, v87 offset:4
; %bb.188:                              ;   in Loop: Header=BB19_2 Depth=1
	s_or_saveexec_b64 s[24:25], s[24:25]
	v_mov_b32_e32 v88, v84
	s_xor_b64 exec, exec, s[24:25]
	s_cbranch_execz .LBB19_190
; %bb.189:                              ;   in Loop: Header=BB19_2 Depth=1
	s_waitcnt lgkmcnt(0)
	v_lshlrev_b32_e32 v87, 2, v85
	ds_read_b32 v88, v87 offset:4
	v_mov_b32_e32 v87, v83
.LBB19_190:                             ;   in Loop: Header=BB19_2 Depth=1
	s_or_b64 exec, exec, s[24:25]
	v_add_u32_e32 v91, 1, v86
	v_add_u32_e32 v89, 1, v85
	v_cndmask_b32_e64 v91, v91, v86, s[22:23]
	v_cndmask_b32_e64 v90, v85, v89, s[22:23]
	v_cmp_ge_i32_e64 s[26:27], v91, v17
	s_waitcnt lgkmcnt(0)
	v_cmp_lt_i32_e64 s[28:29], v88, v87
	v_cmp_lt_i32_e64 s[24:25], v90, v18
	s_or_b64 s[26:27], s[26:27], s[28:29]
	s_and_b64 s[24:25], s[24:25], s[26:27]
	s_xor_b64 s[26:27], s[24:25], -1
                                        ; implicit-def: $vgpr89
	s_and_saveexec_b64 s[28:29], s[26:27]
	s_xor_b64 s[26:27], exec, s[28:29]
; %bb.191:                              ;   in Loop: Header=BB19_2 Depth=1
	v_lshlrev_b32_e32 v89, 2, v91
	ds_read_b32 v89, v89 offset:4
; %bb.192:                              ;   in Loop: Header=BB19_2 Depth=1
	s_or_saveexec_b64 s[26:27], s[26:27]
	v_mov_b32_e32 v92, v88
	s_xor_b64 exec, exec, s[26:27]
	s_cbranch_execz .LBB19_194
; %bb.193:                              ;   in Loop: Header=BB19_2 Depth=1
	s_waitcnt lgkmcnt(0)
	v_lshlrev_b32_e32 v89, 2, v90
	ds_read_b32 v92, v89 offset:4
	v_mov_b32_e32 v89, v87
.LBB19_194:                             ;   in Loop: Header=BB19_2 Depth=1
	s_or_b64 exec, exec, s[26:27]
	v_add_u32_e32 v93, 1, v91
	v_cndmask_b32_e64 v87, v87, v88, s[24:25]
	v_add_u32_e32 v88, 1, v90
	v_cndmask_b32_e64 v93, v93, v91, s[24:25]
	v_cndmask_b32_e64 v88, v90, v88, s[24:25]
	;; [unrolled: 1-line block ×6, first 2 shown]
	v_cmp_ge_i32_e64 s[14:15], v93, v17
	s_waitcnt lgkmcnt(0)
	v_cmp_lt_i32_e64 s[16:17], v92, v89
	v_cndmask_b32_e64 v64, v64, v66, s[12:13]
	v_cndmask_b32_e64 v63, v65, v63, s[12:13]
	v_cmp_lt_i32_e64 s[12:13], v88, v18
	s_or_b64 s[14:15], s[14:15], s[16:17]
	s_and_b64 s[12:13], s[12:13], s[14:15]
	v_cndmask_b32_e64 v90, v91, v90, s[24:25]
	v_cndmask_b32_e64 v83, v83, v84, s[22:23]
	;; [unrolled: 1-line block ×8, first 2 shown]
	s_barrier
	ds_write2_b32 v47, v55, v56 offset1:1
	ds_write2_b32 v47, v57, v58 offset0:2 offset1:3
	ds_write2_b32 v47, v59, v60 offset0:4 offset1:5
	;; [unrolled: 1-line block ×3, first 2 shown]
	v_lshlrev_b32_e32 v55, 2, v63
	v_lshlrev_b32_e32 v56, 2, v68
	;; [unrolled: 1-line block ×8, first 2 shown]
	s_waitcnt lgkmcnt(0)
	s_barrier
	ds_read_b32 v55, v55
	ds_read_b32 v56, v56
	;; [unrolled: 1-line block ×8, first 2 shown]
	v_mov_b32_e32 v63, v32
	v_cndmask_b32_e64 v65, v89, v92, s[12:13]
	s_waitcnt lgkmcnt(0)
	s_barrier
	ds_write2_b32 v47, v64, v67 offset1:1
	ds_write2_b32 v47, v71, v75 offset0:2 offset1:3
	ds_write2_b32 v47, v79, v83 offset0:4 offset1:5
	;; [unrolled: 1-line block ×3, first 2 shown]
	s_waitcnt lgkmcnt(0)
	s_barrier
	s_and_saveexec_b64 s[14:15], s[10:11]
	s_cbranch_execz .LBB19_198
; %bb.195:                              ;   in Loop: Header=BB19_2 Depth=1
	s_mov_b64 s[16:17], 0
	v_mov_b32_e32 v63, v32
	v_mov_b32_e32 v64, v33
.LBB19_196:                             ;   Parent Loop BB19_2 Depth=1
                                        ; =>  This Inner Loop Header: Depth=2
	v_sub_u32_e32 v65, v64, v63
	v_lshrrev_b32_e32 v65, 1, v65
	v_add_u32_e32 v65, v65, v63
	v_not_b32_e32 v67, v65
	v_lshlrev_b32_e32 v66, 2, v65
	v_lshl_add_u32 v67, v67, 2, v54
	ds_read_b32 v66, v66
	ds_read_b32 v67, v67
	v_add_u32_e32 v68, 1, v65
	s_waitcnt lgkmcnt(0)
	v_cmp_lt_i32_e64 s[12:13], v67, v66
	v_cndmask_b32_e64 v64, v64, v65, s[12:13]
	v_cndmask_b32_e64 v63, v68, v63, s[12:13]
	v_cmp_ge_i32_e64 s[12:13], v63, v64
	s_or_b64 s[16:17], s[12:13], s[16:17]
	s_andn2_b64 exec, exec, s[16:17]
	s_cbranch_execnz .LBB19_196
; %bb.197:                              ;   in Loop: Header=BB19_2 Depth=1
	s_or_b64 exec, exec, s[16:17]
.LBB19_198:                             ;   in Loop: Header=BB19_2 Depth=1
	s_or_b64 exec, exec, s[14:15]
	v_sub_u32_e32 v64, v34, v63
	v_lshlrev_b32_e32 v68, 2, v63
	v_lshlrev_b32_e32 v69, 2, v64
	ds_read_b32 v65, v68
	ds_read_b32 v66, v69
	v_cmp_le_i32_e64 s[14:15], v31, v63
	v_cmp_gt_i32_e64 s[12:13], s33, v64
                                        ; implicit-def: $vgpr67
	s_waitcnt lgkmcnt(0)
	v_cmp_lt_i32_e64 s[16:17], v66, v65
	s_or_b64 s[14:15], s[14:15], s[16:17]
	s_and_b64 s[12:13], s[12:13], s[14:15]
	s_xor_b64 s[14:15], s[12:13], -1
	s_and_saveexec_b64 s[16:17], s[14:15]
	s_xor_b64 s[14:15], exec, s[16:17]
; %bb.199:                              ;   in Loop: Header=BB19_2 Depth=1
	ds_read_b32 v67, v68 offset:4
                                        ; implicit-def: $vgpr69
; %bb.200:                              ;   in Loop: Header=BB19_2 Depth=1
	s_or_saveexec_b64 s[14:15], s[14:15]
	v_mov_b32_e32 v68, v66
	s_xor_b64 exec, exec, s[14:15]
	s_cbranch_execz .LBB19_202
; %bb.201:                              ;   in Loop: Header=BB19_2 Depth=1
	ds_read_b32 v68, v69 offset:4
	s_waitcnt lgkmcnt(1)
	v_mov_b32_e32 v67, v65
.LBB19_202:                             ;   in Loop: Header=BB19_2 Depth=1
	s_or_b64 exec, exec, s[14:15]
	v_add_u32_e32 v70, 1, v63
	v_add_u32_e32 v69, 1, v64
	v_cndmask_b32_e64 v70, v70, v63, s[12:13]
	v_cndmask_b32_e64 v69, v64, v69, s[12:13]
	v_cmp_ge_i32_e64 s[16:17], v70, v31
	s_waitcnt lgkmcnt(0)
	v_cmp_lt_i32_e64 s[18:19], v68, v67
	v_cmp_gt_i32_e64 s[14:15], s33, v69
	s_or_b64 s[16:17], s[16:17], s[18:19]
	s_and_b64 s[14:15], s[14:15], s[16:17]
	s_xor_b64 s[16:17], s[14:15], -1
                                        ; implicit-def: $vgpr71
	s_and_saveexec_b64 s[18:19], s[16:17]
	s_xor_b64 s[16:17], exec, s[18:19]
; %bb.203:                              ;   in Loop: Header=BB19_2 Depth=1
	v_lshlrev_b32_e32 v71, 2, v70
	ds_read_b32 v71, v71 offset:4
; %bb.204:                              ;   in Loop: Header=BB19_2 Depth=1
	s_or_saveexec_b64 s[16:17], s[16:17]
	v_mov_b32_e32 v72, v68
	s_xor_b64 exec, exec, s[16:17]
	s_cbranch_execz .LBB19_206
; %bb.205:                              ;   in Loop: Header=BB19_2 Depth=1
	s_waitcnt lgkmcnt(0)
	v_lshlrev_b32_e32 v71, 2, v69
	ds_read_b32 v72, v71 offset:4
	v_mov_b32_e32 v71, v67
.LBB19_206:                             ;   in Loop: Header=BB19_2 Depth=1
	s_or_b64 exec, exec, s[16:17]
	v_add_u32_e32 v74, 1, v70
	v_add_u32_e32 v73, 1, v69
	v_cndmask_b32_e64 v74, v74, v70, s[14:15]
	v_cndmask_b32_e64 v73, v69, v73, s[14:15]
	v_cmp_ge_i32_e64 s[18:19], v74, v31
	s_waitcnt lgkmcnt(0)
	v_cmp_lt_i32_e64 s[20:21], v72, v71
	v_cmp_gt_i32_e64 s[16:17], s33, v73
	s_or_b64 s[18:19], s[18:19], s[20:21]
	s_and_b64 s[16:17], s[16:17], s[18:19]
	s_xor_b64 s[18:19], s[16:17], -1
                                        ; implicit-def: $vgpr76
	s_and_saveexec_b64 s[20:21], s[18:19]
	s_xor_b64 s[18:19], exec, s[20:21]
; %bb.207:                              ;   in Loop: Header=BB19_2 Depth=1
	v_lshlrev_b32_e32 v75, 2, v74
	ds_read_b32 v76, v75 offset:4
; %bb.208:                              ;   in Loop: Header=BB19_2 Depth=1
	s_or_saveexec_b64 s[18:19], s[18:19]
	v_mov_b32_e32 v77, v72
	s_xor_b64 exec, exec, s[18:19]
	s_cbranch_execz .LBB19_210
; %bb.209:                              ;   in Loop: Header=BB19_2 Depth=1
	v_lshlrev_b32_e32 v75, 2, v73
	ds_read_b32 v77, v75 offset:4
	s_waitcnt lgkmcnt(1)
	v_mov_b32_e32 v76, v71
.LBB19_210:                             ;   in Loop: Header=BB19_2 Depth=1
	s_or_b64 exec, exec, s[18:19]
	v_add_u32_e32 v79, 1, v74
	v_add_u32_e32 v75, 1, v73
	v_cndmask_b32_e64 v79, v79, v74, s[16:17]
	v_cndmask_b32_e64 v78, v73, v75, s[16:17]
	v_cmp_ge_i32_e64 s[20:21], v79, v31
	s_waitcnt lgkmcnt(0)
	v_cmp_lt_i32_e64 s[22:23], v77, v76
	v_cmp_gt_i32_e64 s[18:19], s33, v78
	s_or_b64 s[20:21], s[20:21], s[22:23]
	s_and_b64 s[18:19], s[18:19], s[20:21]
	s_xor_b64 s[20:21], s[18:19], -1
                                        ; implicit-def: $vgpr81
	s_and_saveexec_b64 s[22:23], s[20:21]
	s_xor_b64 s[20:21], exec, s[22:23]
; %bb.211:                              ;   in Loop: Header=BB19_2 Depth=1
	v_lshlrev_b32_e32 v75, 2, v79
	ds_read_b32 v81, v75 offset:4
; %bb.212:                              ;   in Loop: Header=BB19_2 Depth=1
	s_or_saveexec_b64 s[20:21], s[20:21]
	v_mov_b32_e32 v83, v77
	s_xor_b64 exec, exec, s[20:21]
	s_cbranch_execz .LBB19_214
; %bb.213:                              ;   in Loop: Header=BB19_2 Depth=1
	v_lshlrev_b32_e32 v75, 2, v78
	ds_read_b32 v83, v75 offset:4
	s_waitcnt lgkmcnt(1)
	v_mov_b32_e32 v81, v76
.LBB19_214:                             ;   in Loop: Header=BB19_2 Depth=1
	s_or_b64 exec, exec, s[20:21]
	v_add_u32_e32 v80, 1, v79
	v_add_u32_e32 v75, 1, v78
	v_cndmask_b32_e64 v85, v80, v79, s[18:19]
	v_cndmask_b32_e64 v84, v78, v75, s[18:19]
	v_cmp_ge_i32_e64 s[22:23], v85, v31
	s_waitcnt lgkmcnt(0)
	v_cmp_lt_i32_e64 s[24:25], v83, v81
	v_cmp_gt_i32_e64 s[20:21], s33, v84
	s_or_b64 s[22:23], s[22:23], s[24:25]
	s_and_b64 s[22:23], s[20:21], s[22:23]
	s_xor_b64 s[20:21], s[22:23], -1
                                        ; implicit-def: $vgpr80
	s_and_saveexec_b64 s[24:25], s[20:21]
	s_xor_b64 s[20:21], exec, s[24:25]
; %bb.215:                              ;   in Loop: Header=BB19_2 Depth=1
	v_lshlrev_b32_e32 v75, 2, v85
	ds_read_b32 v80, v75 offset:4
; %bb.216:                              ;   in Loop: Header=BB19_2 Depth=1
	s_or_saveexec_b64 s[20:21], s[20:21]
	v_mov_b32_e32 v82, v83
	s_xor_b64 exec, exec, s[20:21]
	s_cbranch_execz .LBB19_218
; %bb.217:                              ;   in Loop: Header=BB19_2 Depth=1
	v_lshlrev_b32_e32 v75, 2, v84
	ds_read_b32 v82, v75 offset:4
	s_waitcnt lgkmcnt(1)
	v_mov_b32_e32 v80, v81
.LBB19_218:                             ;   in Loop: Header=BB19_2 Depth=1
	s_or_b64 exec, exec, s[20:21]
	v_add_u32_e32 v86, 1, v85
	v_add_u32_e32 v75, 1, v84
	v_cndmask_b32_e64 v89, v86, v85, s[22:23]
	v_cndmask_b32_e64 v88, v84, v75, s[22:23]
	v_cmp_ge_i32_e64 s[24:25], v89, v31
	s_waitcnt lgkmcnt(0)
	v_cmp_lt_i32_e64 s[26:27], v82, v80
	v_cmp_gt_i32_e64 s[20:21], s33, v88
	s_or_b64 s[24:25], s[24:25], s[26:27]
	s_and_b64 s[20:21], s[20:21], s[24:25]
	s_xor_b64 s[24:25], s[20:21], -1
                                        ; implicit-def: $vgpr86
	s_and_saveexec_b64 s[26:27], s[24:25]
	s_xor_b64 s[24:25], exec, s[26:27]
; %bb.219:                              ;   in Loop: Header=BB19_2 Depth=1
	v_lshlrev_b32_e32 v75, 2, v89
	ds_read_b32 v86, v75 offset:4
; %bb.220:                              ;   in Loop: Header=BB19_2 Depth=1
	s_or_saveexec_b64 s[24:25], s[24:25]
	v_mov_b32_e32 v87, v82
	s_xor_b64 exec, exec, s[24:25]
	s_cbranch_execz .LBB19_222
; %bb.221:                              ;   in Loop: Header=BB19_2 Depth=1
	v_lshlrev_b32_e32 v75, 2, v88
	ds_read_b32 v87, v75 offset:4
	s_waitcnt lgkmcnt(1)
	v_mov_b32_e32 v86, v80
.LBB19_222:                             ;   in Loop: Header=BB19_2 Depth=1
	s_or_b64 exec, exec, s[24:25]
	v_add_u32_e32 v75, 1, v88
	v_add_u32_e32 v91, 1, v89
	v_cndmask_b32_e64 v90, v88, v75, s[20:21]
	v_cndmask_b32_e64 v75, v91, v89, s[20:21]
	v_cmp_ge_i32_e64 s[26:27], v75, v31
	s_waitcnt lgkmcnt(0)
	v_cmp_lt_i32_e64 s[28:29], v87, v86
	v_cmp_gt_i32_e64 s[24:25], s33, v90
	s_or_b64 s[26:27], s[26:27], s[28:29]
	s_and_b64 s[24:25], s[24:25], s[26:27]
	s_xor_b64 s[26:27], s[24:25], -1
                                        ; implicit-def: $vgpr93
                                        ; implicit-def: $vgpr92
	s_and_saveexec_b64 s[28:29], s[26:27]
	s_xor_b64 s[26:27], exec, s[28:29]
; %bb.223:                              ;   in Loop: Header=BB19_2 Depth=1
	v_lshlrev_b32_e32 v91, 2, v75
	ds_read_b32 v93, v91 offset:4
	v_add_u32_e32 v92, 1, v75
; %bb.224:                              ;   in Loop: Header=BB19_2 Depth=1
	s_or_saveexec_b64 s[26:27], s[26:27]
	v_mov_b32_e32 v91, v75
	v_mov_b32_e32 v94, v87
	s_xor_b64 exec, exec, s[26:27]
	s_cbranch_execz .LBB19_1
; %bb.225:                              ;   in Loop: Header=BB19_2 Depth=1
	v_lshlrev_b32_e32 v91, 2, v90
	ds_read_b32 v94, v91 offset:4
	s_waitcnt lgkmcnt(1)
	v_add_u32_e32 v93, 1, v90
	v_mov_b32_e32 v91, v90
	v_mov_b32_e32 v92, v75
	;; [unrolled: 1-line block ×4, first 2 shown]
	s_branch .LBB19_1
.LBB19_226:
	s_add_u32 s0, s90, s92
	s_waitcnt lgkmcnt(7)
	v_add_u32_e32 v1, v75, v55
	s_addc_u32 s1, s91, s93
	v_lshlrev_b32_e32 v0, 2, v0
	s_waitcnt lgkmcnt(6)
	v_add_u32_e32 v2, v68, v59
	s_waitcnt lgkmcnt(5)
	v_add_u32_e32 v3, v66, v56
	;; [unrolled: 2-line block ×7, first 2 shown]
	global_store_dword v0, v1, s[0:1]
	global_store_dword v0, v2, s[0:1] offset:512
	global_store_dword v0, v3, s[0:1] offset:1024
	;; [unrolled: 1-line block ×7, first 2 shown]
	s_endpgm
	.section	.rodata,"a",@progbits
	.p2align	6, 0x0
	.amdhsa_kernel _Z17sort_pairs_kernelIiLj128ELj8EN10test_utils4lessELj10EEvPKT_PS2_T2_
		.amdhsa_group_segment_fixed_size 4100
		.amdhsa_private_segment_fixed_size 0
		.amdhsa_kernarg_size 20
		.amdhsa_user_sgpr_count 6
		.amdhsa_user_sgpr_private_segment_buffer 1
		.amdhsa_user_sgpr_dispatch_ptr 0
		.amdhsa_user_sgpr_queue_ptr 0
		.amdhsa_user_sgpr_kernarg_segment_ptr 1
		.amdhsa_user_sgpr_dispatch_id 0
		.amdhsa_user_sgpr_flat_scratch_init 0
		.amdhsa_user_sgpr_private_segment_size 0
		.amdhsa_uses_dynamic_stack 0
		.amdhsa_system_sgpr_private_segment_wavefront_offset 0
		.amdhsa_system_sgpr_workgroup_id_x 1
		.amdhsa_system_sgpr_workgroup_id_y 0
		.amdhsa_system_sgpr_workgroup_id_z 0
		.amdhsa_system_sgpr_workgroup_info 0
		.amdhsa_system_vgpr_workitem_id 0
		.amdhsa_next_free_vgpr 95
		.amdhsa_next_free_sgpr 96
		.amdhsa_reserve_vcc 1
		.amdhsa_reserve_flat_scratch 0
		.amdhsa_float_round_mode_32 0
		.amdhsa_float_round_mode_16_64 0
		.amdhsa_float_denorm_mode_32 3
		.amdhsa_float_denorm_mode_16_64 3
		.amdhsa_dx10_clamp 1
		.amdhsa_ieee_mode 1
		.amdhsa_fp16_overflow 0
		.amdhsa_exception_fp_ieee_invalid_op 0
		.amdhsa_exception_fp_denorm_src 0
		.amdhsa_exception_fp_ieee_div_zero 0
		.amdhsa_exception_fp_ieee_overflow 0
		.amdhsa_exception_fp_ieee_underflow 0
		.amdhsa_exception_fp_ieee_inexact 0
		.amdhsa_exception_int_div_zero 0
	.end_amdhsa_kernel
	.section	.text._Z17sort_pairs_kernelIiLj128ELj8EN10test_utils4lessELj10EEvPKT_PS2_T2_,"axG",@progbits,_Z17sort_pairs_kernelIiLj128ELj8EN10test_utils4lessELj10EEvPKT_PS2_T2_,comdat
.Lfunc_end19:
	.size	_Z17sort_pairs_kernelIiLj128ELj8EN10test_utils4lessELj10EEvPKT_PS2_T2_, .Lfunc_end19-_Z17sort_pairs_kernelIiLj128ELj8EN10test_utils4lessELj10EEvPKT_PS2_T2_
                                        ; -- End function
	.set _Z17sort_pairs_kernelIiLj128ELj8EN10test_utils4lessELj10EEvPKT_PS2_T2_.num_vgpr, 95
	.set _Z17sort_pairs_kernelIiLj128ELj8EN10test_utils4lessELj10EEvPKT_PS2_T2_.num_agpr, 0
	.set _Z17sort_pairs_kernelIiLj128ELj8EN10test_utils4lessELj10EEvPKT_PS2_T2_.numbered_sgpr, 96
	.set _Z17sort_pairs_kernelIiLj128ELj8EN10test_utils4lessELj10EEvPKT_PS2_T2_.num_named_barrier, 0
	.set _Z17sort_pairs_kernelIiLj128ELj8EN10test_utils4lessELj10EEvPKT_PS2_T2_.private_seg_size, 0
	.set _Z17sort_pairs_kernelIiLj128ELj8EN10test_utils4lessELj10EEvPKT_PS2_T2_.uses_vcc, 1
	.set _Z17sort_pairs_kernelIiLj128ELj8EN10test_utils4lessELj10EEvPKT_PS2_T2_.uses_flat_scratch, 0
	.set _Z17sort_pairs_kernelIiLj128ELj8EN10test_utils4lessELj10EEvPKT_PS2_T2_.has_dyn_sized_stack, 0
	.set _Z17sort_pairs_kernelIiLj128ELj8EN10test_utils4lessELj10EEvPKT_PS2_T2_.has_recursion, 0
	.set _Z17sort_pairs_kernelIiLj128ELj8EN10test_utils4lessELj10EEvPKT_PS2_T2_.has_indirect_call, 0
	.section	.AMDGPU.csdata,"",@progbits
; Kernel info:
; codeLenInByte = 11648
; TotalNumSgprs: 100
; NumVgprs: 95
; ScratchSize: 0
; MemoryBound: 0
; FloatMode: 240
; IeeeMode: 1
; LDSByteSize: 4100 bytes/workgroup (compile time only)
; SGPRBlocks: 12
; VGPRBlocks: 23
; NumSGPRsForWavesPerEU: 100
; NumVGPRsForWavesPerEU: 95
; Occupancy: 2
; WaveLimiterHint : 1
; COMPUTE_PGM_RSRC2:SCRATCH_EN: 0
; COMPUTE_PGM_RSRC2:USER_SGPR: 6
; COMPUTE_PGM_RSRC2:TRAP_HANDLER: 0
; COMPUTE_PGM_RSRC2:TGID_X_EN: 1
; COMPUTE_PGM_RSRC2:TGID_Y_EN: 0
; COMPUTE_PGM_RSRC2:TGID_Z_EN: 0
; COMPUTE_PGM_RSRC2:TIDIG_COMP_CNT: 0
	.section	.text._Z16sort_keys_kernelIiLj256ELj1EN10test_utils4lessELj10EEvPKT_PS2_T2_,"axG",@progbits,_Z16sort_keys_kernelIiLj256ELj1EN10test_utils4lessELj10EEvPKT_PS2_T2_,comdat
	.protected	_Z16sort_keys_kernelIiLj256ELj1EN10test_utils4lessELj10EEvPKT_PS2_T2_ ; -- Begin function _Z16sort_keys_kernelIiLj256ELj1EN10test_utils4lessELj10EEvPKT_PS2_T2_
	.globl	_Z16sort_keys_kernelIiLj256ELj1EN10test_utils4lessELj10EEvPKT_PS2_T2_
	.p2align	8
	.type	_Z16sort_keys_kernelIiLj256ELj1EN10test_utils4lessELj10EEvPKT_PS2_T2_,@function
_Z16sort_keys_kernelIiLj256ELj1EN10test_utils4lessELj10EEvPKT_PS2_T2_: ; @_Z16sort_keys_kernelIiLj256ELj1EN10test_utils4lessELj10EEvPKT_PS2_T2_
; %bb.0:
	s_load_dwordx4 s[20:23], s[4:5], 0x0
	s_lshl_b32 s26, s6, 8
	s_mov_b32 s27, 0
	s_lshl_b64 s[24:25], s[26:27], 2
	v_lshlrev_b32_e32 v6, 2, v0
	s_waitcnt lgkmcnt(0)
	s_add_u32 s0, s20, s24
	s_addc_u32 s1, s21, s25
	global_load_dword v56, v6, s[0:1]
	v_and_b32_e32 v14, 0xfc, v0
	v_and_b32_e32 v20, 0xf8, v0
	;; [unrolled: 1-line block ×6, first 2 shown]
	v_or_b32_e32 v17, 2, v14
	v_add_u32_e32 v1, 4, v14
	v_or_b32_e32 v23, 4, v20
	v_add_u32_e32 v2, 8, v20
	;; [unrolled: 2-line block ×6, first 2 shown]
	v_and_b32_e32 v18, 3, v0
	v_sub_u32_e32 v15, v1, v17
	v_and_b32_e32 v24, 7, v0
	v_sub_u32_e32 v21, v2, v23
	;; [unrolled: 2-line block ×7, first 2 shown]
	v_sub_u32_e32 v22, v24, v21
	v_sub_u32_e32 v28, v30, v27
	;; [unrolled: 1-line block ×5, first 2 shown]
	v_or_b32_e32 v8, 1, v10
	v_and_b32_e32 v53, 1, v0
	v_cmp_ge_i32_e64 s[0:1], v18, v15
	v_cmp_ge_i32_e64 s[2:3], v24, v21
	;; [unrolled: 1-line block ×6, first 2 shown]
	v_sub_u32_e32 v9, v8, v10
	v_add_u32_e32 v11, -1, v53
	v_cmp_lt_i32_e32 vcc, 0, v53
	v_sub_u32_e32 v13, v17, v14
	v_cndmask_b32_e64 v15, 0, v16, s[0:1]
	v_lshlrev_b32_e32 v16, 2, v18
	v_sub_u32_e32 v19, v23, v20
	v_cndmask_b32_e64 v21, 0, v22, s[2:3]
	v_lshlrev_b32_e32 v22, 2, v24
	;; [unrolled: 3-line block ×6, first 2 shown]
	v_mov_b32_e32 v49, 0x80
	v_cndmask_b32_e32 v11, 0, v11, vcc
	v_min_i32_e32 v12, v53, v9
	v_lshl_add_u32 v16, v17, 2, v16
	v_add_u32_e32 v17, v17, v18
	v_min_i32_e32 v18, v18, v13
	v_lshl_add_u32 v22, v23, 2, v22
	v_add_u32_e32 v23, v23, v24
	;; [unrolled: 3-line block ×6, first 2 shown]
	v_min_i32_e32 v48, v48, v43
	v_sub_u32_e64 v50, v0, v49 clamp
	v_min_i32_e32 v51, 0x80, v0
	v_add_u32_e32 v52, v8, v53
	v_lshlrev_b32_e32 v53, 2, v53
	v_lshlrev_b32_e32 v10, 2, v10
	v_cmp_lt_i32_e32 vcc, v11, v12
	v_lshlrev_b32_e32 v14, 2, v14
	v_cmp_lt_i32_e64 s[0:1], v15, v18
	v_lshlrev_b32_e32 v20, 2, v20
	v_cmp_lt_i32_e64 s[2:3], v21, v24
	;; [unrolled: 2-line block ×6, first 2 shown]
	v_cmp_lt_i32_e64 s[12:13], v50, v51
	v_lshl_add_u32 v53, v8, 2, v53
	s_movk_i32 s20, 0x100
	v_add_u32_e32 v54, 0x80, v0
	v_add_u32_e32 v55, 0x200, v6
	s_branch .LBB20_2
.LBB20_1:                               ;   in Loop: Header=BB20_2 Depth=1
	s_or_b64 exec, exec, s[16:17]
	v_sub_u32_e32 v57, v54, v56
	v_lshlrev_b32_e32 v58, 2, v56
	v_lshlrev_b32_e32 v59, 2, v57
	ds_read_b32 v58, v58
	ds_read_b32 v59, v59
	v_cmp_ge_i32_e64 s[14:15], v56, v49
	v_cmp_gt_i32_e64 s[16:17], s20, v57
	s_add_i32 s27, s27, 1
	s_waitcnt lgkmcnt(0)
	v_cmp_lt_i32_e64 s[18:19], v59, v58
	s_or_b64 s[14:15], s[14:15], s[18:19]
	s_and_b64 s[14:15], s[16:17], s[14:15]
	s_cmp_eq_u32 s27, 10
	v_cndmask_b32_e64 v56, v58, v59, s[14:15]
	s_cbranch_scc1 .LBB20_34
.LBB20_2:                               ; =>This Loop Header: Depth=1
                                        ;     Child Loop BB20_4 Depth 2
                                        ;     Child Loop BB20_8 Depth 2
	;; [unrolled: 1-line block ×8, first 2 shown]
	s_waitcnt vmcnt(0)
	s_barrier
	ds_write_b32 v6, v56
	v_mov_b32_e32 v56, v11
	s_waitcnt lgkmcnt(0)
	s_barrier
	s_and_saveexec_b64 s[16:17], vcc
	s_cbranch_execz .LBB20_6
; %bb.3:                                ;   in Loop: Header=BB20_2 Depth=1
	s_mov_b64 s[18:19], 0
	v_mov_b32_e32 v56, v11
	v_mov_b32_e32 v57, v12
.LBB20_4:                               ;   Parent Loop BB20_2 Depth=1
                                        ; =>  This Inner Loop Header: Depth=2
	v_sub_u32_e32 v58, v57, v56
	v_lshrrev_b32_e32 v58, 1, v58
	v_add_u32_e32 v58, v58, v56
	v_not_b32_e32 v60, v58
	v_lshl_add_u32 v59, v58, 2, v10
	v_lshl_add_u32 v60, v60, 2, v53
	ds_read_b32 v59, v59
	ds_read_b32 v60, v60
	v_add_u32_e32 v61, 1, v58
	s_waitcnt lgkmcnt(0)
	v_cmp_lt_i32_e64 s[14:15], v60, v59
	v_cndmask_b32_e64 v57, v57, v58, s[14:15]
	v_cndmask_b32_e64 v56, v61, v56, s[14:15]
	v_cmp_ge_i32_e64 s[14:15], v56, v57
	s_or_b64 s[18:19], s[14:15], s[18:19]
	s_andn2_b64 exec, exec, s[18:19]
	s_cbranch_execnz .LBB20_4
; %bb.5:                                ;   in Loop: Header=BB20_2 Depth=1
	s_or_b64 exec, exec, s[18:19]
.LBB20_6:                               ;   in Loop: Header=BB20_2 Depth=1
	s_or_b64 exec, exec, s[16:17]
	v_sub_u32_e32 v57, v52, v56
	v_lshl_add_u32 v58, v56, 2, v10
	v_lshlrev_b32_e32 v59, 2, v57
	ds_read_b32 v58, v58
	ds_read_b32 v59, v59
	v_cmp_ge_i32_e64 s[14:15], v56, v9
	v_cmp_ge_i32_e64 s[16:17], v8, v57
	s_waitcnt lgkmcnt(0)
	s_barrier
	v_cmp_lt_i32_e64 s[18:19], v59, v58
	s_or_b64 s[14:15], s[14:15], s[18:19]
	s_and_b64 s[14:15], s[16:17], s[14:15]
	v_cndmask_b32_e64 v56, v58, v59, s[14:15]
	ds_write_b32 v6, v56
	v_mov_b32_e32 v56, v15
	s_waitcnt lgkmcnt(0)
	s_barrier
	s_and_saveexec_b64 s[16:17], s[0:1]
	s_cbranch_execz .LBB20_10
; %bb.7:                                ;   in Loop: Header=BB20_2 Depth=1
	s_mov_b64 s[18:19], 0
	v_mov_b32_e32 v56, v15
	v_mov_b32_e32 v57, v18
.LBB20_8:                               ;   Parent Loop BB20_2 Depth=1
                                        ; =>  This Inner Loop Header: Depth=2
	v_sub_u32_e32 v58, v57, v56
	v_lshrrev_b32_e32 v58, 1, v58
	v_add_u32_e32 v58, v58, v56
	v_not_b32_e32 v60, v58
	v_lshl_add_u32 v59, v58, 2, v14
	v_lshl_add_u32 v60, v60, 2, v16
	ds_read_b32 v59, v59
	ds_read_b32 v60, v60
	v_add_u32_e32 v61, 1, v58
	s_waitcnt lgkmcnt(0)
	v_cmp_lt_i32_e64 s[14:15], v60, v59
	v_cndmask_b32_e64 v57, v57, v58, s[14:15]
	v_cndmask_b32_e64 v56, v61, v56, s[14:15]
	v_cmp_ge_i32_e64 s[14:15], v56, v57
	s_or_b64 s[18:19], s[14:15], s[18:19]
	s_andn2_b64 exec, exec, s[18:19]
	s_cbranch_execnz .LBB20_8
; %bb.9:                                ;   in Loop: Header=BB20_2 Depth=1
	s_or_b64 exec, exec, s[18:19]
.LBB20_10:                              ;   in Loop: Header=BB20_2 Depth=1
	s_or_b64 exec, exec, s[16:17]
	v_sub_u32_e32 v57, v17, v56
	v_lshl_add_u32 v58, v56, 2, v14
	v_lshlrev_b32_e32 v59, 2, v57
	ds_read_b32 v58, v58
	ds_read_b32 v59, v59
	v_cmp_ge_i32_e64 s[14:15], v56, v13
	v_cmp_gt_i32_e64 s[16:17], v1, v57
	s_waitcnt lgkmcnt(0)
	s_barrier
	v_cmp_lt_i32_e64 s[18:19], v59, v58
	s_or_b64 s[14:15], s[14:15], s[18:19]
	s_and_b64 s[14:15], s[16:17], s[14:15]
	v_cndmask_b32_e64 v56, v58, v59, s[14:15]
	ds_write_b32 v6, v56
	v_mov_b32_e32 v56, v21
	s_waitcnt lgkmcnt(0)
	s_barrier
	s_and_saveexec_b64 s[16:17], s[2:3]
	s_cbranch_execz .LBB20_14
; %bb.11:                               ;   in Loop: Header=BB20_2 Depth=1
	s_mov_b64 s[18:19], 0
	v_mov_b32_e32 v56, v21
	v_mov_b32_e32 v57, v24
.LBB20_12:                              ;   Parent Loop BB20_2 Depth=1
                                        ; =>  This Inner Loop Header: Depth=2
	v_sub_u32_e32 v58, v57, v56
	v_lshrrev_b32_e32 v58, 1, v58
	v_add_u32_e32 v58, v58, v56
	v_not_b32_e32 v60, v58
	v_lshl_add_u32 v59, v58, 2, v20
	v_lshl_add_u32 v60, v60, 2, v22
	ds_read_b32 v59, v59
	ds_read_b32 v60, v60
	v_add_u32_e32 v61, 1, v58
	s_waitcnt lgkmcnt(0)
	v_cmp_lt_i32_e64 s[14:15], v60, v59
	v_cndmask_b32_e64 v57, v57, v58, s[14:15]
	v_cndmask_b32_e64 v56, v61, v56, s[14:15]
	v_cmp_ge_i32_e64 s[14:15], v56, v57
	s_or_b64 s[18:19], s[14:15], s[18:19]
	s_andn2_b64 exec, exec, s[18:19]
	s_cbranch_execnz .LBB20_12
; %bb.13:                               ;   in Loop: Header=BB20_2 Depth=1
	s_or_b64 exec, exec, s[18:19]
.LBB20_14:                              ;   in Loop: Header=BB20_2 Depth=1
	s_or_b64 exec, exec, s[16:17]
	v_sub_u32_e32 v57, v23, v56
	v_lshl_add_u32 v58, v56, 2, v20
	v_lshlrev_b32_e32 v59, 2, v57
	ds_read_b32 v58, v58
	ds_read_b32 v59, v59
	v_cmp_ge_i32_e64 s[14:15], v56, v19
	v_cmp_gt_i32_e64 s[16:17], v2, v57
	s_waitcnt lgkmcnt(0)
	s_barrier
	v_cmp_lt_i32_e64 s[18:19], v59, v58
	s_or_b64 s[14:15], s[14:15], s[18:19]
	s_and_b64 s[14:15], s[16:17], s[14:15]
	v_cndmask_b32_e64 v56, v58, v59, s[14:15]
	ds_write_b32 v6, v56
	v_mov_b32_e32 v56, v27
	s_waitcnt lgkmcnt(0)
	s_barrier
	s_and_saveexec_b64 s[16:17], s[4:5]
	s_cbranch_execz .LBB20_18
; %bb.15:                               ;   in Loop: Header=BB20_2 Depth=1
	s_mov_b64 s[18:19], 0
	v_mov_b32_e32 v56, v27
	v_mov_b32_e32 v57, v30
.LBB20_16:                              ;   Parent Loop BB20_2 Depth=1
                                        ; =>  This Inner Loop Header: Depth=2
	v_sub_u32_e32 v58, v57, v56
	v_lshrrev_b32_e32 v58, 1, v58
	v_add_u32_e32 v58, v58, v56
	v_not_b32_e32 v60, v58
	v_lshl_add_u32 v59, v58, 2, v26
	v_lshl_add_u32 v60, v60, 2, v28
	ds_read_b32 v59, v59
	ds_read_b32 v60, v60
	v_add_u32_e32 v61, 1, v58
	s_waitcnt lgkmcnt(0)
	v_cmp_lt_i32_e64 s[14:15], v60, v59
	v_cndmask_b32_e64 v57, v57, v58, s[14:15]
	v_cndmask_b32_e64 v56, v61, v56, s[14:15]
	v_cmp_ge_i32_e64 s[14:15], v56, v57
	s_or_b64 s[18:19], s[14:15], s[18:19]
	s_andn2_b64 exec, exec, s[18:19]
	s_cbranch_execnz .LBB20_16
; %bb.17:                               ;   in Loop: Header=BB20_2 Depth=1
	s_or_b64 exec, exec, s[18:19]
.LBB20_18:                              ;   in Loop: Header=BB20_2 Depth=1
	;; [unrolled: 46-line block ×5, first 2 shown]
	s_or_b64 exec, exec, s[16:17]
	v_sub_u32_e32 v57, v47, v56
	v_lshl_add_u32 v58, v56, 2, v44
	v_lshlrev_b32_e32 v59, 2, v57
	ds_read_b32 v58, v58
	ds_read_b32 v59, v59
	v_cmp_ge_i32_e64 s[14:15], v56, v43
	v_cmp_gt_i32_e64 s[16:17], v7, v57
	s_waitcnt lgkmcnt(0)
	s_barrier
	v_cmp_lt_i32_e64 s[18:19], v59, v58
	s_or_b64 s[14:15], s[14:15], s[18:19]
	s_and_b64 s[14:15], s[16:17], s[14:15]
	v_cndmask_b32_e64 v56, v58, v59, s[14:15]
	ds_write_b32 v6, v56
	v_mov_b32_e32 v56, v50
	s_waitcnt lgkmcnt(0)
	s_barrier
	s_and_saveexec_b64 s[16:17], s[12:13]
	s_cbranch_execz .LBB20_1
; %bb.31:                               ;   in Loop: Header=BB20_2 Depth=1
	s_mov_b64 s[18:19], 0
	v_mov_b32_e32 v56, v50
	v_mov_b32_e32 v57, v51
.LBB20_32:                              ;   Parent Loop BB20_2 Depth=1
                                        ; =>  This Inner Loop Header: Depth=2
	v_sub_u32_e32 v58, v57, v56
	v_lshrrev_b32_e32 v58, 1, v58
	v_add_u32_e32 v58, v58, v56
	v_not_b32_e32 v60, v58
	v_lshlrev_b32_e32 v59, 2, v58
	v_lshl_add_u32 v60, v60, 2, v55
	ds_read_b32 v59, v59
	ds_read_b32 v60, v60
	v_add_u32_e32 v61, 1, v58
	s_waitcnt lgkmcnt(0)
	v_cmp_lt_i32_e64 s[14:15], v60, v59
	v_cndmask_b32_e64 v57, v57, v58, s[14:15]
	v_cndmask_b32_e64 v56, v61, v56, s[14:15]
	v_cmp_ge_i32_e64 s[14:15], v56, v57
	s_or_b64 s[18:19], s[14:15], s[18:19]
	s_andn2_b64 exec, exec, s[18:19]
	s_cbranch_execnz .LBB20_32
; %bb.33:                               ;   in Loop: Header=BB20_2 Depth=1
	s_or_b64 exec, exec, s[18:19]
	s_branch .LBB20_1
.LBB20_34:
	s_add_u32 s0, s22, s24
	s_addc_u32 s1, s23, s25
	v_lshlrev_b32_e32 v0, 2, v0
	global_store_dword v0, v56, s[0:1]
	s_endpgm
	.section	.rodata,"a",@progbits
	.p2align	6, 0x0
	.amdhsa_kernel _Z16sort_keys_kernelIiLj256ELj1EN10test_utils4lessELj10EEvPKT_PS2_T2_
		.amdhsa_group_segment_fixed_size 1028
		.amdhsa_private_segment_fixed_size 0
		.amdhsa_kernarg_size 20
		.amdhsa_user_sgpr_count 6
		.amdhsa_user_sgpr_private_segment_buffer 1
		.amdhsa_user_sgpr_dispatch_ptr 0
		.amdhsa_user_sgpr_queue_ptr 0
		.amdhsa_user_sgpr_kernarg_segment_ptr 1
		.amdhsa_user_sgpr_dispatch_id 0
		.amdhsa_user_sgpr_flat_scratch_init 0
		.amdhsa_user_sgpr_private_segment_size 0
		.amdhsa_uses_dynamic_stack 0
		.amdhsa_system_sgpr_private_segment_wavefront_offset 0
		.amdhsa_system_sgpr_workgroup_id_x 1
		.amdhsa_system_sgpr_workgroup_id_y 0
		.amdhsa_system_sgpr_workgroup_id_z 0
		.amdhsa_system_sgpr_workgroup_info 0
		.amdhsa_system_vgpr_workitem_id 0
		.amdhsa_next_free_vgpr 62
		.amdhsa_next_free_sgpr 28
		.amdhsa_reserve_vcc 1
		.amdhsa_reserve_flat_scratch 0
		.amdhsa_float_round_mode_32 0
		.amdhsa_float_round_mode_16_64 0
		.amdhsa_float_denorm_mode_32 3
		.amdhsa_float_denorm_mode_16_64 3
		.amdhsa_dx10_clamp 1
		.amdhsa_ieee_mode 1
		.amdhsa_fp16_overflow 0
		.amdhsa_exception_fp_ieee_invalid_op 0
		.amdhsa_exception_fp_denorm_src 0
		.amdhsa_exception_fp_ieee_div_zero 0
		.amdhsa_exception_fp_ieee_overflow 0
		.amdhsa_exception_fp_ieee_underflow 0
		.amdhsa_exception_fp_ieee_inexact 0
		.amdhsa_exception_int_div_zero 0
	.end_amdhsa_kernel
	.section	.text._Z16sort_keys_kernelIiLj256ELj1EN10test_utils4lessELj10EEvPKT_PS2_T2_,"axG",@progbits,_Z16sort_keys_kernelIiLj256ELj1EN10test_utils4lessELj10EEvPKT_PS2_T2_,comdat
.Lfunc_end20:
	.size	_Z16sort_keys_kernelIiLj256ELj1EN10test_utils4lessELj10EEvPKT_PS2_T2_, .Lfunc_end20-_Z16sort_keys_kernelIiLj256ELj1EN10test_utils4lessELj10EEvPKT_PS2_T2_
                                        ; -- End function
	.set _Z16sort_keys_kernelIiLj256ELj1EN10test_utils4lessELj10EEvPKT_PS2_T2_.num_vgpr, 62
	.set _Z16sort_keys_kernelIiLj256ELj1EN10test_utils4lessELj10EEvPKT_PS2_T2_.num_agpr, 0
	.set _Z16sort_keys_kernelIiLj256ELj1EN10test_utils4lessELj10EEvPKT_PS2_T2_.numbered_sgpr, 28
	.set _Z16sort_keys_kernelIiLj256ELj1EN10test_utils4lessELj10EEvPKT_PS2_T2_.num_named_barrier, 0
	.set _Z16sort_keys_kernelIiLj256ELj1EN10test_utils4lessELj10EEvPKT_PS2_T2_.private_seg_size, 0
	.set _Z16sort_keys_kernelIiLj256ELj1EN10test_utils4lessELj10EEvPKT_PS2_T2_.uses_vcc, 1
	.set _Z16sort_keys_kernelIiLj256ELj1EN10test_utils4lessELj10EEvPKT_PS2_T2_.uses_flat_scratch, 0
	.set _Z16sort_keys_kernelIiLj256ELj1EN10test_utils4lessELj10EEvPKT_PS2_T2_.has_dyn_sized_stack, 0
	.set _Z16sort_keys_kernelIiLj256ELj1EN10test_utils4lessELj10EEvPKT_PS2_T2_.has_recursion, 0
	.set _Z16sort_keys_kernelIiLj256ELj1EN10test_utils4lessELj10EEvPKT_PS2_T2_.has_indirect_call, 0
	.section	.AMDGPU.csdata,"",@progbits
; Kernel info:
; codeLenInByte = 2508
; TotalNumSgprs: 32
; NumVgprs: 62
; ScratchSize: 0
; MemoryBound: 0
; FloatMode: 240
; IeeeMode: 1
; LDSByteSize: 1028 bytes/workgroup (compile time only)
; SGPRBlocks: 3
; VGPRBlocks: 15
; NumSGPRsForWavesPerEU: 32
; NumVGPRsForWavesPerEU: 62
; Occupancy: 4
; WaveLimiterHint : 0
; COMPUTE_PGM_RSRC2:SCRATCH_EN: 0
; COMPUTE_PGM_RSRC2:USER_SGPR: 6
; COMPUTE_PGM_RSRC2:TRAP_HANDLER: 0
; COMPUTE_PGM_RSRC2:TGID_X_EN: 1
; COMPUTE_PGM_RSRC2:TGID_Y_EN: 0
; COMPUTE_PGM_RSRC2:TGID_Z_EN: 0
; COMPUTE_PGM_RSRC2:TIDIG_COMP_CNT: 0
	.section	.text._Z17sort_pairs_kernelIiLj256ELj1EN10test_utils4lessELj10EEvPKT_PS2_T2_,"axG",@progbits,_Z17sort_pairs_kernelIiLj256ELj1EN10test_utils4lessELj10EEvPKT_PS2_T2_,comdat
	.protected	_Z17sort_pairs_kernelIiLj256ELj1EN10test_utils4lessELj10EEvPKT_PS2_T2_ ; -- Begin function _Z17sort_pairs_kernelIiLj256ELj1EN10test_utils4lessELj10EEvPKT_PS2_T2_
	.globl	_Z17sort_pairs_kernelIiLj256ELj1EN10test_utils4lessELj10EEvPKT_PS2_T2_
	.p2align	8
	.type	_Z17sort_pairs_kernelIiLj256ELj1EN10test_utils4lessELj10EEvPKT_PS2_T2_,@function
_Z17sort_pairs_kernelIiLj256ELj1EN10test_utils4lessELj10EEvPKT_PS2_T2_: ; @_Z17sort_pairs_kernelIiLj256ELj1EN10test_utils4lessELj10EEvPKT_PS2_T2_
; %bb.0:
	s_load_dwordx4 s[20:23], s[4:5], 0x0
	s_lshl_b32 s26, s6, 8
	s_mov_b32 s27, 0
	s_lshl_b64 s[24:25], s[26:27], 2
	v_lshlrev_b32_e32 v13, 2, v0
	s_waitcnt lgkmcnt(0)
	s_add_u32 s0, s20, s24
	s_addc_u32 s1, s21, s25
	global_load_dword v62, v13, s[0:1]
	v_and_b32_e32 v1, 0xfc, v0
	v_and_b32_e32 v4, 0xf8, v0
	;; [unrolled: 1-line block ×6, first 2 shown]
	v_or_b32_e32 v2, 2, v1
	v_add_u32_e32 v3, 4, v1
	v_or_b32_e32 v5, 4, v4
	v_add_u32_e32 v6, 8, v4
	;; [unrolled: 2-line block ×6, first 2 shown]
	v_and_b32_e32 v42, 3, v0
	v_sub_u32_e32 v24, v3, v2
	v_and_b32_e32 v44, 7, v0
	v_sub_u32_e32 v26, v6, v5
	;; [unrolled: 2-line block ×7, first 2 shown]
	v_sub_u32_e32 v27, v44, v26
	v_sub_u32_e32 v29, v46, v28
	;; [unrolled: 1-line block ×5, first 2 shown]
	v_and_b32_e32 v40, 1, v0
	v_or_b32_e32 v22, 1, v21
	v_cmp_ge_i32_e64 s[0:1], v42, v24
	v_cmp_ge_i32_e64 s[2:3], v44, v26
	;; [unrolled: 1-line block ×6, first 2 shown]
	v_add_u32_e32 v20, -1, v40
	v_cmp_lt_i32_e32 vcc, 0, v40
	v_sub_u32_e32 v23, v22, v21
	v_cndmask_b32_e64 v24, 0, v25, s[0:1]
	v_sub_u32_e32 v25, v2, v1
	v_cndmask_b32_e64 v26, 0, v27, s[2:3]
	;; [unrolled: 2-line block ×6, first 2 shown]
	v_sub_u32_e32 v35, v18, v17
	v_mov_b32_e32 v36, 0x80
	v_cndmask_b32_e32 v20, 0, v20, vcc
	v_min_i32_e32 v23, v40, v23
	v_min_i32_e32 v25, v42, v25
	;; [unrolled: 1-line block ×7, first 2 shown]
	v_sub_u32_e64 v37, v0, v36 clamp
	v_min_i32_e32 v38, 0x80, v0
	v_add_u32_e32 v39, v22, v40
	v_lshlrev_b32_e32 v40, 2, v40
	v_add_u32_e32 v41, v2, v42
	v_lshlrev_b32_e32 v42, 2, v42
	;; [unrolled: 2-line block ×7, first 2 shown]
	v_cmp_lt_i32_e32 vcc, v20, v23
	v_cmp_lt_i32_e64 s[0:1], v24, v25
	v_cmp_lt_i32_e64 s[2:3], v26, v27
	;; [unrolled: 1-line block ×7, first 2 shown]
	v_lshl_add_u32 v40, v22, 2, v40
	v_lshl_add_u32 v42, v2, 2, v42
	;; [unrolled: 1-line block ×7, first 2 shown]
	s_movk_i32 s20, 0x100
	s_waitcnt vmcnt(0)
	v_add_u32_e32 v63, 1, v62
	v_lshlrev_b32_e32 v53, 2, v21
	v_lshlrev_b32_e32 v54, 2, v1
	;; [unrolled: 1-line block ×7, first 2 shown]
	v_add_u32_e32 v60, 0x80, v0
	v_add_u32_e32 v61, 0x200, v13
	s_branch .LBB21_2
.LBB21_1:                               ;   in Loop: Header=BB21_2 Depth=1
	s_or_b64 exec, exec, s[16:17]
	v_sub_u32_e32 v65, v60, v64
	v_lshlrev_b32_e32 v62, 2, v64
	v_lshlrev_b32_e32 v66, 2, v65
	ds_read_b32 v62, v62
	ds_read_b32 v66, v66
	v_cmp_le_i32_e64 s[14:15], v36, v64
	v_cmp_gt_i32_e64 s[16:17], s20, v65
	s_waitcnt lgkmcnt(0)
	s_barrier
	v_cmp_lt_i32_e64 s[18:19], v66, v62
	s_or_b64 s[14:15], s[14:15], s[18:19]
	s_and_b64 s[14:15], s[16:17], s[14:15]
	v_cndmask_b32_e64 v64, v64, v65, s[14:15]
	ds_write_b32 v13, v63
	v_lshlrev_b32_e32 v63, 2, v64
	s_waitcnt lgkmcnt(0)
	s_barrier
	ds_read_b32 v63, v63
	s_add_i32 s27, s27, 1
	v_cndmask_b32_e64 v62, v62, v66, s[14:15]
	s_cmp_eq_u32 s27, 10
	s_cbranch_scc1 .LBB21_34
.LBB21_2:                               ; =>This Loop Header: Depth=1
                                        ;     Child Loop BB21_4 Depth 2
                                        ;     Child Loop BB21_8 Depth 2
	;; [unrolled: 1-line block ×8, first 2 shown]
	s_waitcnt lgkmcnt(0)
	s_barrier
	ds_write_b32 v13, v62
	v_mov_b32_e32 v62, v20
	s_waitcnt lgkmcnt(0)
	s_barrier
	s_and_saveexec_b64 s[16:17], vcc
	s_cbranch_execz .LBB21_6
; %bb.3:                                ;   in Loop: Header=BB21_2 Depth=1
	s_mov_b64 s[18:19], 0
	v_mov_b32_e32 v62, v20
	v_mov_b32_e32 v64, v23
.LBB21_4:                               ;   Parent Loop BB21_2 Depth=1
                                        ; =>  This Inner Loop Header: Depth=2
	v_sub_u32_e32 v65, v64, v62
	v_lshrrev_b32_e32 v65, 1, v65
	v_add_u32_e32 v65, v65, v62
	v_not_b32_e32 v67, v65
	v_lshl_add_u32 v66, v65, 2, v53
	v_lshl_add_u32 v67, v67, 2, v40
	ds_read_b32 v66, v66
	ds_read_b32 v67, v67
	v_add_u32_e32 v68, 1, v65
	s_waitcnt lgkmcnt(0)
	v_cmp_lt_i32_e64 s[14:15], v67, v66
	v_cndmask_b32_e64 v64, v64, v65, s[14:15]
	v_cndmask_b32_e64 v62, v68, v62, s[14:15]
	v_cmp_ge_i32_e64 s[14:15], v62, v64
	s_or_b64 s[18:19], s[14:15], s[18:19]
	s_andn2_b64 exec, exec, s[18:19]
	s_cbranch_execnz .LBB21_4
; %bb.5:                                ;   in Loop: Header=BB21_2 Depth=1
	s_or_b64 exec, exec, s[18:19]
.LBB21_6:                               ;   in Loop: Header=BB21_2 Depth=1
	s_or_b64 exec, exec, s[16:17]
	v_sub_u32_e32 v64, v39, v62
	v_lshl_add_u32 v65, v62, 2, v53
	v_lshlrev_b32_e32 v66, 2, v64
	ds_read_b32 v65, v65
	ds_read_b32 v66, v66
	v_add_u32_e32 v62, v62, v21
	v_cmp_le_i32_e64 s[16:17], v22, v62
	v_cmp_ge_i32_e64 s[14:15], v22, v64
	s_waitcnt lgkmcnt(0)
	v_cmp_lt_i32_e64 s[18:19], v66, v65
	s_or_b64 s[16:17], s[16:17], s[18:19]
	s_and_b64 s[14:15], s[14:15], s[16:17]
	v_cndmask_b32_e64 v62, v62, v64, s[14:15]
	v_lshlrev_b32_e32 v62, 2, v62
	s_barrier
	ds_write_b32 v13, v63
	s_waitcnt lgkmcnt(0)
	s_barrier
	ds_read_b32 v62, v62
	v_cndmask_b32_e64 v65, v65, v66, s[14:15]
	v_mov_b32_e32 v63, v24
	s_waitcnt lgkmcnt(0)
	s_barrier
	ds_write_b32 v13, v65
	s_waitcnt lgkmcnt(0)
	s_barrier
	s_and_saveexec_b64 s[16:17], s[0:1]
	s_cbranch_execz .LBB21_10
; %bb.7:                                ;   in Loop: Header=BB21_2 Depth=1
	s_mov_b64 s[18:19], 0
	v_mov_b32_e32 v63, v24
	v_mov_b32_e32 v64, v25
.LBB21_8:                               ;   Parent Loop BB21_2 Depth=1
                                        ; =>  This Inner Loop Header: Depth=2
	v_sub_u32_e32 v65, v64, v63
	v_lshrrev_b32_e32 v65, 1, v65
	v_add_u32_e32 v65, v65, v63
	v_not_b32_e32 v67, v65
	v_lshl_add_u32 v66, v65, 2, v54
	v_lshl_add_u32 v67, v67, 2, v42
	ds_read_b32 v66, v66
	ds_read_b32 v67, v67
	v_add_u32_e32 v68, 1, v65
	s_waitcnt lgkmcnt(0)
	v_cmp_lt_i32_e64 s[14:15], v67, v66
	v_cndmask_b32_e64 v64, v64, v65, s[14:15]
	v_cndmask_b32_e64 v63, v68, v63, s[14:15]
	v_cmp_ge_i32_e64 s[14:15], v63, v64
	s_or_b64 s[18:19], s[14:15], s[18:19]
	s_andn2_b64 exec, exec, s[18:19]
	s_cbranch_execnz .LBB21_8
; %bb.9:                                ;   in Loop: Header=BB21_2 Depth=1
	s_or_b64 exec, exec, s[18:19]
.LBB21_10:                              ;   in Loop: Header=BB21_2 Depth=1
	s_or_b64 exec, exec, s[16:17]
	v_sub_u32_e32 v64, v41, v63
	v_lshl_add_u32 v65, v63, 2, v54
	v_lshlrev_b32_e32 v66, 2, v64
	ds_read_b32 v65, v65
	ds_read_b32 v66, v66
	v_add_u32_e32 v63, v63, v1
	v_cmp_le_i32_e64 s[16:17], v2, v63
	v_cmp_gt_i32_e64 s[14:15], v3, v64
	s_waitcnt lgkmcnt(0)
	v_cmp_lt_i32_e64 s[18:19], v66, v65
	s_or_b64 s[16:17], s[16:17], s[18:19]
	s_and_b64 s[14:15], s[14:15], s[16:17]
	v_cndmask_b32_e64 v63, v63, v64, s[14:15]
	s_barrier
	ds_write_b32 v13, v62
	v_lshlrev_b32_e32 v62, 2, v63
	s_waitcnt lgkmcnt(0)
	s_barrier
	ds_read_b32 v62, v62
	v_cndmask_b32_e64 v65, v65, v66, s[14:15]
	v_mov_b32_e32 v63, v26
	s_waitcnt lgkmcnt(0)
	s_barrier
	ds_write_b32 v13, v65
	s_waitcnt lgkmcnt(0)
	s_barrier
	s_and_saveexec_b64 s[16:17], s[2:3]
	s_cbranch_execz .LBB21_14
; %bb.11:                               ;   in Loop: Header=BB21_2 Depth=1
	s_mov_b64 s[18:19], 0
	v_mov_b32_e32 v63, v26
	v_mov_b32_e32 v64, v27
.LBB21_12:                              ;   Parent Loop BB21_2 Depth=1
                                        ; =>  This Inner Loop Header: Depth=2
	v_sub_u32_e32 v65, v64, v63
	v_lshrrev_b32_e32 v65, 1, v65
	v_add_u32_e32 v65, v65, v63
	v_not_b32_e32 v67, v65
	v_lshl_add_u32 v66, v65, 2, v55
	v_lshl_add_u32 v67, v67, 2, v44
	ds_read_b32 v66, v66
	ds_read_b32 v67, v67
	v_add_u32_e32 v68, 1, v65
	s_waitcnt lgkmcnt(0)
	v_cmp_lt_i32_e64 s[14:15], v67, v66
	v_cndmask_b32_e64 v64, v64, v65, s[14:15]
	v_cndmask_b32_e64 v63, v68, v63, s[14:15]
	v_cmp_ge_i32_e64 s[14:15], v63, v64
	s_or_b64 s[18:19], s[14:15], s[18:19]
	s_andn2_b64 exec, exec, s[18:19]
	s_cbranch_execnz .LBB21_12
; %bb.13:                               ;   in Loop: Header=BB21_2 Depth=1
	s_or_b64 exec, exec, s[18:19]
.LBB21_14:                              ;   in Loop: Header=BB21_2 Depth=1
	s_or_b64 exec, exec, s[16:17]
	v_sub_u32_e32 v64, v43, v63
	v_lshl_add_u32 v65, v63, 2, v55
	v_lshlrev_b32_e32 v66, 2, v64
	ds_read_b32 v65, v65
	ds_read_b32 v66, v66
	v_add_u32_e32 v63, v63, v4
	v_cmp_le_i32_e64 s[16:17], v5, v63
	v_cmp_gt_i32_e64 s[14:15], v6, v64
	s_waitcnt lgkmcnt(0)
	v_cmp_lt_i32_e64 s[18:19], v66, v65
	s_or_b64 s[16:17], s[16:17], s[18:19]
	s_and_b64 s[14:15], s[14:15], s[16:17]
	v_cndmask_b32_e64 v63, v63, v64, s[14:15]
	s_barrier
	ds_write_b32 v13, v62
	v_lshlrev_b32_e32 v62, 2, v63
	s_waitcnt lgkmcnt(0)
	s_barrier
	ds_read_b32 v62, v62
	v_cndmask_b32_e64 v65, v65, v66, s[14:15]
	v_mov_b32_e32 v63, v28
	s_waitcnt lgkmcnt(0)
	s_barrier
	ds_write_b32 v13, v65
	s_waitcnt lgkmcnt(0)
	s_barrier
	s_and_saveexec_b64 s[16:17], s[4:5]
	s_cbranch_execz .LBB21_18
; %bb.15:                               ;   in Loop: Header=BB21_2 Depth=1
	s_mov_b64 s[18:19], 0
	v_mov_b32_e32 v63, v28
	v_mov_b32_e32 v64, v29
.LBB21_16:                              ;   Parent Loop BB21_2 Depth=1
                                        ; =>  This Inner Loop Header: Depth=2
	v_sub_u32_e32 v65, v64, v63
	v_lshrrev_b32_e32 v65, 1, v65
	v_add_u32_e32 v65, v65, v63
	v_not_b32_e32 v67, v65
	v_lshl_add_u32 v66, v65, 2, v56
	v_lshl_add_u32 v67, v67, 2, v46
	ds_read_b32 v66, v66
	ds_read_b32 v67, v67
	v_add_u32_e32 v68, 1, v65
	s_waitcnt lgkmcnt(0)
	v_cmp_lt_i32_e64 s[14:15], v67, v66
	v_cndmask_b32_e64 v64, v64, v65, s[14:15]
	v_cndmask_b32_e64 v63, v68, v63, s[14:15]
	v_cmp_ge_i32_e64 s[14:15], v63, v64
	s_or_b64 s[18:19], s[14:15], s[18:19]
	s_andn2_b64 exec, exec, s[18:19]
	s_cbranch_execnz .LBB21_16
; %bb.17:                               ;   in Loop: Header=BB21_2 Depth=1
	s_or_b64 exec, exec, s[18:19]
.LBB21_18:                              ;   in Loop: Header=BB21_2 Depth=1
	;; [unrolled: 55-line block ×5, first 2 shown]
	s_or_b64 exec, exec, s[16:17]
	v_sub_u32_e32 v64, v51, v63
	v_lshl_add_u32 v65, v63, 2, v59
	v_lshlrev_b32_e32 v66, 2, v64
	ds_read_b32 v65, v65
	ds_read_b32 v66, v66
	v_add_u32_e32 v63, v63, v17
	v_cmp_le_i32_e64 s[16:17], v18, v63
	v_cmp_gt_i32_e64 s[14:15], v19, v64
	s_waitcnt lgkmcnt(0)
	v_cmp_lt_i32_e64 s[18:19], v66, v65
	s_or_b64 s[16:17], s[16:17], s[18:19]
	s_and_b64 s[14:15], s[14:15], s[16:17]
	v_cndmask_b32_e64 v63, v63, v64, s[14:15]
	s_barrier
	ds_write_b32 v13, v62
	v_lshlrev_b32_e32 v62, 2, v63
	s_waitcnt lgkmcnt(0)
	s_barrier
	ds_read_b32 v63, v62
	v_cndmask_b32_e64 v65, v65, v66, s[14:15]
	v_mov_b32_e32 v64, v37
	s_waitcnt lgkmcnt(0)
	s_barrier
	ds_write_b32 v13, v65
	s_waitcnt lgkmcnt(0)
	s_barrier
	s_and_saveexec_b64 s[16:17], s[12:13]
	s_cbranch_execz .LBB21_1
; %bb.31:                               ;   in Loop: Header=BB21_2 Depth=1
	s_mov_b64 s[18:19], 0
	v_mov_b32_e32 v64, v37
	v_mov_b32_e32 v62, v38
.LBB21_32:                              ;   Parent Loop BB21_2 Depth=1
                                        ; =>  This Inner Loop Header: Depth=2
	v_sub_u32_e32 v65, v62, v64
	v_lshrrev_b32_e32 v65, 1, v65
	v_add_u32_e32 v65, v65, v64
	v_not_b32_e32 v67, v65
	v_lshlrev_b32_e32 v66, 2, v65
	v_lshl_add_u32 v67, v67, 2, v61
	ds_read_b32 v66, v66
	ds_read_b32 v67, v67
	v_add_u32_e32 v68, 1, v65
	s_waitcnt lgkmcnt(0)
	v_cmp_lt_i32_e64 s[14:15], v67, v66
	v_cndmask_b32_e64 v62, v62, v65, s[14:15]
	v_cndmask_b32_e64 v64, v68, v64, s[14:15]
	v_cmp_ge_i32_e64 s[14:15], v64, v62
	s_or_b64 s[18:19], s[14:15], s[18:19]
	s_andn2_b64 exec, exec, s[18:19]
	s_cbranch_execnz .LBB21_32
; %bb.33:                               ;   in Loop: Header=BB21_2 Depth=1
	s_or_b64 exec, exec, s[18:19]
	s_branch .LBB21_1
.LBB21_34:
	s_add_u32 s0, s22, s24
	s_waitcnt lgkmcnt(0)
	v_add_u32_e32 v1, v62, v63
	s_addc_u32 s1, s23, s25
	v_lshlrev_b32_e32 v0, 2, v0
	global_store_dword v0, v1, s[0:1]
	s_endpgm
	.section	.rodata,"a",@progbits
	.p2align	6, 0x0
	.amdhsa_kernel _Z17sort_pairs_kernelIiLj256ELj1EN10test_utils4lessELj10EEvPKT_PS2_T2_
		.amdhsa_group_segment_fixed_size 1028
		.amdhsa_private_segment_fixed_size 0
		.amdhsa_kernarg_size 20
		.amdhsa_user_sgpr_count 6
		.amdhsa_user_sgpr_private_segment_buffer 1
		.amdhsa_user_sgpr_dispatch_ptr 0
		.amdhsa_user_sgpr_queue_ptr 0
		.amdhsa_user_sgpr_kernarg_segment_ptr 1
		.amdhsa_user_sgpr_dispatch_id 0
		.amdhsa_user_sgpr_flat_scratch_init 0
		.amdhsa_user_sgpr_private_segment_size 0
		.amdhsa_uses_dynamic_stack 0
		.amdhsa_system_sgpr_private_segment_wavefront_offset 0
		.amdhsa_system_sgpr_workgroup_id_x 1
		.amdhsa_system_sgpr_workgroup_id_y 0
		.amdhsa_system_sgpr_workgroup_id_z 0
		.amdhsa_system_sgpr_workgroup_info 0
		.amdhsa_system_vgpr_workitem_id 0
		.amdhsa_next_free_vgpr 69
		.amdhsa_next_free_sgpr 28
		.amdhsa_reserve_vcc 1
		.amdhsa_reserve_flat_scratch 0
		.amdhsa_float_round_mode_32 0
		.amdhsa_float_round_mode_16_64 0
		.amdhsa_float_denorm_mode_32 3
		.amdhsa_float_denorm_mode_16_64 3
		.amdhsa_dx10_clamp 1
		.amdhsa_ieee_mode 1
		.amdhsa_fp16_overflow 0
		.amdhsa_exception_fp_ieee_invalid_op 0
		.amdhsa_exception_fp_denorm_src 0
		.amdhsa_exception_fp_ieee_div_zero 0
		.amdhsa_exception_fp_ieee_overflow 0
		.amdhsa_exception_fp_ieee_underflow 0
		.amdhsa_exception_fp_ieee_inexact 0
		.amdhsa_exception_int_div_zero 0
	.end_amdhsa_kernel
	.section	.text._Z17sort_pairs_kernelIiLj256ELj1EN10test_utils4lessELj10EEvPKT_PS2_T2_,"axG",@progbits,_Z17sort_pairs_kernelIiLj256ELj1EN10test_utils4lessELj10EEvPKT_PS2_T2_,comdat
.Lfunc_end21:
	.size	_Z17sort_pairs_kernelIiLj256ELj1EN10test_utils4lessELj10EEvPKT_PS2_T2_, .Lfunc_end21-_Z17sort_pairs_kernelIiLj256ELj1EN10test_utils4lessELj10EEvPKT_PS2_T2_
                                        ; -- End function
	.set _Z17sort_pairs_kernelIiLj256ELj1EN10test_utils4lessELj10EEvPKT_PS2_T2_.num_vgpr, 69
	.set _Z17sort_pairs_kernelIiLj256ELj1EN10test_utils4lessELj10EEvPKT_PS2_T2_.num_agpr, 0
	.set _Z17sort_pairs_kernelIiLj256ELj1EN10test_utils4lessELj10EEvPKT_PS2_T2_.numbered_sgpr, 28
	.set _Z17sort_pairs_kernelIiLj256ELj1EN10test_utils4lessELj10EEvPKT_PS2_T2_.num_named_barrier, 0
	.set _Z17sort_pairs_kernelIiLj256ELj1EN10test_utils4lessELj10EEvPKT_PS2_T2_.private_seg_size, 0
	.set _Z17sort_pairs_kernelIiLj256ELj1EN10test_utils4lessELj10EEvPKT_PS2_T2_.uses_vcc, 1
	.set _Z17sort_pairs_kernelIiLj256ELj1EN10test_utils4lessELj10EEvPKT_PS2_T2_.uses_flat_scratch, 0
	.set _Z17sort_pairs_kernelIiLj256ELj1EN10test_utils4lessELj10EEvPKT_PS2_T2_.has_dyn_sized_stack, 0
	.set _Z17sort_pairs_kernelIiLj256ELj1EN10test_utils4lessELj10EEvPKT_PS2_T2_.has_recursion, 0
	.set _Z17sort_pairs_kernelIiLj256ELj1EN10test_utils4lessELj10EEvPKT_PS2_T2_.has_indirect_call, 0
	.section	.AMDGPU.csdata,"",@progbits
; Kernel info:
; codeLenInByte = 2900
; TotalNumSgprs: 32
; NumVgprs: 69
; ScratchSize: 0
; MemoryBound: 0
; FloatMode: 240
; IeeeMode: 1
; LDSByteSize: 1028 bytes/workgroup (compile time only)
; SGPRBlocks: 3
; VGPRBlocks: 17
; NumSGPRsForWavesPerEU: 32
; NumVGPRsForWavesPerEU: 69
; Occupancy: 3
; WaveLimiterHint : 0
; COMPUTE_PGM_RSRC2:SCRATCH_EN: 0
; COMPUTE_PGM_RSRC2:USER_SGPR: 6
; COMPUTE_PGM_RSRC2:TRAP_HANDLER: 0
; COMPUTE_PGM_RSRC2:TGID_X_EN: 1
; COMPUTE_PGM_RSRC2:TGID_Y_EN: 0
; COMPUTE_PGM_RSRC2:TGID_Z_EN: 0
; COMPUTE_PGM_RSRC2:TIDIG_COMP_CNT: 0
	.section	.text._Z16sort_keys_kernelIiLj256ELj2EN10test_utils4lessELj10EEvPKT_PS2_T2_,"axG",@progbits,_Z16sort_keys_kernelIiLj256ELj2EN10test_utils4lessELj10EEvPKT_PS2_T2_,comdat
	.protected	_Z16sort_keys_kernelIiLj256ELj2EN10test_utils4lessELj10EEvPKT_PS2_T2_ ; -- Begin function _Z16sort_keys_kernelIiLj256ELj2EN10test_utils4lessELj10EEvPKT_PS2_T2_
	.globl	_Z16sort_keys_kernelIiLj256ELj2EN10test_utils4lessELj10EEvPKT_PS2_T2_
	.p2align	8
	.type	_Z16sort_keys_kernelIiLj256ELj2EN10test_utils4lessELj10EEvPKT_PS2_T2_,@function
_Z16sort_keys_kernelIiLj256ELj2EN10test_utils4lessELj10EEvPKT_PS2_T2_: ; @_Z16sort_keys_kernelIiLj256ELj2EN10test_utils4lessELj10EEvPKT_PS2_T2_
; %bb.0:
	s_load_dwordx4 s[20:23], s[4:5], 0x0
	s_lshl_b32 s26, s6, 9
	s_mov_b32 s27, 0
	s_lshl_b64 s[24:25], s[26:27], 2
	v_lshlrev_b32_e32 v16, 2, v0
	s_waitcnt lgkmcnt(0)
	s_add_u32 s0, s20, s24
	s_addc_u32 s1, s21, s25
	global_load_dword v63, v16, s[0:1]
	global_load_dword v64, v16, s[0:1] offset:1024
	v_lshlrev_b32_e32 v39, 1, v0
	v_and_b32_e32 v1, 0x1fc, v39
	v_and_b32_e32 v4, 0x1f8, v39
	;; [unrolled: 1-line block ×7, first 2 shown]
	v_or_b32_e32 v2, 2, v1
	v_add_u32_e32 v3, 4, v1
	v_or_b32_e32 v5, 4, v4
	v_add_u32_e32 v6, 8, v4
	;; [unrolled: 2-line block ×7, first 2 shown]
	v_and_b32_e32 v41, 2, v39
	v_sub_u32_e32 v22, v3, v2
	v_and_b32_e32 v43, 6, v39
	v_sub_u32_e32 v24, v6, v5
	;; [unrolled: 2-line block ×7, first 2 shown]
	v_sub_u32_e32 v23, v41, v22
	v_sub_u32_e32 v25, v43, v24
	;; [unrolled: 1-line block ×7, first 2 shown]
	v_cmp_ge_i32_e32 vcc, v41, v22
	v_cmp_ge_i32_e64 s[0:1], v43, v24
	v_cmp_ge_i32_e64 s[2:3], v45, v26
	;; [unrolled: 1-line block ×6, first 2 shown]
	v_cndmask_b32_e32 v22, 0, v23, vcc
	v_sub_u32_e32 v23, v2, v1
	v_cndmask_b32_e64 v24, 0, v25, s[0:1]
	v_sub_u32_e32 v25, v5, v4
	v_cndmask_b32_e64 v26, 0, v27, s[2:3]
	;; [unrolled: 2-line block ×6, first 2 shown]
	v_sub_u32_e32 v35, v20, v19
	v_mov_b32_e32 v36, 0x100
	v_min_i32_e32 v23, v41, v23
	v_min_i32_e32 v25, v43, v25
	;; [unrolled: 1-line block ×7, first 2 shown]
	v_sub_u32_e64 v37, v39, v36 clamp
	v_min_i32_e32 v38, 0x100, v39
	v_add_u32_e32 v40, v2, v41
	v_lshlrev_b32_e32 v41, 2, v41
	v_add_u32_e32 v42, v5, v43
	v_lshlrev_b32_e32 v43, 2, v43
	;; [unrolled: 2-line block ×7, first 2 shown]
	v_lshlrev_b32_e32 v54, 3, v0
	v_cmp_lt_i32_e32 vcc, v22, v23
	v_cmp_lt_i32_e64 s[0:1], v24, v25
	v_cmp_lt_i32_e64 s[2:3], v26, v27
	;; [unrolled: 1-line block ×7, first 2 shown]
	v_add_u32_e32 v39, 0x100, v39
	v_lshl_add_u32 v41, v2, 2, v41
	v_lshl_add_u32 v43, v5, 2, v43
	;; [unrolled: 1-line block ×7, first 2 shown]
	s_movk_i32 s20, 0x200
	v_lshlrev_b32_e32 v55, 2, v1
	v_lshlrev_b32_e32 v56, 2, v4
	v_lshlrev_b32_e32 v57, 2, v7
	v_lshlrev_b32_e32 v58, 2, v10
	v_lshlrev_b32_e32 v59, 2, v13
	v_lshlrev_b32_e32 v60, 2, v16
	v_lshlrev_b32_e32 v61, 2, v19
	v_add_u32_e32 v62, 0x400, v54
	s_branch .LBB22_2
.LBB22_1:                               ;   in Loop: Header=BB22_2 Depth=1
	s_or_b64 exec, exec, s[16:17]
	v_cmp_ge_i32_e64 s[16:17], v64, v36
	s_waitcnt lgkmcnt(0)
	v_cmp_lt_i32_e64 s[18:19], v69, v67
	v_cndmask_b32_e64 v63, v63, v66, s[14:15]
	v_cmp_gt_i32_e64 s[14:15], s20, v65
	s_or_b64 s[16:17], s[16:17], s[18:19]
	s_and_b64 s[14:15], s[14:15], s[16:17]
	s_add_i32 s27, s27, 1
	s_cmp_eq_u32 s27, 10
	v_cndmask_b32_e64 v64, v67, v69, s[14:15]
	s_cbranch_scc1 .LBB22_66
.LBB22_2:                               ; =>This Loop Header: Depth=1
                                        ;     Child Loop BB22_4 Depth 2
                                        ;     Child Loop BB22_12 Depth 2
	;; [unrolled: 1-line block ×8, first 2 shown]
	s_waitcnt vmcnt(0)
	v_cmp_lt_i32_e64 s[14:15], v64, v63
	v_cndmask_b32_e64 v65, v64, v63, s[14:15]
	v_cndmask_b32_e64 v63, v63, v64, s[14:15]
	v_mov_b32_e32 v64, v22
	s_barrier
	ds_write2_b32 v54, v63, v65 offset1:1
	s_waitcnt lgkmcnt(0)
	s_barrier
	s_and_saveexec_b64 s[16:17], vcc
	s_cbranch_execz .LBB22_6
; %bb.3:                                ;   in Loop: Header=BB22_2 Depth=1
	s_mov_b64 s[18:19], 0
	v_mov_b32_e32 v64, v22
	v_mov_b32_e32 v63, v23
.LBB22_4:                               ;   Parent Loop BB22_2 Depth=1
                                        ; =>  This Inner Loop Header: Depth=2
	v_sub_u32_e32 v65, v63, v64
	v_lshrrev_b32_e32 v65, 1, v65
	v_add_u32_e32 v65, v65, v64
	v_not_b32_e32 v67, v65
	v_lshl_add_u32 v66, v65, 2, v55
	v_lshl_add_u32 v67, v67, 2, v41
	ds_read_b32 v66, v66
	ds_read_b32 v67, v67
	v_add_u32_e32 v68, 1, v65
	s_waitcnt lgkmcnt(0)
	v_cmp_lt_i32_e64 s[14:15], v67, v66
	v_cndmask_b32_e64 v63, v63, v65, s[14:15]
	v_cndmask_b32_e64 v64, v68, v64, s[14:15]
	v_cmp_ge_i32_e64 s[14:15], v64, v63
	s_or_b64 s[18:19], s[14:15], s[18:19]
	s_andn2_b64 exec, exec, s[18:19]
	s_cbranch_execnz .LBB22_4
; %bb.5:                                ;   in Loop: Header=BB22_2 Depth=1
	s_or_b64 exec, exec, s[18:19]
.LBB22_6:                               ;   in Loop: Header=BB22_2 Depth=1
	s_or_b64 exec, exec, s[16:17]
	v_sub_u32_e32 v63, v40, v64
	v_lshl_add_u32 v69, v64, 2, v55
	v_lshlrev_b32_e32 v68, 2, v63
	ds_read_b32 v65, v69
	ds_read_b32 v66, v68
	v_add_u32_e32 v64, v64, v1
	v_cmp_le_i32_e64 s[16:17], v2, v64
	v_cmp_gt_i32_e64 s[14:15], v3, v63
                                        ; implicit-def: $vgpr67
	s_waitcnt lgkmcnt(0)
	v_cmp_lt_i32_e64 s[18:19], v66, v65
	s_or_b64 s[16:17], s[16:17], s[18:19]
	s_and_b64 s[14:15], s[14:15], s[16:17]
	s_xor_b64 s[16:17], s[14:15], -1
	s_and_saveexec_b64 s[18:19], s[16:17]
	s_xor_b64 s[16:17], exec, s[18:19]
; %bb.7:                                ;   in Loop: Header=BB22_2 Depth=1
	ds_read_b32 v67, v69 offset:4
                                        ; implicit-def: $vgpr68
; %bb.8:                                ;   in Loop: Header=BB22_2 Depth=1
	s_or_saveexec_b64 s[16:17], s[16:17]
	v_mov_b32_e32 v69, v66
	s_xor_b64 exec, exec, s[16:17]
	s_cbranch_execz .LBB22_10
; %bb.9:                                ;   in Loop: Header=BB22_2 Depth=1
	ds_read_b32 v69, v68 offset:4
	s_waitcnt lgkmcnt(1)
	v_mov_b32_e32 v67, v65
.LBB22_10:                              ;   in Loop: Header=BB22_2 Depth=1
	s_or_b64 exec, exec, s[16:17]
	v_add_u32_e32 v68, 1, v64
	v_cndmask_b32_e64 v65, v65, v66, s[14:15]
	v_add_u32_e32 v66, 1, v63
	v_cndmask_b32_e64 v64, v68, v64, s[14:15]
	v_cndmask_b32_e64 v63, v63, v66, s[14:15]
	v_cmp_ge_i32_e64 s[16:17], v64, v2
	s_waitcnt lgkmcnt(0)
	v_cmp_lt_i32_e64 s[18:19], v69, v67
	v_cmp_lt_i32_e64 s[14:15], v63, v3
	s_or_b64 s[16:17], s[16:17], s[18:19]
	s_and_b64 s[14:15], s[14:15], s[16:17]
	v_cndmask_b32_e64 v63, v67, v69, s[14:15]
	s_barrier
	ds_write2_b32 v54, v65, v63 offset1:1
	v_mov_b32_e32 v63, v24
	s_waitcnt lgkmcnt(0)
	s_barrier
	s_and_saveexec_b64 s[16:17], s[0:1]
	s_cbranch_execz .LBB22_14
; %bb.11:                               ;   in Loop: Header=BB22_2 Depth=1
	s_mov_b64 s[18:19], 0
	v_mov_b32_e32 v63, v24
	v_mov_b32_e32 v64, v25
.LBB22_12:                              ;   Parent Loop BB22_2 Depth=1
                                        ; =>  This Inner Loop Header: Depth=2
	v_sub_u32_e32 v65, v64, v63
	v_lshrrev_b32_e32 v65, 1, v65
	v_add_u32_e32 v65, v65, v63
	v_not_b32_e32 v67, v65
	v_lshl_add_u32 v66, v65, 2, v56
	v_lshl_add_u32 v67, v67, 2, v43
	ds_read_b32 v66, v66
	ds_read_b32 v67, v67
	v_add_u32_e32 v68, 1, v65
	s_waitcnt lgkmcnt(0)
	v_cmp_lt_i32_e64 s[14:15], v67, v66
	v_cndmask_b32_e64 v64, v64, v65, s[14:15]
	v_cndmask_b32_e64 v63, v68, v63, s[14:15]
	v_cmp_ge_i32_e64 s[14:15], v63, v64
	s_or_b64 s[18:19], s[14:15], s[18:19]
	s_andn2_b64 exec, exec, s[18:19]
	s_cbranch_execnz .LBB22_12
; %bb.13:                               ;   in Loop: Header=BB22_2 Depth=1
	s_or_b64 exec, exec, s[18:19]
.LBB22_14:                              ;   in Loop: Header=BB22_2 Depth=1
	s_or_b64 exec, exec, s[16:17]
	v_sub_u32_e32 v64, v42, v63
	v_lshl_add_u32 v69, v63, 2, v56
	v_lshlrev_b32_e32 v68, 2, v64
	ds_read_b32 v65, v69
	ds_read_b32 v66, v68
	v_add_u32_e32 v63, v63, v4
	v_cmp_le_i32_e64 s[16:17], v5, v63
	v_cmp_gt_i32_e64 s[14:15], v6, v64
                                        ; implicit-def: $vgpr67
	s_waitcnt lgkmcnt(0)
	v_cmp_lt_i32_e64 s[18:19], v66, v65
	s_or_b64 s[16:17], s[16:17], s[18:19]
	s_and_b64 s[14:15], s[14:15], s[16:17]
	s_xor_b64 s[16:17], s[14:15], -1
	s_and_saveexec_b64 s[18:19], s[16:17]
	s_xor_b64 s[16:17], exec, s[18:19]
; %bb.15:                               ;   in Loop: Header=BB22_2 Depth=1
	ds_read_b32 v67, v69 offset:4
                                        ; implicit-def: $vgpr68
; %bb.16:                               ;   in Loop: Header=BB22_2 Depth=1
	s_or_saveexec_b64 s[16:17], s[16:17]
	v_mov_b32_e32 v69, v66
	s_xor_b64 exec, exec, s[16:17]
	s_cbranch_execz .LBB22_18
; %bb.17:                               ;   in Loop: Header=BB22_2 Depth=1
	ds_read_b32 v69, v68 offset:4
	s_waitcnt lgkmcnt(1)
	v_mov_b32_e32 v67, v65
.LBB22_18:                              ;   in Loop: Header=BB22_2 Depth=1
	s_or_b64 exec, exec, s[16:17]
	v_add_u32_e32 v68, 1, v63
	v_cndmask_b32_e64 v65, v65, v66, s[14:15]
	v_add_u32_e32 v66, 1, v64
	v_cndmask_b32_e64 v63, v68, v63, s[14:15]
	v_cndmask_b32_e64 v64, v64, v66, s[14:15]
	v_cmp_ge_i32_e64 s[16:17], v63, v5
	s_waitcnt lgkmcnt(0)
	v_cmp_lt_i32_e64 s[18:19], v69, v67
	v_cmp_lt_i32_e64 s[14:15], v64, v6
	s_or_b64 s[16:17], s[16:17], s[18:19]
	s_and_b64 s[14:15], s[14:15], s[16:17]
	v_cndmask_b32_e64 v63, v67, v69, s[14:15]
	s_barrier
	ds_write2_b32 v54, v65, v63 offset1:1
	v_mov_b32_e32 v63, v26
	s_waitcnt lgkmcnt(0)
	s_barrier
	s_and_saveexec_b64 s[16:17], s[2:3]
	s_cbranch_execz .LBB22_22
; %bb.19:                               ;   in Loop: Header=BB22_2 Depth=1
	s_mov_b64 s[18:19], 0
	v_mov_b32_e32 v63, v26
	v_mov_b32_e32 v64, v27
.LBB22_20:                              ;   Parent Loop BB22_2 Depth=1
                                        ; =>  This Inner Loop Header: Depth=2
	v_sub_u32_e32 v65, v64, v63
	v_lshrrev_b32_e32 v65, 1, v65
	v_add_u32_e32 v65, v65, v63
	v_not_b32_e32 v67, v65
	v_lshl_add_u32 v66, v65, 2, v57
	v_lshl_add_u32 v67, v67, 2, v45
	ds_read_b32 v66, v66
	ds_read_b32 v67, v67
	v_add_u32_e32 v68, 1, v65
	s_waitcnt lgkmcnt(0)
	v_cmp_lt_i32_e64 s[14:15], v67, v66
	v_cndmask_b32_e64 v64, v64, v65, s[14:15]
	v_cndmask_b32_e64 v63, v68, v63, s[14:15]
	v_cmp_ge_i32_e64 s[14:15], v63, v64
	s_or_b64 s[18:19], s[14:15], s[18:19]
	s_andn2_b64 exec, exec, s[18:19]
	s_cbranch_execnz .LBB22_20
; %bb.21:                               ;   in Loop: Header=BB22_2 Depth=1
	s_or_b64 exec, exec, s[18:19]
.LBB22_22:                              ;   in Loop: Header=BB22_2 Depth=1
	s_or_b64 exec, exec, s[16:17]
	v_sub_u32_e32 v64, v44, v63
	v_lshl_add_u32 v69, v63, 2, v57
	v_lshlrev_b32_e32 v68, 2, v64
	ds_read_b32 v65, v69
	ds_read_b32 v66, v68
	v_add_u32_e32 v63, v63, v7
	v_cmp_le_i32_e64 s[16:17], v8, v63
	v_cmp_gt_i32_e64 s[14:15], v9, v64
                                        ; implicit-def: $vgpr67
	s_waitcnt lgkmcnt(0)
	v_cmp_lt_i32_e64 s[18:19], v66, v65
	s_or_b64 s[16:17], s[16:17], s[18:19]
	s_and_b64 s[14:15], s[14:15], s[16:17]
	s_xor_b64 s[16:17], s[14:15], -1
	s_and_saveexec_b64 s[18:19], s[16:17]
	s_xor_b64 s[16:17], exec, s[18:19]
; %bb.23:                               ;   in Loop: Header=BB22_2 Depth=1
	ds_read_b32 v67, v69 offset:4
                                        ; implicit-def: $vgpr68
; %bb.24:                               ;   in Loop: Header=BB22_2 Depth=1
	s_or_saveexec_b64 s[16:17], s[16:17]
	v_mov_b32_e32 v69, v66
	s_xor_b64 exec, exec, s[16:17]
	s_cbranch_execz .LBB22_26
; %bb.25:                               ;   in Loop: Header=BB22_2 Depth=1
	ds_read_b32 v69, v68 offset:4
	s_waitcnt lgkmcnt(1)
	v_mov_b32_e32 v67, v65
.LBB22_26:                              ;   in Loop: Header=BB22_2 Depth=1
	s_or_b64 exec, exec, s[16:17]
	v_add_u32_e32 v68, 1, v63
	v_cndmask_b32_e64 v65, v65, v66, s[14:15]
	v_add_u32_e32 v66, 1, v64
	v_cndmask_b32_e64 v63, v68, v63, s[14:15]
	v_cndmask_b32_e64 v64, v64, v66, s[14:15]
	v_cmp_ge_i32_e64 s[16:17], v63, v8
	s_waitcnt lgkmcnt(0)
	v_cmp_lt_i32_e64 s[18:19], v69, v67
	v_cmp_lt_i32_e64 s[14:15], v64, v9
	s_or_b64 s[16:17], s[16:17], s[18:19]
	s_and_b64 s[14:15], s[14:15], s[16:17]
	v_cndmask_b32_e64 v63, v67, v69, s[14:15]
	s_barrier
	ds_write2_b32 v54, v65, v63 offset1:1
	v_mov_b32_e32 v63, v28
	s_waitcnt lgkmcnt(0)
	s_barrier
	s_and_saveexec_b64 s[16:17], s[4:5]
	s_cbranch_execz .LBB22_30
; %bb.27:                               ;   in Loop: Header=BB22_2 Depth=1
	s_mov_b64 s[18:19], 0
	v_mov_b32_e32 v63, v28
	v_mov_b32_e32 v64, v29
.LBB22_28:                              ;   Parent Loop BB22_2 Depth=1
                                        ; =>  This Inner Loop Header: Depth=2
	v_sub_u32_e32 v65, v64, v63
	v_lshrrev_b32_e32 v65, 1, v65
	v_add_u32_e32 v65, v65, v63
	v_not_b32_e32 v67, v65
	v_lshl_add_u32 v66, v65, 2, v58
	v_lshl_add_u32 v67, v67, 2, v47
	ds_read_b32 v66, v66
	ds_read_b32 v67, v67
	v_add_u32_e32 v68, 1, v65
	s_waitcnt lgkmcnt(0)
	v_cmp_lt_i32_e64 s[14:15], v67, v66
	v_cndmask_b32_e64 v64, v64, v65, s[14:15]
	v_cndmask_b32_e64 v63, v68, v63, s[14:15]
	v_cmp_ge_i32_e64 s[14:15], v63, v64
	s_or_b64 s[18:19], s[14:15], s[18:19]
	s_andn2_b64 exec, exec, s[18:19]
	s_cbranch_execnz .LBB22_28
; %bb.29:                               ;   in Loop: Header=BB22_2 Depth=1
	s_or_b64 exec, exec, s[18:19]
.LBB22_30:                              ;   in Loop: Header=BB22_2 Depth=1
	s_or_b64 exec, exec, s[16:17]
	v_sub_u32_e32 v64, v46, v63
	v_lshl_add_u32 v69, v63, 2, v58
	v_lshlrev_b32_e32 v68, 2, v64
	ds_read_b32 v65, v69
	ds_read_b32 v66, v68
	v_add_u32_e32 v63, v63, v10
	v_cmp_le_i32_e64 s[16:17], v11, v63
	v_cmp_gt_i32_e64 s[14:15], v12, v64
                                        ; implicit-def: $vgpr67
	s_waitcnt lgkmcnt(0)
	v_cmp_lt_i32_e64 s[18:19], v66, v65
	s_or_b64 s[16:17], s[16:17], s[18:19]
	s_and_b64 s[14:15], s[14:15], s[16:17]
	s_xor_b64 s[16:17], s[14:15], -1
	s_and_saveexec_b64 s[18:19], s[16:17]
	s_xor_b64 s[16:17], exec, s[18:19]
; %bb.31:                               ;   in Loop: Header=BB22_2 Depth=1
	ds_read_b32 v67, v69 offset:4
                                        ; implicit-def: $vgpr68
; %bb.32:                               ;   in Loop: Header=BB22_2 Depth=1
	s_or_saveexec_b64 s[16:17], s[16:17]
	v_mov_b32_e32 v69, v66
	s_xor_b64 exec, exec, s[16:17]
	s_cbranch_execz .LBB22_34
; %bb.33:                               ;   in Loop: Header=BB22_2 Depth=1
	ds_read_b32 v69, v68 offset:4
	s_waitcnt lgkmcnt(1)
	v_mov_b32_e32 v67, v65
.LBB22_34:                              ;   in Loop: Header=BB22_2 Depth=1
	s_or_b64 exec, exec, s[16:17]
	v_add_u32_e32 v68, 1, v63
	v_cndmask_b32_e64 v65, v65, v66, s[14:15]
	v_add_u32_e32 v66, 1, v64
	v_cndmask_b32_e64 v63, v68, v63, s[14:15]
	v_cndmask_b32_e64 v64, v64, v66, s[14:15]
	v_cmp_ge_i32_e64 s[16:17], v63, v11
	s_waitcnt lgkmcnt(0)
	v_cmp_lt_i32_e64 s[18:19], v69, v67
	v_cmp_lt_i32_e64 s[14:15], v64, v12
	s_or_b64 s[16:17], s[16:17], s[18:19]
	s_and_b64 s[14:15], s[14:15], s[16:17]
	v_cndmask_b32_e64 v63, v67, v69, s[14:15]
	s_barrier
	ds_write2_b32 v54, v65, v63 offset1:1
	v_mov_b32_e32 v63, v30
	s_waitcnt lgkmcnt(0)
	s_barrier
	s_and_saveexec_b64 s[16:17], s[6:7]
	s_cbranch_execz .LBB22_38
; %bb.35:                               ;   in Loop: Header=BB22_2 Depth=1
	s_mov_b64 s[18:19], 0
	v_mov_b32_e32 v63, v30
	v_mov_b32_e32 v64, v31
.LBB22_36:                              ;   Parent Loop BB22_2 Depth=1
                                        ; =>  This Inner Loop Header: Depth=2
	v_sub_u32_e32 v65, v64, v63
	v_lshrrev_b32_e32 v65, 1, v65
	v_add_u32_e32 v65, v65, v63
	v_not_b32_e32 v67, v65
	v_lshl_add_u32 v66, v65, 2, v59
	v_lshl_add_u32 v67, v67, 2, v49
	ds_read_b32 v66, v66
	ds_read_b32 v67, v67
	v_add_u32_e32 v68, 1, v65
	s_waitcnt lgkmcnt(0)
	v_cmp_lt_i32_e64 s[14:15], v67, v66
	v_cndmask_b32_e64 v64, v64, v65, s[14:15]
	v_cndmask_b32_e64 v63, v68, v63, s[14:15]
	v_cmp_ge_i32_e64 s[14:15], v63, v64
	s_or_b64 s[18:19], s[14:15], s[18:19]
	s_andn2_b64 exec, exec, s[18:19]
	s_cbranch_execnz .LBB22_36
; %bb.37:                               ;   in Loop: Header=BB22_2 Depth=1
	s_or_b64 exec, exec, s[18:19]
.LBB22_38:                              ;   in Loop: Header=BB22_2 Depth=1
	s_or_b64 exec, exec, s[16:17]
	v_sub_u32_e32 v64, v48, v63
	v_lshl_add_u32 v69, v63, 2, v59
	v_lshlrev_b32_e32 v68, 2, v64
	ds_read_b32 v65, v69
	ds_read_b32 v66, v68
	v_add_u32_e32 v63, v63, v13
	v_cmp_le_i32_e64 s[16:17], v14, v63
	v_cmp_gt_i32_e64 s[14:15], v15, v64
                                        ; implicit-def: $vgpr67
	s_waitcnt lgkmcnt(0)
	v_cmp_lt_i32_e64 s[18:19], v66, v65
	s_or_b64 s[16:17], s[16:17], s[18:19]
	s_and_b64 s[14:15], s[14:15], s[16:17]
	s_xor_b64 s[16:17], s[14:15], -1
	s_and_saveexec_b64 s[18:19], s[16:17]
	s_xor_b64 s[16:17], exec, s[18:19]
; %bb.39:                               ;   in Loop: Header=BB22_2 Depth=1
	ds_read_b32 v67, v69 offset:4
                                        ; implicit-def: $vgpr68
; %bb.40:                               ;   in Loop: Header=BB22_2 Depth=1
	s_or_saveexec_b64 s[16:17], s[16:17]
	v_mov_b32_e32 v69, v66
	s_xor_b64 exec, exec, s[16:17]
	s_cbranch_execz .LBB22_42
; %bb.41:                               ;   in Loop: Header=BB22_2 Depth=1
	ds_read_b32 v69, v68 offset:4
	s_waitcnt lgkmcnt(1)
	v_mov_b32_e32 v67, v65
.LBB22_42:                              ;   in Loop: Header=BB22_2 Depth=1
	s_or_b64 exec, exec, s[16:17]
	v_add_u32_e32 v68, 1, v63
	v_cndmask_b32_e64 v65, v65, v66, s[14:15]
	v_add_u32_e32 v66, 1, v64
	v_cndmask_b32_e64 v63, v68, v63, s[14:15]
	v_cndmask_b32_e64 v64, v64, v66, s[14:15]
	v_cmp_ge_i32_e64 s[16:17], v63, v14
	s_waitcnt lgkmcnt(0)
	v_cmp_lt_i32_e64 s[18:19], v69, v67
	v_cmp_lt_i32_e64 s[14:15], v64, v15
	s_or_b64 s[16:17], s[16:17], s[18:19]
	s_and_b64 s[14:15], s[14:15], s[16:17]
	v_cndmask_b32_e64 v63, v67, v69, s[14:15]
	s_barrier
	ds_write2_b32 v54, v65, v63 offset1:1
	v_mov_b32_e32 v63, v32
	s_waitcnt lgkmcnt(0)
	s_barrier
	s_and_saveexec_b64 s[16:17], s[8:9]
	s_cbranch_execz .LBB22_46
; %bb.43:                               ;   in Loop: Header=BB22_2 Depth=1
	s_mov_b64 s[18:19], 0
	v_mov_b32_e32 v63, v32
	v_mov_b32_e32 v64, v33
.LBB22_44:                              ;   Parent Loop BB22_2 Depth=1
                                        ; =>  This Inner Loop Header: Depth=2
	v_sub_u32_e32 v65, v64, v63
	v_lshrrev_b32_e32 v65, 1, v65
	v_add_u32_e32 v65, v65, v63
	v_not_b32_e32 v67, v65
	v_lshl_add_u32 v66, v65, 2, v60
	v_lshl_add_u32 v67, v67, 2, v51
	ds_read_b32 v66, v66
	ds_read_b32 v67, v67
	v_add_u32_e32 v68, 1, v65
	s_waitcnt lgkmcnt(0)
	v_cmp_lt_i32_e64 s[14:15], v67, v66
	v_cndmask_b32_e64 v64, v64, v65, s[14:15]
	v_cndmask_b32_e64 v63, v68, v63, s[14:15]
	v_cmp_ge_i32_e64 s[14:15], v63, v64
	s_or_b64 s[18:19], s[14:15], s[18:19]
	s_andn2_b64 exec, exec, s[18:19]
	s_cbranch_execnz .LBB22_44
; %bb.45:                               ;   in Loop: Header=BB22_2 Depth=1
	s_or_b64 exec, exec, s[18:19]
.LBB22_46:                              ;   in Loop: Header=BB22_2 Depth=1
	s_or_b64 exec, exec, s[16:17]
	v_sub_u32_e32 v64, v50, v63
	v_lshl_add_u32 v69, v63, 2, v60
	v_lshlrev_b32_e32 v68, 2, v64
	ds_read_b32 v65, v69
	ds_read_b32 v66, v68
	v_add_u32_e32 v63, v63, v16
	v_cmp_le_i32_e64 s[16:17], v17, v63
	v_cmp_gt_i32_e64 s[14:15], v18, v64
                                        ; implicit-def: $vgpr67
	s_waitcnt lgkmcnt(0)
	v_cmp_lt_i32_e64 s[18:19], v66, v65
	s_or_b64 s[16:17], s[16:17], s[18:19]
	s_and_b64 s[14:15], s[14:15], s[16:17]
	s_xor_b64 s[16:17], s[14:15], -1
	s_and_saveexec_b64 s[18:19], s[16:17]
	s_xor_b64 s[16:17], exec, s[18:19]
; %bb.47:                               ;   in Loop: Header=BB22_2 Depth=1
	ds_read_b32 v67, v69 offset:4
                                        ; implicit-def: $vgpr68
; %bb.48:                               ;   in Loop: Header=BB22_2 Depth=1
	s_or_saveexec_b64 s[16:17], s[16:17]
	v_mov_b32_e32 v69, v66
	s_xor_b64 exec, exec, s[16:17]
	s_cbranch_execz .LBB22_50
; %bb.49:                               ;   in Loop: Header=BB22_2 Depth=1
	ds_read_b32 v69, v68 offset:4
	s_waitcnt lgkmcnt(1)
	v_mov_b32_e32 v67, v65
.LBB22_50:                              ;   in Loop: Header=BB22_2 Depth=1
	s_or_b64 exec, exec, s[16:17]
	v_add_u32_e32 v68, 1, v63
	v_cndmask_b32_e64 v65, v65, v66, s[14:15]
	v_add_u32_e32 v66, 1, v64
	v_cndmask_b32_e64 v63, v68, v63, s[14:15]
	v_cndmask_b32_e64 v64, v64, v66, s[14:15]
	v_cmp_ge_i32_e64 s[16:17], v63, v17
	s_waitcnt lgkmcnt(0)
	v_cmp_lt_i32_e64 s[18:19], v69, v67
	v_cmp_lt_i32_e64 s[14:15], v64, v18
	s_or_b64 s[16:17], s[16:17], s[18:19]
	s_and_b64 s[14:15], s[14:15], s[16:17]
	v_cndmask_b32_e64 v63, v67, v69, s[14:15]
	s_barrier
	ds_write2_b32 v54, v65, v63 offset1:1
	v_mov_b32_e32 v63, v34
	s_waitcnt lgkmcnt(0)
	s_barrier
	s_and_saveexec_b64 s[16:17], s[10:11]
	s_cbranch_execz .LBB22_54
; %bb.51:                               ;   in Loop: Header=BB22_2 Depth=1
	s_mov_b64 s[18:19], 0
	v_mov_b32_e32 v63, v34
	v_mov_b32_e32 v64, v35
.LBB22_52:                              ;   Parent Loop BB22_2 Depth=1
                                        ; =>  This Inner Loop Header: Depth=2
	v_sub_u32_e32 v65, v64, v63
	v_lshrrev_b32_e32 v65, 1, v65
	v_add_u32_e32 v65, v65, v63
	v_not_b32_e32 v67, v65
	v_lshl_add_u32 v66, v65, 2, v61
	v_lshl_add_u32 v67, v67, 2, v53
	ds_read_b32 v66, v66
	ds_read_b32 v67, v67
	v_add_u32_e32 v68, 1, v65
	s_waitcnt lgkmcnt(0)
	v_cmp_lt_i32_e64 s[14:15], v67, v66
	v_cndmask_b32_e64 v64, v64, v65, s[14:15]
	v_cndmask_b32_e64 v63, v68, v63, s[14:15]
	v_cmp_ge_i32_e64 s[14:15], v63, v64
	s_or_b64 s[18:19], s[14:15], s[18:19]
	s_andn2_b64 exec, exec, s[18:19]
	s_cbranch_execnz .LBB22_52
; %bb.53:                               ;   in Loop: Header=BB22_2 Depth=1
	s_or_b64 exec, exec, s[18:19]
.LBB22_54:                              ;   in Loop: Header=BB22_2 Depth=1
	s_or_b64 exec, exec, s[16:17]
	v_sub_u32_e32 v64, v52, v63
	v_lshl_add_u32 v69, v63, 2, v61
	v_lshlrev_b32_e32 v68, 2, v64
	ds_read_b32 v65, v69
	ds_read_b32 v66, v68
	v_add_u32_e32 v63, v63, v19
	v_cmp_le_i32_e64 s[16:17], v20, v63
	v_cmp_gt_i32_e64 s[14:15], v21, v64
                                        ; implicit-def: $vgpr67
	s_waitcnt lgkmcnt(0)
	v_cmp_lt_i32_e64 s[18:19], v66, v65
	s_or_b64 s[16:17], s[16:17], s[18:19]
	s_and_b64 s[14:15], s[14:15], s[16:17]
	s_xor_b64 s[16:17], s[14:15], -1
	s_and_saveexec_b64 s[18:19], s[16:17]
	s_xor_b64 s[16:17], exec, s[18:19]
; %bb.55:                               ;   in Loop: Header=BB22_2 Depth=1
	ds_read_b32 v67, v69 offset:4
                                        ; implicit-def: $vgpr68
; %bb.56:                               ;   in Loop: Header=BB22_2 Depth=1
	s_or_saveexec_b64 s[16:17], s[16:17]
	v_mov_b32_e32 v69, v66
	s_xor_b64 exec, exec, s[16:17]
	s_cbranch_execz .LBB22_58
; %bb.57:                               ;   in Loop: Header=BB22_2 Depth=1
	ds_read_b32 v69, v68 offset:4
	s_waitcnt lgkmcnt(1)
	v_mov_b32_e32 v67, v65
.LBB22_58:                              ;   in Loop: Header=BB22_2 Depth=1
	s_or_b64 exec, exec, s[16:17]
	v_add_u32_e32 v68, 1, v63
	v_cndmask_b32_e64 v65, v65, v66, s[14:15]
	v_add_u32_e32 v66, 1, v64
	v_cndmask_b32_e64 v63, v68, v63, s[14:15]
	v_cndmask_b32_e64 v64, v64, v66, s[14:15]
	v_cmp_ge_i32_e64 s[16:17], v63, v20
	s_waitcnt lgkmcnt(0)
	v_cmp_lt_i32_e64 s[18:19], v69, v67
	v_cmp_lt_i32_e64 s[14:15], v64, v21
	s_or_b64 s[16:17], s[16:17], s[18:19]
	s_and_b64 s[14:15], s[14:15], s[16:17]
	v_cndmask_b32_e64 v63, v67, v69, s[14:15]
	v_mov_b32_e32 v64, v37
	s_barrier
	ds_write2_b32 v54, v65, v63 offset1:1
	s_waitcnt lgkmcnt(0)
	s_barrier
	s_and_saveexec_b64 s[16:17], s[12:13]
	s_cbranch_execz .LBB22_62
; %bb.59:                               ;   in Loop: Header=BB22_2 Depth=1
	s_mov_b64 s[18:19], 0
	v_mov_b32_e32 v64, v37
	v_mov_b32_e32 v63, v38
.LBB22_60:                              ;   Parent Loop BB22_2 Depth=1
                                        ; =>  This Inner Loop Header: Depth=2
	v_sub_u32_e32 v65, v63, v64
	v_lshrrev_b32_e32 v65, 1, v65
	v_add_u32_e32 v65, v65, v64
	v_not_b32_e32 v67, v65
	v_lshlrev_b32_e32 v66, 2, v65
	v_lshl_add_u32 v67, v67, 2, v62
	ds_read_b32 v66, v66
	ds_read_b32 v67, v67
	v_add_u32_e32 v68, 1, v65
	s_waitcnt lgkmcnt(0)
	v_cmp_lt_i32_e64 s[14:15], v67, v66
	v_cndmask_b32_e64 v63, v63, v65, s[14:15]
	v_cndmask_b32_e64 v64, v68, v64, s[14:15]
	v_cmp_ge_i32_e64 s[14:15], v64, v63
	s_or_b64 s[18:19], s[14:15], s[18:19]
	s_andn2_b64 exec, exec, s[18:19]
	s_cbranch_execnz .LBB22_60
; %bb.61:                               ;   in Loop: Header=BB22_2 Depth=1
	s_or_b64 exec, exec, s[18:19]
.LBB22_62:                              ;   in Loop: Header=BB22_2 Depth=1
	s_or_b64 exec, exec, s[16:17]
	v_sub_u32_e32 v65, v39, v64
	v_lshlrev_b32_e32 v69, 2, v64
	v_lshlrev_b32_e32 v68, 2, v65
	ds_read_b32 v63, v69
	ds_read_b32 v66, v68
	v_cmp_le_i32_e64 s[16:17], v36, v64
	v_cmp_gt_i32_e64 s[14:15], s20, v65
                                        ; implicit-def: $vgpr67
	s_waitcnt lgkmcnt(0)
	v_cmp_lt_i32_e64 s[18:19], v66, v63
	s_or_b64 s[16:17], s[16:17], s[18:19]
	s_and_b64 s[14:15], s[14:15], s[16:17]
	s_xor_b64 s[16:17], s[14:15], -1
	s_and_saveexec_b64 s[18:19], s[16:17]
	s_xor_b64 s[16:17], exec, s[18:19]
; %bb.63:                               ;   in Loop: Header=BB22_2 Depth=1
	ds_read_b32 v67, v69 offset:4
	v_add_u32_e32 v64, 1, v64
                                        ; implicit-def: $vgpr68
; %bb.64:                               ;   in Loop: Header=BB22_2 Depth=1
	s_or_saveexec_b64 s[16:17], s[16:17]
	v_mov_b32_e32 v69, v66
	s_xor_b64 exec, exec, s[16:17]
	s_cbranch_execz .LBB22_1
; %bb.65:                               ;   in Loop: Header=BB22_2 Depth=1
	ds_read_b32 v69, v68 offset:4
	v_add_u32_e32 v65, 1, v65
	s_waitcnt lgkmcnt(1)
	v_mov_b32_e32 v67, v63
	s_branch .LBB22_1
.LBB22_66:
	s_add_u32 s0, s22, s24
	s_addc_u32 s1, s23, s25
	v_lshlrev_b32_e32 v0, 2, v0
	global_store_dword v0, v63, s[0:1]
	global_store_dword v0, v64, s[0:1] offset:1024
	s_endpgm
	.section	.rodata,"a",@progbits
	.p2align	6, 0x0
	.amdhsa_kernel _Z16sort_keys_kernelIiLj256ELj2EN10test_utils4lessELj10EEvPKT_PS2_T2_
		.amdhsa_group_segment_fixed_size 2052
		.amdhsa_private_segment_fixed_size 0
		.amdhsa_kernarg_size 20
		.amdhsa_user_sgpr_count 6
		.amdhsa_user_sgpr_private_segment_buffer 1
		.amdhsa_user_sgpr_dispatch_ptr 0
		.amdhsa_user_sgpr_queue_ptr 0
		.amdhsa_user_sgpr_kernarg_segment_ptr 1
		.amdhsa_user_sgpr_dispatch_id 0
		.amdhsa_user_sgpr_flat_scratch_init 0
		.amdhsa_user_sgpr_private_segment_size 0
		.amdhsa_uses_dynamic_stack 0
		.amdhsa_system_sgpr_private_segment_wavefront_offset 0
		.amdhsa_system_sgpr_workgroup_id_x 1
		.amdhsa_system_sgpr_workgroup_id_y 0
		.amdhsa_system_sgpr_workgroup_id_z 0
		.amdhsa_system_sgpr_workgroup_info 0
		.amdhsa_system_vgpr_workitem_id 0
		.amdhsa_next_free_vgpr 70
		.amdhsa_next_free_sgpr 28
		.amdhsa_reserve_vcc 1
		.amdhsa_reserve_flat_scratch 0
		.amdhsa_float_round_mode_32 0
		.amdhsa_float_round_mode_16_64 0
		.amdhsa_float_denorm_mode_32 3
		.amdhsa_float_denorm_mode_16_64 3
		.amdhsa_dx10_clamp 1
		.amdhsa_ieee_mode 1
		.amdhsa_fp16_overflow 0
		.amdhsa_exception_fp_ieee_invalid_op 0
		.amdhsa_exception_fp_denorm_src 0
		.amdhsa_exception_fp_ieee_div_zero 0
		.amdhsa_exception_fp_ieee_overflow 0
		.amdhsa_exception_fp_ieee_underflow 0
		.amdhsa_exception_fp_ieee_inexact 0
		.amdhsa_exception_int_div_zero 0
	.end_amdhsa_kernel
	.section	.text._Z16sort_keys_kernelIiLj256ELj2EN10test_utils4lessELj10EEvPKT_PS2_T2_,"axG",@progbits,_Z16sort_keys_kernelIiLj256ELj2EN10test_utils4lessELj10EEvPKT_PS2_T2_,comdat
.Lfunc_end22:
	.size	_Z16sort_keys_kernelIiLj256ELj2EN10test_utils4lessELj10EEvPKT_PS2_T2_, .Lfunc_end22-_Z16sort_keys_kernelIiLj256ELj2EN10test_utils4lessELj10EEvPKT_PS2_T2_
                                        ; -- End function
	.set _Z16sort_keys_kernelIiLj256ELj2EN10test_utils4lessELj10EEvPKT_PS2_T2_.num_vgpr, 70
	.set _Z16sort_keys_kernelIiLj256ELj2EN10test_utils4lessELj10EEvPKT_PS2_T2_.num_agpr, 0
	.set _Z16sort_keys_kernelIiLj256ELj2EN10test_utils4lessELj10EEvPKT_PS2_T2_.numbered_sgpr, 28
	.set _Z16sort_keys_kernelIiLj256ELj2EN10test_utils4lessELj10EEvPKT_PS2_T2_.num_named_barrier, 0
	.set _Z16sort_keys_kernelIiLj256ELj2EN10test_utils4lessELj10EEvPKT_PS2_T2_.private_seg_size, 0
	.set _Z16sort_keys_kernelIiLj256ELj2EN10test_utils4lessELj10EEvPKT_PS2_T2_.uses_vcc, 1
	.set _Z16sort_keys_kernelIiLj256ELj2EN10test_utils4lessELj10EEvPKT_PS2_T2_.uses_flat_scratch, 0
	.set _Z16sort_keys_kernelIiLj256ELj2EN10test_utils4lessELj10EEvPKT_PS2_T2_.has_dyn_sized_stack, 0
	.set _Z16sort_keys_kernelIiLj256ELj2EN10test_utils4lessELj10EEvPKT_PS2_T2_.has_recursion, 0
	.set _Z16sort_keys_kernelIiLj256ELj2EN10test_utils4lessELj10EEvPKT_PS2_T2_.has_indirect_call, 0
	.section	.AMDGPU.csdata,"",@progbits
; Kernel info:
; codeLenInByte = 3580
; TotalNumSgprs: 32
; NumVgprs: 70
; ScratchSize: 0
; MemoryBound: 0
; FloatMode: 240
; IeeeMode: 1
; LDSByteSize: 2052 bytes/workgroup (compile time only)
; SGPRBlocks: 3
; VGPRBlocks: 17
; NumSGPRsForWavesPerEU: 32
; NumVGPRsForWavesPerEU: 70
; Occupancy: 3
; WaveLimiterHint : 1
; COMPUTE_PGM_RSRC2:SCRATCH_EN: 0
; COMPUTE_PGM_RSRC2:USER_SGPR: 6
; COMPUTE_PGM_RSRC2:TRAP_HANDLER: 0
; COMPUTE_PGM_RSRC2:TGID_X_EN: 1
; COMPUTE_PGM_RSRC2:TGID_Y_EN: 0
; COMPUTE_PGM_RSRC2:TGID_Z_EN: 0
; COMPUTE_PGM_RSRC2:TIDIG_COMP_CNT: 0
	.section	.text._Z17sort_pairs_kernelIiLj256ELj2EN10test_utils4lessELj10EEvPKT_PS2_T2_,"axG",@progbits,_Z17sort_pairs_kernelIiLj256ELj2EN10test_utils4lessELj10EEvPKT_PS2_T2_,comdat
	.protected	_Z17sort_pairs_kernelIiLj256ELj2EN10test_utils4lessELj10EEvPKT_PS2_T2_ ; -- Begin function _Z17sort_pairs_kernelIiLj256ELj2EN10test_utils4lessELj10EEvPKT_PS2_T2_
	.globl	_Z17sort_pairs_kernelIiLj256ELj2EN10test_utils4lessELj10EEvPKT_PS2_T2_
	.p2align	8
	.type	_Z17sort_pairs_kernelIiLj256ELj2EN10test_utils4lessELj10EEvPKT_PS2_T2_,@function
_Z17sort_pairs_kernelIiLj256ELj2EN10test_utils4lessELj10EEvPKT_PS2_T2_: ; @_Z17sort_pairs_kernelIiLj256ELj2EN10test_utils4lessELj10EEvPKT_PS2_T2_
; %bb.0:
	s_load_dwordx4 s[20:23], s[4:5], 0x0
	s_lshl_b32 s26, s6, 9
	s_mov_b32 s27, 0
	s_lshl_b64 s[24:25], s[26:27], 2
	v_lshlrev_b32_e32 v13, 2, v0
	s_waitcnt lgkmcnt(0)
	s_add_u32 s0, s20, s24
	s_addc_u32 s1, s21, s25
	global_load_dword v66, v13, s[0:1]
	global_load_dword v65, v13, s[0:1] offset:1024
	v_lshlrev_b32_e32 v39, 1, v0
	v_and_b32_e32 v1, 0x1fc, v39
	v_and_b32_e32 v4, 0x1f8, v39
	;; [unrolled: 1-line block ×7, first 2 shown]
	v_or_b32_e32 v2, 2, v1
	v_add_u32_e32 v3, 4, v1
	v_or_b32_e32 v5, 4, v4
	v_add_u32_e32 v6, 8, v4
	;; [unrolled: 2-line block ×7, first 2 shown]
	v_and_b32_e32 v41, 2, v39
	v_sub_u32_e32 v22, v3, v2
	v_and_b32_e32 v43, 6, v39
	v_sub_u32_e32 v24, v6, v5
	;; [unrolled: 2-line block ×7, first 2 shown]
	v_sub_u32_e32 v23, v41, v22
	v_sub_u32_e32 v25, v43, v24
	;; [unrolled: 1-line block ×7, first 2 shown]
	v_cmp_ge_i32_e32 vcc, v41, v22
	v_cmp_ge_i32_e64 s[0:1], v43, v24
	v_cmp_ge_i32_e64 s[2:3], v45, v26
	;; [unrolled: 1-line block ×6, first 2 shown]
	v_cndmask_b32_e32 v22, 0, v23, vcc
	v_sub_u32_e32 v23, v2, v1
	v_cndmask_b32_e64 v24, 0, v25, s[0:1]
	v_sub_u32_e32 v25, v5, v4
	v_cndmask_b32_e64 v26, 0, v27, s[2:3]
	;; [unrolled: 2-line block ×6, first 2 shown]
	v_sub_u32_e32 v35, v20, v19
	v_mov_b32_e32 v36, 0x100
	v_min_i32_e32 v23, v41, v23
	v_min_i32_e32 v25, v43, v25
	;; [unrolled: 1-line block ×7, first 2 shown]
	v_sub_u32_e64 v37, v39, v36 clamp
	v_min_i32_e32 v38, 0x100, v39
	v_add_u32_e32 v40, v2, v41
	v_lshlrev_b32_e32 v41, 2, v41
	v_add_u32_e32 v42, v5, v43
	v_lshlrev_b32_e32 v43, 2, v43
	;; [unrolled: 2-line block ×7, first 2 shown]
	v_lshlrev_b32_e32 v54, 3, v0
	v_cmp_lt_i32_e32 vcc, v22, v23
	v_cmp_lt_i32_e64 s[0:1], v24, v25
	v_cmp_lt_i32_e64 s[2:3], v26, v27
	;; [unrolled: 1-line block ×7, first 2 shown]
	v_add_u32_e32 v39, 0x100, v39
	v_lshl_add_u32 v41, v2, 2, v41
	v_lshl_add_u32 v43, v5, 2, v43
	;; [unrolled: 1-line block ×7, first 2 shown]
	s_movk_i32 s26, 0x200
	s_waitcnt vmcnt(1)
	v_add_u32_e32 v63, 1, v66
	s_waitcnt vmcnt(0)
	v_add_u32_e32 v64, 1, v65
	v_lshlrev_b32_e32 v55, 2, v1
	v_lshlrev_b32_e32 v56, 2, v4
	;; [unrolled: 1-line block ×7, first 2 shown]
	v_add_u32_e32 v62, 0x400, v54
	s_branch .LBB23_2
.LBB23_1:                               ;   in Loop: Header=BB23_2 Depth=1
	s_or_b64 exec, exec, s[16:17]
	v_cmp_ge_i32_e64 s[18:19], v69, v36
	s_waitcnt lgkmcnt(0)
	v_cmp_lt_i32_e64 s[20:21], v73, v70
	v_cmp_gt_i32_e64 s[16:17], s26, v68
	s_or_b64 s[18:19], s[18:19], s[20:21]
	s_and_b64 s[16:17], s[16:17], s[18:19]
	v_cndmask_b32_e64 v68, v69, v68, s[16:17]
	s_barrier
	ds_write2_b32 v54, v63, v64 offset1:1
	v_lshlrev_b32_e32 v63, 2, v72
	v_lshlrev_b32_e32 v64, 2, v68
	s_waitcnt lgkmcnt(0)
	s_barrier
	ds_read_b32 v63, v63
	ds_read_b32 v64, v64
	s_add_i32 s27, s27, 1
	v_cndmask_b32_e64 v65, v70, v73, s[16:17]
	s_cmp_eq_u32 s27, 10
	v_cndmask_b32_e64 v66, v66, v67, s[14:15]
	s_cbranch_scc1 .LBB23_66
.LBB23_2:                               ; =>This Loop Header: Depth=1
                                        ;     Child Loop BB23_4 Depth 2
                                        ;     Child Loop BB23_12 Depth 2
	;; [unrolled: 1-line block ×8, first 2 shown]
	v_cmp_lt_i32_e64 s[14:15], v65, v66
	v_cndmask_b32_e64 v67, v65, v66, s[14:15]
	v_cndmask_b32_e64 v65, v66, v65, s[14:15]
	v_mov_b32_e32 v66, v22
	s_waitcnt lgkmcnt(0)
	s_barrier
	ds_write2_b32 v54, v65, v67 offset1:1
	s_waitcnt lgkmcnt(0)
	s_barrier
	s_and_saveexec_b64 s[18:19], vcc
	s_cbranch_execz .LBB23_6
; %bb.3:                                ;   in Loop: Header=BB23_2 Depth=1
	s_mov_b64 s[20:21], 0
	v_mov_b32_e32 v66, v22
	v_mov_b32_e32 v65, v23
.LBB23_4:                               ;   Parent Loop BB23_2 Depth=1
                                        ; =>  This Inner Loop Header: Depth=2
	v_sub_u32_e32 v67, v65, v66
	v_lshrrev_b32_e32 v67, 1, v67
	v_add_u32_e32 v67, v67, v66
	v_not_b32_e32 v69, v67
	v_lshl_add_u32 v68, v67, 2, v55
	v_lshl_add_u32 v69, v69, 2, v41
	ds_read_b32 v68, v68
	ds_read_b32 v69, v69
	v_add_u32_e32 v70, 1, v67
	s_waitcnt lgkmcnt(0)
	v_cmp_lt_i32_e64 s[16:17], v69, v68
	v_cndmask_b32_e64 v65, v65, v67, s[16:17]
	v_cndmask_b32_e64 v66, v70, v66, s[16:17]
	v_cmp_ge_i32_e64 s[16:17], v66, v65
	s_or_b64 s[20:21], s[16:17], s[20:21]
	s_andn2_b64 exec, exec, s[20:21]
	s_cbranch_execnz .LBB23_4
; %bb.5:                                ;   in Loop: Header=BB23_2 Depth=1
	s_or_b64 exec, exec, s[20:21]
.LBB23_6:                               ;   in Loop: Header=BB23_2 Depth=1
	s_or_b64 exec, exec, s[18:19]
	v_sub_u32_e32 v65, v40, v66
	v_lshl_add_u32 v71, v66, 2, v55
	v_lshlrev_b32_e32 v70, 2, v65
	ds_read_b32 v67, v71
	ds_read_b32 v69, v70
	v_add_u32_e32 v66, v66, v1
	v_cmp_le_i32_e64 s[18:19], v2, v66
	v_cmp_gt_i32_e64 s[16:17], v3, v65
                                        ; implicit-def: $vgpr68
	s_waitcnt lgkmcnt(0)
	v_cmp_lt_i32_e64 s[20:21], v69, v67
	s_or_b64 s[18:19], s[18:19], s[20:21]
	s_and_b64 s[16:17], s[16:17], s[18:19]
	s_xor_b64 s[18:19], s[16:17], -1
	s_and_saveexec_b64 s[20:21], s[18:19]
	s_xor_b64 s[18:19], exec, s[20:21]
; %bb.7:                                ;   in Loop: Header=BB23_2 Depth=1
	ds_read_b32 v68, v71 offset:4
                                        ; implicit-def: $vgpr70
; %bb.8:                                ;   in Loop: Header=BB23_2 Depth=1
	s_or_saveexec_b64 s[18:19], s[18:19]
	v_mov_b32_e32 v71, v69
	s_xor_b64 exec, exec, s[18:19]
	s_cbranch_execz .LBB23_10
; %bb.9:                                ;   in Loop: Header=BB23_2 Depth=1
	ds_read_b32 v71, v70 offset:4
	s_waitcnt lgkmcnt(1)
	v_mov_b32_e32 v68, v67
.LBB23_10:                              ;   in Loop: Header=BB23_2 Depth=1
	s_or_b64 exec, exec, s[18:19]
	v_add_u32_e32 v70, 1, v66
	v_cndmask_b32_e64 v67, v67, v69, s[16:17]
	v_add_u32_e32 v69, 1, v65
	v_cndmask_b32_e64 v70, v70, v66, s[16:17]
	v_cndmask_b32_e64 v69, v65, v69, s[16:17]
	v_cndmask_b32_e64 v65, v66, v65, s[16:17]
	v_cmp_ge_i32_e64 s[16:17], v70, v2
	s_waitcnt lgkmcnt(0)
	v_cmp_lt_i32_e64 s[18:19], v71, v68
	v_cndmask_b32_e64 v66, v64, v63, s[14:15]
	v_cndmask_b32_e64 v63, v63, v64, s[14:15]
	v_cmp_lt_i32_e64 s[14:15], v69, v3
	s_or_b64 s[16:17], s[16:17], s[18:19]
	s_and_b64 s[14:15], s[14:15], s[16:17]
	v_cndmask_b32_e64 v64, v70, v69, s[14:15]
	s_barrier
	ds_write2_b32 v54, v63, v66 offset1:1
	v_lshlrev_b32_e32 v63, 2, v65
	v_lshlrev_b32_e32 v64, 2, v64
	s_waitcnt lgkmcnt(0)
	s_barrier
	ds_read_b32 v63, v63
	ds_read_b32 v64, v64
	v_cndmask_b32_e64 v68, v68, v71, s[14:15]
	v_mov_b32_e32 v66, v24
	s_waitcnt lgkmcnt(0)
	s_barrier
	ds_write2_b32 v54, v67, v68 offset1:1
	s_waitcnt lgkmcnt(0)
	s_barrier
	s_and_saveexec_b64 s[16:17], s[0:1]
	s_cbranch_execz .LBB23_14
; %bb.11:                               ;   in Loop: Header=BB23_2 Depth=1
	s_mov_b64 s[18:19], 0
	v_mov_b32_e32 v66, v24
	v_mov_b32_e32 v65, v25
.LBB23_12:                              ;   Parent Loop BB23_2 Depth=1
                                        ; =>  This Inner Loop Header: Depth=2
	v_sub_u32_e32 v67, v65, v66
	v_lshrrev_b32_e32 v67, 1, v67
	v_add_u32_e32 v67, v67, v66
	v_not_b32_e32 v69, v67
	v_lshl_add_u32 v68, v67, 2, v56
	v_lshl_add_u32 v69, v69, 2, v43
	ds_read_b32 v68, v68
	ds_read_b32 v69, v69
	v_add_u32_e32 v70, 1, v67
	s_waitcnt lgkmcnt(0)
	v_cmp_lt_i32_e64 s[14:15], v69, v68
	v_cndmask_b32_e64 v65, v65, v67, s[14:15]
	v_cndmask_b32_e64 v66, v70, v66, s[14:15]
	v_cmp_ge_i32_e64 s[14:15], v66, v65
	s_or_b64 s[18:19], s[14:15], s[18:19]
	s_andn2_b64 exec, exec, s[18:19]
	s_cbranch_execnz .LBB23_12
; %bb.13:                               ;   in Loop: Header=BB23_2 Depth=1
	s_or_b64 exec, exec, s[18:19]
.LBB23_14:                              ;   in Loop: Header=BB23_2 Depth=1
	s_or_b64 exec, exec, s[16:17]
	v_sub_u32_e32 v65, v42, v66
	v_lshl_add_u32 v71, v66, 2, v56
	v_lshlrev_b32_e32 v70, 2, v65
	ds_read_b32 v67, v71
	ds_read_b32 v68, v70
	v_add_u32_e32 v66, v66, v4
	v_cmp_le_i32_e64 s[16:17], v5, v66
	v_cmp_gt_i32_e64 s[14:15], v6, v65
                                        ; implicit-def: $vgpr69
	s_waitcnt lgkmcnt(0)
	v_cmp_lt_i32_e64 s[18:19], v68, v67
	s_or_b64 s[16:17], s[16:17], s[18:19]
	s_and_b64 s[14:15], s[14:15], s[16:17]
	s_xor_b64 s[16:17], s[14:15], -1
	s_and_saveexec_b64 s[18:19], s[16:17]
	s_xor_b64 s[16:17], exec, s[18:19]
; %bb.15:                               ;   in Loop: Header=BB23_2 Depth=1
	ds_read_b32 v69, v71 offset:4
                                        ; implicit-def: $vgpr70
; %bb.16:                               ;   in Loop: Header=BB23_2 Depth=1
	s_or_saveexec_b64 s[16:17], s[16:17]
	v_mov_b32_e32 v71, v68
	s_xor_b64 exec, exec, s[16:17]
	s_cbranch_execz .LBB23_18
; %bb.17:                               ;   in Loop: Header=BB23_2 Depth=1
	ds_read_b32 v71, v70 offset:4
	s_waitcnt lgkmcnt(1)
	v_mov_b32_e32 v69, v67
.LBB23_18:                              ;   in Loop: Header=BB23_2 Depth=1
	s_or_b64 exec, exec, s[16:17]
	v_add_u32_e32 v70, 1, v66
	v_cndmask_b32_e64 v67, v67, v68, s[14:15]
	v_add_u32_e32 v68, 1, v65
	v_cndmask_b32_e64 v70, v70, v66, s[14:15]
	v_cndmask_b32_e64 v68, v65, v68, s[14:15]
	v_cmp_ge_i32_e64 s[16:17], v70, v5
	s_waitcnt lgkmcnt(0)
	v_cmp_lt_i32_e64 s[18:19], v71, v69
	v_cndmask_b32_e64 v65, v66, v65, s[14:15]
	v_cmp_lt_i32_e64 s[14:15], v68, v6
	s_or_b64 s[16:17], s[16:17], s[18:19]
	s_and_b64 s[14:15], s[14:15], s[16:17]
	v_cndmask_b32_e64 v68, v70, v68, s[14:15]
	s_barrier
	ds_write2_b32 v54, v63, v64 offset1:1
	v_lshlrev_b32_e32 v63, 2, v65
	v_lshlrev_b32_e32 v64, 2, v68
	s_waitcnt lgkmcnt(0)
	s_barrier
	ds_read_b32 v63, v63
	ds_read_b32 v64, v64
	v_cndmask_b32_e64 v66, v69, v71, s[14:15]
	s_waitcnt lgkmcnt(0)
	s_barrier
	ds_write2_b32 v54, v67, v66 offset1:1
	v_mov_b32_e32 v66, v26
	s_waitcnt lgkmcnt(0)
	s_barrier
	s_and_saveexec_b64 s[16:17], s[2:3]
	s_cbranch_execz .LBB23_22
; %bb.19:                               ;   in Loop: Header=BB23_2 Depth=1
	s_mov_b64 s[18:19], 0
	v_mov_b32_e32 v66, v26
	v_mov_b32_e32 v65, v27
.LBB23_20:                              ;   Parent Loop BB23_2 Depth=1
                                        ; =>  This Inner Loop Header: Depth=2
	v_sub_u32_e32 v67, v65, v66
	v_lshrrev_b32_e32 v67, 1, v67
	v_add_u32_e32 v67, v67, v66
	v_not_b32_e32 v69, v67
	v_lshl_add_u32 v68, v67, 2, v57
	v_lshl_add_u32 v69, v69, 2, v45
	ds_read_b32 v68, v68
	ds_read_b32 v69, v69
	v_add_u32_e32 v70, 1, v67
	s_waitcnt lgkmcnt(0)
	v_cmp_lt_i32_e64 s[14:15], v69, v68
	v_cndmask_b32_e64 v65, v65, v67, s[14:15]
	v_cndmask_b32_e64 v66, v70, v66, s[14:15]
	v_cmp_ge_i32_e64 s[14:15], v66, v65
	s_or_b64 s[18:19], s[14:15], s[18:19]
	s_andn2_b64 exec, exec, s[18:19]
	s_cbranch_execnz .LBB23_20
; %bb.21:                               ;   in Loop: Header=BB23_2 Depth=1
	s_or_b64 exec, exec, s[18:19]
.LBB23_22:                              ;   in Loop: Header=BB23_2 Depth=1
	s_or_b64 exec, exec, s[16:17]
	v_sub_u32_e32 v65, v44, v66
	v_lshl_add_u32 v71, v66, 2, v57
	v_lshlrev_b32_e32 v70, 2, v65
	ds_read_b32 v67, v71
	ds_read_b32 v68, v70
	v_add_u32_e32 v66, v66, v7
	v_cmp_le_i32_e64 s[16:17], v8, v66
	v_cmp_gt_i32_e64 s[14:15], v9, v65
                                        ; implicit-def: $vgpr69
	s_waitcnt lgkmcnt(0)
	v_cmp_lt_i32_e64 s[18:19], v68, v67
	s_or_b64 s[16:17], s[16:17], s[18:19]
	s_and_b64 s[14:15], s[14:15], s[16:17]
	s_xor_b64 s[16:17], s[14:15], -1
	s_and_saveexec_b64 s[18:19], s[16:17]
	s_xor_b64 s[16:17], exec, s[18:19]
; %bb.23:                               ;   in Loop: Header=BB23_2 Depth=1
	ds_read_b32 v69, v71 offset:4
                                        ; implicit-def: $vgpr70
; %bb.24:                               ;   in Loop: Header=BB23_2 Depth=1
	s_or_saveexec_b64 s[16:17], s[16:17]
	v_mov_b32_e32 v71, v68
	s_xor_b64 exec, exec, s[16:17]
	s_cbranch_execz .LBB23_26
; %bb.25:                               ;   in Loop: Header=BB23_2 Depth=1
	ds_read_b32 v71, v70 offset:4
	s_waitcnt lgkmcnt(1)
	v_mov_b32_e32 v69, v67
.LBB23_26:                              ;   in Loop: Header=BB23_2 Depth=1
	s_or_b64 exec, exec, s[16:17]
	v_add_u32_e32 v70, 1, v66
	v_cndmask_b32_e64 v67, v67, v68, s[14:15]
	v_add_u32_e32 v68, 1, v65
	v_cndmask_b32_e64 v70, v70, v66, s[14:15]
	v_cndmask_b32_e64 v68, v65, v68, s[14:15]
	v_cmp_ge_i32_e64 s[16:17], v70, v8
	s_waitcnt lgkmcnt(0)
	v_cmp_lt_i32_e64 s[18:19], v71, v69
	v_cndmask_b32_e64 v65, v66, v65, s[14:15]
	v_cmp_lt_i32_e64 s[14:15], v68, v9
	s_or_b64 s[16:17], s[16:17], s[18:19]
	s_and_b64 s[14:15], s[14:15], s[16:17]
	v_cndmask_b32_e64 v68, v70, v68, s[14:15]
	s_barrier
	ds_write2_b32 v54, v63, v64 offset1:1
	v_lshlrev_b32_e32 v63, 2, v65
	v_lshlrev_b32_e32 v64, 2, v68
	s_waitcnt lgkmcnt(0)
	s_barrier
	ds_read_b32 v63, v63
	ds_read_b32 v64, v64
	v_cndmask_b32_e64 v66, v69, v71, s[14:15]
	s_waitcnt lgkmcnt(0)
	s_barrier
	ds_write2_b32 v54, v67, v66 offset1:1
	v_mov_b32_e32 v66, v28
	s_waitcnt lgkmcnt(0)
	s_barrier
	s_and_saveexec_b64 s[16:17], s[4:5]
	s_cbranch_execz .LBB23_30
; %bb.27:                               ;   in Loop: Header=BB23_2 Depth=1
	s_mov_b64 s[18:19], 0
	v_mov_b32_e32 v66, v28
	v_mov_b32_e32 v65, v29
.LBB23_28:                              ;   Parent Loop BB23_2 Depth=1
                                        ; =>  This Inner Loop Header: Depth=2
	v_sub_u32_e32 v67, v65, v66
	v_lshrrev_b32_e32 v67, 1, v67
	v_add_u32_e32 v67, v67, v66
	v_not_b32_e32 v69, v67
	v_lshl_add_u32 v68, v67, 2, v58
	v_lshl_add_u32 v69, v69, 2, v47
	ds_read_b32 v68, v68
	ds_read_b32 v69, v69
	v_add_u32_e32 v70, 1, v67
	s_waitcnt lgkmcnt(0)
	v_cmp_lt_i32_e64 s[14:15], v69, v68
	v_cndmask_b32_e64 v65, v65, v67, s[14:15]
	v_cndmask_b32_e64 v66, v70, v66, s[14:15]
	v_cmp_ge_i32_e64 s[14:15], v66, v65
	s_or_b64 s[18:19], s[14:15], s[18:19]
	s_andn2_b64 exec, exec, s[18:19]
	s_cbranch_execnz .LBB23_28
; %bb.29:                               ;   in Loop: Header=BB23_2 Depth=1
	s_or_b64 exec, exec, s[18:19]
.LBB23_30:                              ;   in Loop: Header=BB23_2 Depth=1
	s_or_b64 exec, exec, s[16:17]
	v_sub_u32_e32 v65, v46, v66
	v_lshl_add_u32 v71, v66, 2, v58
	v_lshlrev_b32_e32 v70, 2, v65
	ds_read_b32 v67, v71
	ds_read_b32 v68, v70
	v_add_u32_e32 v66, v66, v10
	v_cmp_le_i32_e64 s[16:17], v11, v66
	v_cmp_gt_i32_e64 s[14:15], v12, v65
                                        ; implicit-def: $vgpr69
	s_waitcnt lgkmcnt(0)
	v_cmp_lt_i32_e64 s[18:19], v68, v67
	s_or_b64 s[16:17], s[16:17], s[18:19]
	s_and_b64 s[14:15], s[14:15], s[16:17]
	s_xor_b64 s[16:17], s[14:15], -1
	s_and_saveexec_b64 s[18:19], s[16:17]
	s_xor_b64 s[16:17], exec, s[18:19]
; %bb.31:                               ;   in Loop: Header=BB23_2 Depth=1
	ds_read_b32 v69, v71 offset:4
                                        ; implicit-def: $vgpr70
; %bb.32:                               ;   in Loop: Header=BB23_2 Depth=1
	s_or_saveexec_b64 s[16:17], s[16:17]
	v_mov_b32_e32 v71, v68
	s_xor_b64 exec, exec, s[16:17]
	s_cbranch_execz .LBB23_34
; %bb.33:                               ;   in Loop: Header=BB23_2 Depth=1
	ds_read_b32 v71, v70 offset:4
	s_waitcnt lgkmcnt(1)
	v_mov_b32_e32 v69, v67
.LBB23_34:                              ;   in Loop: Header=BB23_2 Depth=1
	s_or_b64 exec, exec, s[16:17]
	v_add_u32_e32 v70, 1, v66
	v_cndmask_b32_e64 v67, v67, v68, s[14:15]
	v_add_u32_e32 v68, 1, v65
	v_cndmask_b32_e64 v70, v70, v66, s[14:15]
	v_cndmask_b32_e64 v68, v65, v68, s[14:15]
	v_cmp_ge_i32_e64 s[16:17], v70, v11
	s_waitcnt lgkmcnt(0)
	v_cmp_lt_i32_e64 s[18:19], v71, v69
	v_cndmask_b32_e64 v65, v66, v65, s[14:15]
	v_cmp_lt_i32_e64 s[14:15], v68, v12
	s_or_b64 s[16:17], s[16:17], s[18:19]
	s_and_b64 s[14:15], s[14:15], s[16:17]
	v_cndmask_b32_e64 v68, v70, v68, s[14:15]
	s_barrier
	ds_write2_b32 v54, v63, v64 offset1:1
	v_lshlrev_b32_e32 v63, 2, v65
	v_lshlrev_b32_e32 v64, 2, v68
	s_waitcnt lgkmcnt(0)
	s_barrier
	ds_read_b32 v63, v63
	ds_read_b32 v64, v64
	v_cndmask_b32_e64 v66, v69, v71, s[14:15]
	s_waitcnt lgkmcnt(0)
	s_barrier
	ds_write2_b32 v54, v67, v66 offset1:1
	v_mov_b32_e32 v66, v30
	s_waitcnt lgkmcnt(0)
	s_barrier
	s_and_saveexec_b64 s[16:17], s[6:7]
	s_cbranch_execz .LBB23_38
; %bb.35:                               ;   in Loop: Header=BB23_2 Depth=1
	s_mov_b64 s[18:19], 0
	v_mov_b32_e32 v66, v30
	v_mov_b32_e32 v65, v31
.LBB23_36:                              ;   Parent Loop BB23_2 Depth=1
                                        ; =>  This Inner Loop Header: Depth=2
	v_sub_u32_e32 v67, v65, v66
	v_lshrrev_b32_e32 v67, 1, v67
	v_add_u32_e32 v67, v67, v66
	v_not_b32_e32 v69, v67
	v_lshl_add_u32 v68, v67, 2, v59
	v_lshl_add_u32 v69, v69, 2, v49
	ds_read_b32 v68, v68
	ds_read_b32 v69, v69
	v_add_u32_e32 v70, 1, v67
	s_waitcnt lgkmcnt(0)
	v_cmp_lt_i32_e64 s[14:15], v69, v68
	v_cndmask_b32_e64 v65, v65, v67, s[14:15]
	v_cndmask_b32_e64 v66, v70, v66, s[14:15]
	v_cmp_ge_i32_e64 s[14:15], v66, v65
	s_or_b64 s[18:19], s[14:15], s[18:19]
	s_andn2_b64 exec, exec, s[18:19]
	s_cbranch_execnz .LBB23_36
; %bb.37:                               ;   in Loop: Header=BB23_2 Depth=1
	s_or_b64 exec, exec, s[18:19]
.LBB23_38:                              ;   in Loop: Header=BB23_2 Depth=1
	s_or_b64 exec, exec, s[16:17]
	v_sub_u32_e32 v65, v48, v66
	v_lshl_add_u32 v71, v66, 2, v59
	v_lshlrev_b32_e32 v70, 2, v65
	ds_read_b32 v67, v71
	ds_read_b32 v68, v70
	v_add_u32_e32 v66, v66, v13
	v_cmp_le_i32_e64 s[16:17], v14, v66
	v_cmp_gt_i32_e64 s[14:15], v15, v65
                                        ; implicit-def: $vgpr69
	s_waitcnt lgkmcnt(0)
	v_cmp_lt_i32_e64 s[18:19], v68, v67
	s_or_b64 s[16:17], s[16:17], s[18:19]
	s_and_b64 s[14:15], s[14:15], s[16:17]
	s_xor_b64 s[16:17], s[14:15], -1
	s_and_saveexec_b64 s[18:19], s[16:17]
	s_xor_b64 s[16:17], exec, s[18:19]
; %bb.39:                               ;   in Loop: Header=BB23_2 Depth=1
	ds_read_b32 v69, v71 offset:4
                                        ; implicit-def: $vgpr70
; %bb.40:                               ;   in Loop: Header=BB23_2 Depth=1
	s_or_saveexec_b64 s[16:17], s[16:17]
	v_mov_b32_e32 v71, v68
	s_xor_b64 exec, exec, s[16:17]
	s_cbranch_execz .LBB23_42
; %bb.41:                               ;   in Loop: Header=BB23_2 Depth=1
	ds_read_b32 v71, v70 offset:4
	s_waitcnt lgkmcnt(1)
	v_mov_b32_e32 v69, v67
.LBB23_42:                              ;   in Loop: Header=BB23_2 Depth=1
	s_or_b64 exec, exec, s[16:17]
	v_add_u32_e32 v70, 1, v66
	v_cndmask_b32_e64 v67, v67, v68, s[14:15]
	v_add_u32_e32 v68, 1, v65
	v_cndmask_b32_e64 v70, v70, v66, s[14:15]
	v_cndmask_b32_e64 v68, v65, v68, s[14:15]
	v_cmp_ge_i32_e64 s[16:17], v70, v14
	s_waitcnt lgkmcnt(0)
	v_cmp_lt_i32_e64 s[18:19], v71, v69
	v_cndmask_b32_e64 v65, v66, v65, s[14:15]
	v_cmp_lt_i32_e64 s[14:15], v68, v15
	s_or_b64 s[16:17], s[16:17], s[18:19]
	s_and_b64 s[14:15], s[14:15], s[16:17]
	v_cndmask_b32_e64 v68, v70, v68, s[14:15]
	s_barrier
	ds_write2_b32 v54, v63, v64 offset1:1
	v_lshlrev_b32_e32 v63, 2, v65
	v_lshlrev_b32_e32 v64, 2, v68
	s_waitcnt lgkmcnt(0)
	s_barrier
	ds_read_b32 v63, v63
	ds_read_b32 v64, v64
	v_cndmask_b32_e64 v66, v69, v71, s[14:15]
	s_waitcnt lgkmcnt(0)
	s_barrier
	ds_write2_b32 v54, v67, v66 offset1:1
	v_mov_b32_e32 v66, v32
	s_waitcnt lgkmcnt(0)
	s_barrier
	s_and_saveexec_b64 s[16:17], s[8:9]
	s_cbranch_execz .LBB23_46
; %bb.43:                               ;   in Loop: Header=BB23_2 Depth=1
	s_mov_b64 s[18:19], 0
	v_mov_b32_e32 v66, v32
	v_mov_b32_e32 v65, v33
.LBB23_44:                              ;   Parent Loop BB23_2 Depth=1
                                        ; =>  This Inner Loop Header: Depth=2
	v_sub_u32_e32 v67, v65, v66
	v_lshrrev_b32_e32 v67, 1, v67
	v_add_u32_e32 v67, v67, v66
	v_not_b32_e32 v69, v67
	v_lshl_add_u32 v68, v67, 2, v60
	v_lshl_add_u32 v69, v69, 2, v51
	ds_read_b32 v68, v68
	ds_read_b32 v69, v69
	v_add_u32_e32 v70, 1, v67
	s_waitcnt lgkmcnt(0)
	v_cmp_lt_i32_e64 s[14:15], v69, v68
	v_cndmask_b32_e64 v65, v65, v67, s[14:15]
	v_cndmask_b32_e64 v66, v70, v66, s[14:15]
	v_cmp_ge_i32_e64 s[14:15], v66, v65
	s_or_b64 s[18:19], s[14:15], s[18:19]
	s_andn2_b64 exec, exec, s[18:19]
	s_cbranch_execnz .LBB23_44
; %bb.45:                               ;   in Loop: Header=BB23_2 Depth=1
	s_or_b64 exec, exec, s[18:19]
.LBB23_46:                              ;   in Loop: Header=BB23_2 Depth=1
	s_or_b64 exec, exec, s[16:17]
	v_sub_u32_e32 v65, v50, v66
	v_lshl_add_u32 v71, v66, 2, v60
	v_lshlrev_b32_e32 v70, 2, v65
	ds_read_b32 v67, v71
	ds_read_b32 v68, v70
	v_add_u32_e32 v66, v66, v16
	v_cmp_le_i32_e64 s[16:17], v17, v66
	v_cmp_gt_i32_e64 s[14:15], v18, v65
                                        ; implicit-def: $vgpr69
	s_waitcnt lgkmcnt(0)
	v_cmp_lt_i32_e64 s[18:19], v68, v67
	s_or_b64 s[16:17], s[16:17], s[18:19]
	s_and_b64 s[14:15], s[14:15], s[16:17]
	s_xor_b64 s[16:17], s[14:15], -1
	s_and_saveexec_b64 s[18:19], s[16:17]
	s_xor_b64 s[16:17], exec, s[18:19]
; %bb.47:                               ;   in Loop: Header=BB23_2 Depth=1
	ds_read_b32 v69, v71 offset:4
                                        ; implicit-def: $vgpr70
; %bb.48:                               ;   in Loop: Header=BB23_2 Depth=1
	s_or_saveexec_b64 s[16:17], s[16:17]
	v_mov_b32_e32 v71, v68
	s_xor_b64 exec, exec, s[16:17]
	s_cbranch_execz .LBB23_50
; %bb.49:                               ;   in Loop: Header=BB23_2 Depth=1
	ds_read_b32 v71, v70 offset:4
	s_waitcnt lgkmcnt(1)
	v_mov_b32_e32 v69, v67
.LBB23_50:                              ;   in Loop: Header=BB23_2 Depth=1
	s_or_b64 exec, exec, s[16:17]
	v_add_u32_e32 v70, 1, v66
	v_cndmask_b32_e64 v67, v67, v68, s[14:15]
	v_add_u32_e32 v68, 1, v65
	v_cndmask_b32_e64 v70, v70, v66, s[14:15]
	v_cndmask_b32_e64 v68, v65, v68, s[14:15]
	v_cmp_ge_i32_e64 s[16:17], v70, v17
	s_waitcnt lgkmcnt(0)
	v_cmp_lt_i32_e64 s[18:19], v71, v69
	v_cndmask_b32_e64 v65, v66, v65, s[14:15]
	v_cmp_lt_i32_e64 s[14:15], v68, v18
	s_or_b64 s[16:17], s[16:17], s[18:19]
	s_and_b64 s[14:15], s[14:15], s[16:17]
	v_cndmask_b32_e64 v68, v70, v68, s[14:15]
	s_barrier
	ds_write2_b32 v54, v63, v64 offset1:1
	v_lshlrev_b32_e32 v63, 2, v65
	v_lshlrev_b32_e32 v64, 2, v68
	s_waitcnt lgkmcnt(0)
	s_barrier
	ds_read_b32 v63, v63
	ds_read_b32 v64, v64
	v_cndmask_b32_e64 v66, v69, v71, s[14:15]
	s_waitcnt lgkmcnt(0)
	s_barrier
	ds_write2_b32 v54, v67, v66 offset1:1
	v_mov_b32_e32 v66, v34
	s_waitcnt lgkmcnt(0)
	s_barrier
	s_and_saveexec_b64 s[16:17], s[10:11]
	s_cbranch_execz .LBB23_54
; %bb.51:                               ;   in Loop: Header=BB23_2 Depth=1
	s_mov_b64 s[18:19], 0
	v_mov_b32_e32 v66, v34
	v_mov_b32_e32 v65, v35
.LBB23_52:                              ;   Parent Loop BB23_2 Depth=1
                                        ; =>  This Inner Loop Header: Depth=2
	v_sub_u32_e32 v67, v65, v66
	v_lshrrev_b32_e32 v67, 1, v67
	v_add_u32_e32 v67, v67, v66
	v_not_b32_e32 v69, v67
	v_lshl_add_u32 v68, v67, 2, v61
	v_lshl_add_u32 v69, v69, 2, v53
	ds_read_b32 v68, v68
	ds_read_b32 v69, v69
	v_add_u32_e32 v70, 1, v67
	s_waitcnt lgkmcnt(0)
	v_cmp_lt_i32_e64 s[14:15], v69, v68
	v_cndmask_b32_e64 v65, v65, v67, s[14:15]
	v_cndmask_b32_e64 v66, v70, v66, s[14:15]
	v_cmp_ge_i32_e64 s[14:15], v66, v65
	s_or_b64 s[18:19], s[14:15], s[18:19]
	s_andn2_b64 exec, exec, s[18:19]
	s_cbranch_execnz .LBB23_52
; %bb.53:                               ;   in Loop: Header=BB23_2 Depth=1
	s_or_b64 exec, exec, s[18:19]
.LBB23_54:                              ;   in Loop: Header=BB23_2 Depth=1
	s_or_b64 exec, exec, s[16:17]
	v_sub_u32_e32 v65, v52, v66
	v_lshl_add_u32 v71, v66, 2, v61
	v_lshlrev_b32_e32 v70, 2, v65
	ds_read_b32 v67, v71
	ds_read_b32 v68, v70
	v_add_u32_e32 v66, v66, v19
	v_cmp_le_i32_e64 s[16:17], v20, v66
	v_cmp_gt_i32_e64 s[14:15], v21, v65
                                        ; implicit-def: $vgpr69
	s_waitcnt lgkmcnt(0)
	v_cmp_lt_i32_e64 s[18:19], v68, v67
	s_or_b64 s[16:17], s[16:17], s[18:19]
	s_and_b64 s[14:15], s[14:15], s[16:17]
	s_xor_b64 s[16:17], s[14:15], -1
	s_and_saveexec_b64 s[18:19], s[16:17]
	s_xor_b64 s[16:17], exec, s[18:19]
; %bb.55:                               ;   in Loop: Header=BB23_2 Depth=1
	ds_read_b32 v69, v71 offset:4
                                        ; implicit-def: $vgpr70
; %bb.56:                               ;   in Loop: Header=BB23_2 Depth=1
	s_or_saveexec_b64 s[16:17], s[16:17]
	v_mov_b32_e32 v71, v68
	s_xor_b64 exec, exec, s[16:17]
	s_cbranch_execz .LBB23_58
; %bb.57:                               ;   in Loop: Header=BB23_2 Depth=1
	ds_read_b32 v71, v70 offset:4
	s_waitcnt lgkmcnt(1)
	v_mov_b32_e32 v69, v67
.LBB23_58:                              ;   in Loop: Header=BB23_2 Depth=1
	s_or_b64 exec, exec, s[16:17]
	v_add_u32_e32 v70, 1, v66
	v_cndmask_b32_e64 v67, v67, v68, s[14:15]
	v_add_u32_e32 v68, 1, v65
	v_cndmask_b32_e64 v70, v70, v66, s[14:15]
	v_cndmask_b32_e64 v68, v65, v68, s[14:15]
	v_cmp_ge_i32_e64 s[16:17], v70, v20
	s_waitcnt lgkmcnt(0)
	v_cmp_lt_i32_e64 s[18:19], v71, v69
	v_cndmask_b32_e64 v65, v66, v65, s[14:15]
	v_cmp_lt_i32_e64 s[14:15], v68, v21
	s_or_b64 s[16:17], s[16:17], s[18:19]
	s_and_b64 s[14:15], s[14:15], s[16:17]
	v_cndmask_b32_e64 v68, v70, v68, s[14:15]
	s_barrier
	ds_write2_b32 v54, v63, v64 offset1:1
	v_lshlrev_b32_e32 v63, 2, v65
	v_lshlrev_b32_e32 v64, 2, v68
	s_waitcnt lgkmcnt(0)
	s_barrier
	ds_read_b32 v63, v63
	ds_read_b32 v64, v64
	v_cndmask_b32_e64 v66, v69, v71, s[14:15]
	v_mov_b32_e32 v65, v37
	s_waitcnt lgkmcnt(0)
	s_barrier
	ds_write2_b32 v54, v67, v66 offset1:1
	s_waitcnt lgkmcnt(0)
	s_barrier
	s_and_saveexec_b64 s[16:17], s[12:13]
	s_cbranch_execz .LBB23_62
; %bb.59:                               ;   in Loop: Header=BB23_2 Depth=1
	s_mov_b64 s[18:19], 0
	v_mov_b32_e32 v65, v37
	v_mov_b32_e32 v66, v38
.LBB23_60:                              ;   Parent Loop BB23_2 Depth=1
                                        ; =>  This Inner Loop Header: Depth=2
	v_sub_u32_e32 v67, v66, v65
	v_lshrrev_b32_e32 v67, 1, v67
	v_add_u32_e32 v67, v67, v65
	v_not_b32_e32 v69, v67
	v_lshlrev_b32_e32 v68, 2, v67
	v_lshl_add_u32 v69, v69, 2, v62
	ds_read_b32 v68, v68
	ds_read_b32 v69, v69
	v_add_u32_e32 v70, 1, v67
	s_waitcnt lgkmcnt(0)
	v_cmp_lt_i32_e64 s[14:15], v69, v68
	v_cndmask_b32_e64 v66, v66, v67, s[14:15]
	v_cndmask_b32_e64 v65, v70, v65, s[14:15]
	v_cmp_ge_i32_e64 s[14:15], v65, v66
	s_or_b64 s[18:19], s[14:15], s[18:19]
	s_andn2_b64 exec, exec, s[18:19]
	s_cbranch_execnz .LBB23_60
; %bb.61:                               ;   in Loop: Header=BB23_2 Depth=1
	s_or_b64 exec, exec, s[18:19]
.LBB23_62:                              ;   in Loop: Header=BB23_2 Depth=1
	s_or_b64 exec, exec, s[16:17]
	v_sub_u32_e32 v68, v39, v65
	v_lshlrev_b32_e32 v72, 2, v65
	v_lshlrev_b32_e32 v71, 2, v68
	ds_read_b32 v66, v72
	ds_read_b32 v67, v71
	v_cmp_le_i32_e64 s[16:17], v36, v65
	v_cmp_gt_i32_e64 s[14:15], s26, v68
                                        ; implicit-def: $vgpr70
                                        ; implicit-def: $vgpr69
	s_waitcnt lgkmcnt(0)
	v_cmp_lt_i32_e64 s[18:19], v67, v66
	s_or_b64 s[16:17], s[16:17], s[18:19]
	s_and_b64 s[14:15], s[14:15], s[16:17]
	s_xor_b64 s[16:17], s[14:15], -1
	s_and_saveexec_b64 s[18:19], s[16:17]
	s_xor_b64 s[16:17], exec, s[18:19]
; %bb.63:                               ;   in Loop: Header=BB23_2 Depth=1
	ds_read_b32 v70, v72 offset:4
	v_add_u32_e32 v69, 1, v65
                                        ; implicit-def: $vgpr71
; %bb.64:                               ;   in Loop: Header=BB23_2 Depth=1
	s_or_saveexec_b64 s[16:17], s[16:17]
	v_mov_b32_e32 v72, v65
	v_mov_b32_e32 v73, v67
	s_xor_b64 exec, exec, s[16:17]
	s_cbranch_execz .LBB23_1
; %bb.65:                               ;   in Loop: Header=BB23_2 Depth=1
	ds_read_b32 v73, v71 offset:4
	s_waitcnt lgkmcnt(1)
	v_add_u32_e32 v70, 1, v68
	v_mov_b32_e32 v72, v68
	v_mov_b32_e32 v69, v65
	v_mov_b32_e32 v68, v70
	v_mov_b32_e32 v70, v66
	s_branch .LBB23_1
.LBB23_66:
	s_add_u32 s0, s22, s24
	s_waitcnt lgkmcnt(1)
	v_add_u32_e32 v1, v66, v63
	s_addc_u32 s1, s23, s25
	v_lshlrev_b32_e32 v0, 2, v0
	s_waitcnt lgkmcnt(0)
	v_add_u32_e32 v2, v65, v64
	global_store_dword v0, v1, s[0:1]
	global_store_dword v0, v2, s[0:1] offset:1024
	s_endpgm
	.section	.rodata,"a",@progbits
	.p2align	6, 0x0
	.amdhsa_kernel _Z17sort_pairs_kernelIiLj256ELj2EN10test_utils4lessELj10EEvPKT_PS2_T2_
		.amdhsa_group_segment_fixed_size 2052
		.amdhsa_private_segment_fixed_size 0
		.amdhsa_kernarg_size 20
		.amdhsa_user_sgpr_count 6
		.amdhsa_user_sgpr_private_segment_buffer 1
		.amdhsa_user_sgpr_dispatch_ptr 0
		.amdhsa_user_sgpr_queue_ptr 0
		.amdhsa_user_sgpr_kernarg_segment_ptr 1
		.amdhsa_user_sgpr_dispatch_id 0
		.amdhsa_user_sgpr_flat_scratch_init 0
		.amdhsa_user_sgpr_private_segment_size 0
		.amdhsa_uses_dynamic_stack 0
		.amdhsa_system_sgpr_private_segment_wavefront_offset 0
		.amdhsa_system_sgpr_workgroup_id_x 1
		.amdhsa_system_sgpr_workgroup_id_y 0
		.amdhsa_system_sgpr_workgroup_id_z 0
		.amdhsa_system_sgpr_workgroup_info 0
		.amdhsa_system_vgpr_workitem_id 0
		.amdhsa_next_free_vgpr 74
		.amdhsa_next_free_sgpr 28
		.amdhsa_reserve_vcc 1
		.amdhsa_reserve_flat_scratch 0
		.amdhsa_float_round_mode_32 0
		.amdhsa_float_round_mode_16_64 0
		.amdhsa_float_denorm_mode_32 3
		.amdhsa_float_denorm_mode_16_64 3
		.amdhsa_dx10_clamp 1
		.amdhsa_ieee_mode 1
		.amdhsa_fp16_overflow 0
		.amdhsa_exception_fp_ieee_invalid_op 0
		.amdhsa_exception_fp_denorm_src 0
		.amdhsa_exception_fp_ieee_div_zero 0
		.amdhsa_exception_fp_ieee_overflow 0
		.amdhsa_exception_fp_ieee_underflow 0
		.amdhsa_exception_fp_ieee_inexact 0
		.amdhsa_exception_int_div_zero 0
	.end_amdhsa_kernel
	.section	.text._Z17sort_pairs_kernelIiLj256ELj2EN10test_utils4lessELj10EEvPKT_PS2_T2_,"axG",@progbits,_Z17sort_pairs_kernelIiLj256ELj2EN10test_utils4lessELj10EEvPKT_PS2_T2_,comdat
.Lfunc_end23:
	.size	_Z17sort_pairs_kernelIiLj256ELj2EN10test_utils4lessELj10EEvPKT_PS2_T2_, .Lfunc_end23-_Z17sort_pairs_kernelIiLj256ELj2EN10test_utils4lessELj10EEvPKT_PS2_T2_
                                        ; -- End function
	.set _Z17sort_pairs_kernelIiLj256ELj2EN10test_utils4lessELj10EEvPKT_PS2_T2_.num_vgpr, 74
	.set _Z17sort_pairs_kernelIiLj256ELj2EN10test_utils4lessELj10EEvPKT_PS2_T2_.num_agpr, 0
	.set _Z17sort_pairs_kernelIiLj256ELj2EN10test_utils4lessELj10EEvPKT_PS2_T2_.numbered_sgpr, 28
	.set _Z17sort_pairs_kernelIiLj256ELj2EN10test_utils4lessELj10EEvPKT_PS2_T2_.num_named_barrier, 0
	.set _Z17sort_pairs_kernelIiLj256ELj2EN10test_utils4lessELj10EEvPKT_PS2_T2_.private_seg_size, 0
	.set _Z17sort_pairs_kernelIiLj256ELj2EN10test_utils4lessELj10EEvPKT_PS2_T2_.uses_vcc, 1
	.set _Z17sort_pairs_kernelIiLj256ELj2EN10test_utils4lessELj10EEvPKT_PS2_T2_.uses_flat_scratch, 0
	.set _Z17sort_pairs_kernelIiLj256ELj2EN10test_utils4lessELj10EEvPKT_PS2_T2_.has_dyn_sized_stack, 0
	.set _Z17sort_pairs_kernelIiLj256ELj2EN10test_utils4lessELj10EEvPKT_PS2_T2_.has_recursion, 0
	.set _Z17sort_pairs_kernelIiLj256ELj2EN10test_utils4lessELj10EEvPKT_PS2_T2_.has_indirect_call, 0
	.section	.AMDGPU.csdata,"",@progbits
; Kernel info:
; codeLenInByte = 4144
; TotalNumSgprs: 32
; NumVgprs: 74
; ScratchSize: 0
; MemoryBound: 0
; FloatMode: 240
; IeeeMode: 1
; LDSByteSize: 2052 bytes/workgroup (compile time only)
; SGPRBlocks: 3
; VGPRBlocks: 18
; NumSGPRsForWavesPerEU: 32
; NumVGPRsForWavesPerEU: 74
; Occupancy: 3
; WaveLimiterHint : 1
; COMPUTE_PGM_RSRC2:SCRATCH_EN: 0
; COMPUTE_PGM_RSRC2:USER_SGPR: 6
; COMPUTE_PGM_RSRC2:TRAP_HANDLER: 0
; COMPUTE_PGM_RSRC2:TGID_X_EN: 1
; COMPUTE_PGM_RSRC2:TGID_Y_EN: 0
; COMPUTE_PGM_RSRC2:TGID_Z_EN: 0
; COMPUTE_PGM_RSRC2:TIDIG_COMP_CNT: 0
	.section	.text._Z16sort_keys_kernelIiLj256ELj3EN10test_utils4lessELj10EEvPKT_PS2_T2_,"axG",@progbits,_Z16sort_keys_kernelIiLj256ELj3EN10test_utils4lessELj10EEvPKT_PS2_T2_,comdat
	.protected	_Z16sort_keys_kernelIiLj256ELj3EN10test_utils4lessELj10EEvPKT_PS2_T2_ ; -- Begin function _Z16sort_keys_kernelIiLj256ELj3EN10test_utils4lessELj10EEvPKT_PS2_T2_
	.globl	_Z16sort_keys_kernelIiLj256ELj3EN10test_utils4lessELj10EEvPKT_PS2_T2_
	.p2align	8
	.type	_Z16sort_keys_kernelIiLj256ELj3EN10test_utils4lessELj10EEvPKT_PS2_T2_,@function
_Z16sort_keys_kernelIiLj256ELj3EN10test_utils4lessELj10EEvPKT_PS2_T2_: ; @_Z16sort_keys_kernelIiLj256ELj3EN10test_utils4lessELj10EEvPKT_PS2_T2_
; %bb.0:
	s_load_dwordx4 s[20:23], s[4:5], 0x0
	s_mul_i32 s26, s6, 0x300
	s_mov_b32 s27, 0
	s_lshl_b64 s[24:25], s[26:27], 2
	v_lshlrev_b32_e32 v18, 2, v0
	s_waitcnt lgkmcnt(0)
	s_add_u32 s0, s20, s24
	s_addc_u32 s1, s21, s25
	global_load_dword v71, v18, s[0:1]
	global_load_dword v72, v18, s[0:1] offset:1024
	global_load_dword v73, v18, s[0:1] offset:2048
	v_and_b32_e32 v1, 0xfe, v0
	v_and_b32_e32 v3, 0xfc, v0
	v_and_b32_e32 v5, 0xf8, v0
	v_and_b32_e32 v7, 0xf0, v0
	v_and_b32_e32 v9, 0xe0, v0
	v_and_b32_e32 v11, 0xc0, v0
	v_and_b32_e32 v13, 0x80, v0
	v_mul_u32_u24_e32 v15, 3, v1
	v_mul_u32_u24_e32 v21, 3, v3
	v_mul_u32_u24_e32 v27, 3, v5
	v_mul_u32_u24_e32 v33, 3, v7
	v_mul_u32_u24_e32 v39, 3, v9
	v_mul_u32_u24_e32 v45, 3, v11
	v_mul_u32_u24_e32 v51, 3, v13
	v_and_b32_e32 v1, 1, v0
	v_min_u32_e32 v19, 0x2fd, v15
	v_min_u32_e32 v2, 0x2fa, v15
	;; [unrolled: 1-line block ×14, first 2 shown]
	v_cmp_eq_u32_e32 vcc, 1, v1
	v_add_u32_e32 v1, 3, v19
	v_add_u32_e32 v2, 6, v2
	v_and_b32_e32 v26, 3, v0
	v_add_u32_e32 v3, 6, v25
	v_add_u32_e32 v4, 12, v4
	v_and_b32_e32 v32, 7, v0
	v_add_u32_e32 v5, 12, v31
	v_add_u32_e32 v6, 24, v6
	;; [unrolled: 1-line block ×3, first 2 shown]
	v_and_b32_e32 v38, 15, v0
	v_add_u32_e32 v8, 24, v37
	v_add_u32_e32 v9, 0x60, v9
	v_and_b32_e32 v44, 31, v0
	v_add_u32_e32 v10, 48, v43
	v_add_u32_e32 v11, 0xc0, v11
	;; [unrolled: 3-line block ×3, first 2 shown]
	v_and_b32_e32 v56, 0x7f, v0
	v_add_u32_e32 v14, 0xc0, v55
	v_cndmask_b32_e64 v20, 0, 3, vcc
	v_sub_u32_e32 v16, v2, v1
	v_mul_u32_u24_e32 v24, 3, v26
	v_sub_u32_e32 v22, v4, v3
	v_mul_u32_u24_e32 v30, 3, v32
	;; [unrolled: 2-line block ×6, first 2 shown]
	v_sub_u32_e32 v52, v13, v14
	v_sub_u32_e32 v17, v20, v16
	;; [unrolled: 1-line block ×8, first 2 shown]
	v_min_u32_e32 v15, 0x300, v15
	v_cmp_ge_i32_e32 vcc, v20, v16
	v_min_u32_e32 v21, 0x300, v21
	v_cmp_ge_i32_e64 s[0:1], v24, v22
	v_min_u32_e32 v27, 0x300, v27
	v_cmp_ge_i32_e64 s[2:3], v30, v28
	v_min_u32_e32 v33, 0x300, v33
	v_cmp_ge_i32_e64 s[4:5], v36, v34
	v_min_u32_e32 v39, 0x300, v39
	v_cmp_ge_i32_e64 s[6:7], v42, v40
	v_min_u32_e32 v45, 0x300, v45
	v_cmp_ge_i32_e64 s[8:9], v48, v46
	v_min_u32_e32 v51, 0x300, v51
	v_cmp_ge_i32_e64 s[10:11], v54, v52
	v_cndmask_b32_e32 v16, 0, v17, vcc
	v_sub_u32_e32 v17, v1, v15
	v_cndmask_b32_e64 v22, 0, v23, s[0:1]
	v_sub_u32_e32 v23, v3, v21
	v_cndmask_b32_e64 v28, 0, v29, s[2:3]
	;; [unrolled: 2-line block ×6, first 2 shown]
	v_sub_u32_e32 v53, v14, v51
	v_mov_b32_e32 v57, 0x180
	v_mul_u32_u24_e32 v58, 3, v0
	v_min_i32_e32 v17, v20, v17
	v_lshlrev_b32_e32 v18, 2, v20
	v_min_i32_e32 v23, v24, v23
	v_lshlrev_b32_e32 v24, 2, v24
	;; [unrolled: 2-line block ×7, first 2 shown]
	v_sub_u32_e64 v59, v58, v57 clamp
	v_min_i32_e32 v60, 0x180, v58
	s_movk_i32 s26, 0x300
	v_cmp_lt_i32_e32 vcc, v16, v17
	v_lshl_add_u32 v18, v19, 2, v18
	v_add_u32_e32 v19, v19, v20
	v_add_u32_e32 v20, v1, v20
	v_cmp_lt_i32_e64 s[0:1], v22, v23
	v_lshl_add_u32 v24, v25, 2, v24
	v_mad_u32_u24 v25, v26, 3, v25
	v_mad_u32_u24 v26, v26, 3, v3
	v_cmp_lt_i32_e64 s[2:3], v28, v29
	v_lshl_add_u32 v30, v31, 2, v30
	v_mad_u32_u24 v31, v32, 3, v31
	v_mad_u32_u24 v32, v32, 3, v5
	;; [unrolled: 4-line block ×6, first 2 shown]
	v_cmp_lt_i32_e64 s[12:13], v59, v60
	v_mul_u32_u24_e32 v61, 12, v0
	v_lshlrev_b32_e32 v62, 2, v15
	v_lshlrev_b32_e32 v63, 2, v21
	;; [unrolled: 1-line block ×7, first 2 shown]
	v_mad_u32_u24 v69, v0, 3, v57
	v_lshlrev_b32_e32 v70, 2, v58
	s_branch .LBB24_2
.LBB24_1:                               ;   in Loop: Header=BB24_2 Depth=1
	s_or_b64 exec, exec, s[18:19]
	v_cndmask_b32_e64 v71, v71, v72, s[14:15]
	v_cndmask_b32_e64 v72, v74, v75, s[16:17]
	v_cmp_ge_i32_e64 s[16:17], v78, v57
	s_waitcnt lgkmcnt(0)
	v_cmp_lt_i32_e64 s[18:19], v79, v73
	v_cmp_gt_i32_e64 s[14:15], s26, v76
	s_or_b64 s[16:17], s[16:17], s[18:19]
	s_and_b64 s[14:15], s[14:15], s[16:17]
	s_add_i32 s27, s27, 1
	s_cmp_eq_u32 s27, 10
	v_cndmask_b32_e64 v73, v73, v79, s[14:15]
	s_cbranch_scc1 .LBB24_98
.LBB24_2:                               ; =>This Loop Header: Depth=1
                                        ;     Child Loop BB24_4 Depth 2
                                        ;     Child Loop BB24_16 Depth 2
	;; [unrolled: 1-line block ×8, first 2 shown]
	s_waitcnt vmcnt(1)
	v_cmp_lt_i32_e64 s[14:15], v72, v71
	v_cndmask_b32_e64 v74, v71, v72, s[14:15]
	v_cndmask_b32_e64 v75, v72, v71, s[14:15]
	v_min_i32_e32 v76, v72, v71
	v_max_i32_e32 v71, v72, v71
	s_waitcnt vmcnt(0)
	v_cmp_lt_i32_e64 s[14:15], v73, v71
	v_cndmask_b32_e64 v72, v73, v71, s[14:15]
	v_cndmask_b32_e64 v75, v75, v73, s[14:15]
	v_min_i32_e32 v71, v73, v71
	v_cmp_lt_i32_e64 s[14:15], v73, v76
	v_cndmask_b32_e64 v71, v74, v71, s[14:15]
	v_cndmask_b32_e64 v73, v75, v76, s[14:15]
	s_barrier
	ds_write2_b32 v61, v71, v73 offset1:1
	ds_write_b32 v61, v72 offset:8
	v_mov_b32_e32 v73, v16
	s_waitcnt lgkmcnt(0)
	s_barrier
	s_and_saveexec_b64 s[16:17], vcc
	s_cbranch_execz .LBB24_6
; %bb.3:                                ;   in Loop: Header=BB24_2 Depth=1
	s_mov_b64 s[18:19], 0
	v_mov_b32_e32 v73, v16
	v_mov_b32_e32 v71, v17
.LBB24_4:                               ;   Parent Loop BB24_2 Depth=1
                                        ; =>  This Inner Loop Header: Depth=2
	v_sub_u32_e32 v72, v71, v73
	v_lshrrev_b32_e32 v72, 1, v72
	v_add_u32_e32 v72, v72, v73
	v_not_b32_e32 v75, v72
	v_lshl_add_u32 v74, v72, 2, v62
	v_lshl_add_u32 v75, v75, 2, v18
	ds_read_b32 v74, v74
	ds_read_b32 v75, v75 offset:12
	v_add_u32_e32 v76, 1, v72
	s_waitcnt lgkmcnt(0)
	v_cmp_lt_i32_e64 s[14:15], v75, v74
	v_cndmask_b32_e64 v71, v71, v72, s[14:15]
	v_cndmask_b32_e64 v73, v76, v73, s[14:15]
	v_cmp_ge_i32_e64 s[14:15], v73, v71
	s_or_b64 s[18:19], s[14:15], s[18:19]
	s_andn2_b64 exec, exec, s[18:19]
	s_cbranch_execnz .LBB24_4
; %bb.5:                                ;   in Loop: Header=BB24_2 Depth=1
	s_or_b64 exec, exec, s[18:19]
.LBB24_6:                               ;   in Loop: Header=BB24_2 Depth=1
	s_or_b64 exec, exec, s[16:17]
	v_lshl_add_u32 v74, v73, 2, v62
	v_sub_u32_e32 v71, v19, v73
	v_lshlrev_b32_e32 v77, 2, v71
	ds_read_b32 v71, v74
	ds_read_b32 v72, v77 offset:12
	v_add_u32_e32 v75, v73, v15
	v_sub_u32_e32 v76, v20, v73
	v_cmp_le_i32_e64 s[16:17], v1, v75
	v_cmp_gt_i32_e64 s[14:15], v2, v76
	s_waitcnt lgkmcnt(0)
	v_cmp_lt_i32_e64 s[18:19], v72, v71
	s_or_b64 s[16:17], s[16:17], s[18:19]
	s_and_b64 s[14:15], s[14:15], s[16:17]
	s_xor_b64 s[16:17], s[14:15], -1
                                        ; implicit-def: $vgpr73
	s_and_saveexec_b64 s[18:19], s[16:17]
	s_xor_b64 s[16:17], exec, s[18:19]
; %bb.7:                                ;   in Loop: Header=BB24_2 Depth=1
	ds_read_b32 v73, v74 offset:4
                                        ; implicit-def: $vgpr77
; %bb.8:                                ;   in Loop: Header=BB24_2 Depth=1
	s_or_saveexec_b64 s[16:17], s[16:17]
	v_mov_b32_e32 v74, v72
	s_xor_b64 exec, exec, s[16:17]
	s_cbranch_execz .LBB24_10
; %bb.9:                                ;   in Loop: Header=BB24_2 Depth=1
	ds_read_b32 v74, v77 offset:16
	s_waitcnt lgkmcnt(1)
	v_mov_b32_e32 v73, v71
.LBB24_10:                              ;   in Loop: Header=BB24_2 Depth=1
	s_or_b64 exec, exec, s[16:17]
	v_add_u32_e32 v78, 1, v75
	v_add_u32_e32 v77, 1, v76
	v_cndmask_b32_e64 v75, v78, v75, s[14:15]
	v_cndmask_b32_e64 v76, v76, v77, s[14:15]
	v_cmp_ge_i32_e64 s[18:19], v75, v1
	s_waitcnt lgkmcnt(0)
	v_cmp_lt_i32_e64 s[20:21], v74, v73
	v_cmp_lt_i32_e64 s[16:17], v76, v2
	s_or_b64 s[18:19], s[18:19], s[20:21]
	s_and_b64 s[16:17], s[16:17], s[18:19]
	s_xor_b64 s[18:19], s[16:17], -1
                                        ; implicit-def: $vgpr77
	s_and_saveexec_b64 s[20:21], s[18:19]
	s_xor_b64 s[18:19], exec, s[20:21]
; %bb.11:                               ;   in Loop: Header=BB24_2 Depth=1
	v_lshlrev_b32_e32 v77, 2, v75
	ds_read_b32 v77, v77 offset:4
; %bb.12:                               ;   in Loop: Header=BB24_2 Depth=1
	s_or_saveexec_b64 s[18:19], s[18:19]
	v_mov_b32_e32 v78, v74
	s_xor_b64 exec, exec, s[18:19]
	s_cbranch_execz .LBB24_14
; %bb.13:                               ;   in Loop: Header=BB24_2 Depth=1
	s_waitcnt lgkmcnt(0)
	v_lshlrev_b32_e32 v77, 2, v76
	ds_read_b32 v78, v77 offset:4
	v_mov_b32_e32 v77, v73
.LBB24_14:                              ;   in Loop: Header=BB24_2 Depth=1
	s_or_b64 exec, exec, s[18:19]
	v_add_u32_e32 v79, 1, v75
	v_cndmask_b32_e64 v73, v73, v74, s[16:17]
	v_add_u32_e32 v74, 1, v76
	v_cndmask_b32_e64 v75, v79, v75, s[16:17]
	v_cndmask_b32_e64 v74, v76, v74, s[16:17]
	v_cmp_ge_i32_e64 s[16:17], v75, v1
	s_waitcnt lgkmcnt(0)
	v_cmp_lt_i32_e64 s[18:19], v78, v77
	v_cndmask_b32_e64 v71, v71, v72, s[14:15]
	v_cmp_lt_i32_e64 s[14:15], v74, v2
	s_or_b64 s[16:17], s[16:17], s[18:19]
	s_and_b64 s[14:15], s[14:15], s[16:17]
	v_cndmask_b32_e64 v72, v77, v78, s[14:15]
	s_barrier
	ds_write2_b32 v61, v71, v73 offset1:1
	ds_write_b32 v61, v72 offset:8
	v_mov_b32_e32 v73, v22
	s_waitcnt lgkmcnt(0)
	s_barrier
	s_and_saveexec_b64 s[16:17], s[0:1]
	s_cbranch_execz .LBB24_18
; %bb.15:                               ;   in Loop: Header=BB24_2 Depth=1
	s_mov_b64 s[18:19], 0
	v_mov_b32_e32 v73, v22
	v_mov_b32_e32 v71, v23
.LBB24_16:                              ;   Parent Loop BB24_2 Depth=1
                                        ; =>  This Inner Loop Header: Depth=2
	v_sub_u32_e32 v72, v71, v73
	v_lshrrev_b32_e32 v72, 1, v72
	v_add_u32_e32 v72, v72, v73
	v_not_b32_e32 v75, v72
	v_lshl_add_u32 v74, v72, 2, v63
	v_lshl_add_u32 v75, v75, 2, v24
	ds_read_b32 v74, v74
	ds_read_b32 v75, v75 offset:24
	v_add_u32_e32 v76, 1, v72
	s_waitcnt lgkmcnt(0)
	v_cmp_lt_i32_e64 s[14:15], v75, v74
	v_cndmask_b32_e64 v71, v71, v72, s[14:15]
	v_cndmask_b32_e64 v73, v76, v73, s[14:15]
	v_cmp_ge_i32_e64 s[14:15], v73, v71
	s_or_b64 s[18:19], s[14:15], s[18:19]
	s_andn2_b64 exec, exec, s[18:19]
	s_cbranch_execnz .LBB24_16
; %bb.17:                               ;   in Loop: Header=BB24_2 Depth=1
	s_or_b64 exec, exec, s[18:19]
.LBB24_18:                              ;   in Loop: Header=BB24_2 Depth=1
	s_or_b64 exec, exec, s[16:17]
	v_lshl_add_u32 v74, v73, 2, v63
	v_sub_u32_e32 v71, v25, v73
	v_lshlrev_b32_e32 v77, 2, v71
	ds_read_b32 v71, v74
	ds_read_b32 v72, v77 offset:24
	v_add_u32_e32 v75, v73, v21
	v_sub_u32_e32 v76, v26, v73
	v_cmp_le_i32_e64 s[16:17], v3, v75
	v_cmp_gt_i32_e64 s[14:15], v4, v76
	s_waitcnt lgkmcnt(0)
	v_cmp_lt_i32_e64 s[18:19], v72, v71
	s_or_b64 s[16:17], s[16:17], s[18:19]
	s_and_b64 s[14:15], s[14:15], s[16:17]
	s_xor_b64 s[16:17], s[14:15], -1
                                        ; implicit-def: $vgpr73
	s_and_saveexec_b64 s[18:19], s[16:17]
	s_xor_b64 s[16:17], exec, s[18:19]
; %bb.19:                               ;   in Loop: Header=BB24_2 Depth=1
	ds_read_b32 v73, v74 offset:4
                                        ; implicit-def: $vgpr77
; %bb.20:                               ;   in Loop: Header=BB24_2 Depth=1
	s_or_saveexec_b64 s[16:17], s[16:17]
	v_mov_b32_e32 v74, v72
	s_xor_b64 exec, exec, s[16:17]
	s_cbranch_execz .LBB24_22
; %bb.21:                               ;   in Loop: Header=BB24_2 Depth=1
	ds_read_b32 v74, v77 offset:28
	s_waitcnt lgkmcnt(1)
	v_mov_b32_e32 v73, v71
.LBB24_22:                              ;   in Loop: Header=BB24_2 Depth=1
	s_or_b64 exec, exec, s[16:17]
	v_add_u32_e32 v78, 1, v75
	v_add_u32_e32 v77, 1, v76
	v_cndmask_b32_e64 v75, v78, v75, s[14:15]
	v_cndmask_b32_e64 v76, v76, v77, s[14:15]
	v_cmp_ge_i32_e64 s[18:19], v75, v3
	s_waitcnt lgkmcnt(0)
	v_cmp_lt_i32_e64 s[20:21], v74, v73
	v_cmp_lt_i32_e64 s[16:17], v76, v4
	s_or_b64 s[18:19], s[18:19], s[20:21]
	s_and_b64 s[16:17], s[16:17], s[18:19]
	s_xor_b64 s[18:19], s[16:17], -1
                                        ; implicit-def: $vgpr77
	s_and_saveexec_b64 s[20:21], s[18:19]
	s_xor_b64 s[18:19], exec, s[20:21]
; %bb.23:                               ;   in Loop: Header=BB24_2 Depth=1
	v_lshlrev_b32_e32 v77, 2, v75
	ds_read_b32 v77, v77 offset:4
; %bb.24:                               ;   in Loop: Header=BB24_2 Depth=1
	s_or_saveexec_b64 s[18:19], s[18:19]
	v_mov_b32_e32 v78, v74
	s_xor_b64 exec, exec, s[18:19]
	s_cbranch_execz .LBB24_26
; %bb.25:                               ;   in Loop: Header=BB24_2 Depth=1
	s_waitcnt lgkmcnt(0)
	v_lshlrev_b32_e32 v77, 2, v76
	ds_read_b32 v78, v77 offset:4
	v_mov_b32_e32 v77, v73
.LBB24_26:                              ;   in Loop: Header=BB24_2 Depth=1
	s_or_b64 exec, exec, s[18:19]
	v_add_u32_e32 v79, 1, v75
	v_cndmask_b32_e64 v73, v73, v74, s[16:17]
	v_add_u32_e32 v74, 1, v76
	v_cndmask_b32_e64 v75, v79, v75, s[16:17]
	v_cndmask_b32_e64 v74, v76, v74, s[16:17]
	v_cmp_ge_i32_e64 s[16:17], v75, v3
	s_waitcnt lgkmcnt(0)
	v_cmp_lt_i32_e64 s[18:19], v78, v77
	v_cndmask_b32_e64 v71, v71, v72, s[14:15]
	v_cmp_lt_i32_e64 s[14:15], v74, v4
	s_or_b64 s[16:17], s[16:17], s[18:19]
	s_and_b64 s[14:15], s[14:15], s[16:17]
	v_cndmask_b32_e64 v72, v77, v78, s[14:15]
	s_barrier
	ds_write2_b32 v61, v71, v73 offset1:1
	ds_write_b32 v61, v72 offset:8
	v_mov_b32_e32 v73, v28
	s_waitcnt lgkmcnt(0)
	s_barrier
	s_and_saveexec_b64 s[16:17], s[2:3]
	s_cbranch_execz .LBB24_30
; %bb.27:                               ;   in Loop: Header=BB24_2 Depth=1
	s_mov_b64 s[18:19], 0
	v_mov_b32_e32 v73, v28
	v_mov_b32_e32 v71, v29
.LBB24_28:                              ;   Parent Loop BB24_2 Depth=1
                                        ; =>  This Inner Loop Header: Depth=2
	v_sub_u32_e32 v72, v71, v73
	v_lshrrev_b32_e32 v72, 1, v72
	v_add_u32_e32 v72, v72, v73
	v_not_b32_e32 v75, v72
	v_lshl_add_u32 v74, v72, 2, v64
	v_lshl_add_u32 v75, v75, 2, v30
	ds_read_b32 v74, v74
	ds_read_b32 v75, v75 offset:48
	v_add_u32_e32 v76, 1, v72
	s_waitcnt lgkmcnt(0)
	v_cmp_lt_i32_e64 s[14:15], v75, v74
	v_cndmask_b32_e64 v71, v71, v72, s[14:15]
	v_cndmask_b32_e64 v73, v76, v73, s[14:15]
	v_cmp_ge_i32_e64 s[14:15], v73, v71
	s_or_b64 s[18:19], s[14:15], s[18:19]
	s_andn2_b64 exec, exec, s[18:19]
	s_cbranch_execnz .LBB24_28
; %bb.29:                               ;   in Loop: Header=BB24_2 Depth=1
	s_or_b64 exec, exec, s[18:19]
.LBB24_30:                              ;   in Loop: Header=BB24_2 Depth=1
	s_or_b64 exec, exec, s[16:17]
	v_lshl_add_u32 v74, v73, 2, v64
	v_sub_u32_e32 v71, v31, v73
	v_lshlrev_b32_e32 v77, 2, v71
	ds_read_b32 v71, v74
	ds_read_b32 v72, v77 offset:48
	v_add_u32_e32 v75, v73, v27
	v_sub_u32_e32 v76, v32, v73
	v_cmp_le_i32_e64 s[16:17], v5, v75
	v_cmp_gt_i32_e64 s[14:15], v6, v76
	s_waitcnt lgkmcnt(0)
	v_cmp_lt_i32_e64 s[18:19], v72, v71
	s_or_b64 s[16:17], s[16:17], s[18:19]
	s_and_b64 s[14:15], s[14:15], s[16:17]
	s_xor_b64 s[16:17], s[14:15], -1
                                        ; implicit-def: $vgpr73
	s_and_saveexec_b64 s[18:19], s[16:17]
	s_xor_b64 s[16:17], exec, s[18:19]
; %bb.31:                               ;   in Loop: Header=BB24_2 Depth=1
	ds_read_b32 v73, v74 offset:4
                                        ; implicit-def: $vgpr77
; %bb.32:                               ;   in Loop: Header=BB24_2 Depth=1
	s_or_saveexec_b64 s[16:17], s[16:17]
	v_mov_b32_e32 v74, v72
	s_xor_b64 exec, exec, s[16:17]
	s_cbranch_execz .LBB24_34
; %bb.33:                               ;   in Loop: Header=BB24_2 Depth=1
	ds_read_b32 v74, v77 offset:52
	s_waitcnt lgkmcnt(1)
	v_mov_b32_e32 v73, v71
.LBB24_34:                              ;   in Loop: Header=BB24_2 Depth=1
	s_or_b64 exec, exec, s[16:17]
	v_add_u32_e32 v78, 1, v75
	v_add_u32_e32 v77, 1, v76
	v_cndmask_b32_e64 v75, v78, v75, s[14:15]
	v_cndmask_b32_e64 v76, v76, v77, s[14:15]
	v_cmp_ge_i32_e64 s[18:19], v75, v5
	s_waitcnt lgkmcnt(0)
	v_cmp_lt_i32_e64 s[20:21], v74, v73
	v_cmp_lt_i32_e64 s[16:17], v76, v6
	s_or_b64 s[18:19], s[18:19], s[20:21]
	s_and_b64 s[16:17], s[16:17], s[18:19]
	s_xor_b64 s[18:19], s[16:17], -1
                                        ; implicit-def: $vgpr77
	s_and_saveexec_b64 s[20:21], s[18:19]
	s_xor_b64 s[18:19], exec, s[20:21]
; %bb.35:                               ;   in Loop: Header=BB24_2 Depth=1
	v_lshlrev_b32_e32 v77, 2, v75
	ds_read_b32 v77, v77 offset:4
; %bb.36:                               ;   in Loop: Header=BB24_2 Depth=1
	s_or_saveexec_b64 s[18:19], s[18:19]
	v_mov_b32_e32 v78, v74
	s_xor_b64 exec, exec, s[18:19]
	s_cbranch_execz .LBB24_38
; %bb.37:                               ;   in Loop: Header=BB24_2 Depth=1
	s_waitcnt lgkmcnt(0)
	v_lshlrev_b32_e32 v77, 2, v76
	ds_read_b32 v78, v77 offset:4
	v_mov_b32_e32 v77, v73
.LBB24_38:                              ;   in Loop: Header=BB24_2 Depth=1
	s_or_b64 exec, exec, s[18:19]
	v_add_u32_e32 v79, 1, v75
	v_cndmask_b32_e64 v73, v73, v74, s[16:17]
	v_add_u32_e32 v74, 1, v76
	v_cndmask_b32_e64 v75, v79, v75, s[16:17]
	v_cndmask_b32_e64 v74, v76, v74, s[16:17]
	v_cmp_ge_i32_e64 s[16:17], v75, v5
	s_waitcnt lgkmcnt(0)
	v_cmp_lt_i32_e64 s[18:19], v78, v77
	v_cndmask_b32_e64 v71, v71, v72, s[14:15]
	v_cmp_lt_i32_e64 s[14:15], v74, v6
	s_or_b64 s[16:17], s[16:17], s[18:19]
	s_and_b64 s[14:15], s[14:15], s[16:17]
	v_cndmask_b32_e64 v72, v77, v78, s[14:15]
	s_barrier
	ds_write2_b32 v61, v71, v73 offset1:1
	ds_write_b32 v61, v72 offset:8
	v_mov_b32_e32 v73, v34
	s_waitcnt lgkmcnt(0)
	s_barrier
	s_and_saveexec_b64 s[16:17], s[4:5]
	s_cbranch_execz .LBB24_42
; %bb.39:                               ;   in Loop: Header=BB24_2 Depth=1
	s_mov_b64 s[18:19], 0
	v_mov_b32_e32 v73, v34
	v_mov_b32_e32 v71, v35
.LBB24_40:                              ;   Parent Loop BB24_2 Depth=1
                                        ; =>  This Inner Loop Header: Depth=2
	v_sub_u32_e32 v72, v71, v73
	v_lshrrev_b32_e32 v72, 1, v72
	v_add_u32_e32 v72, v72, v73
	v_not_b32_e32 v75, v72
	v_lshl_add_u32 v74, v72, 2, v65
	v_lshl_add_u32 v75, v75, 2, v36
	ds_read_b32 v74, v74
	ds_read_b32 v75, v75 offset:96
	v_add_u32_e32 v76, 1, v72
	s_waitcnt lgkmcnt(0)
	v_cmp_lt_i32_e64 s[14:15], v75, v74
	v_cndmask_b32_e64 v71, v71, v72, s[14:15]
	v_cndmask_b32_e64 v73, v76, v73, s[14:15]
	v_cmp_ge_i32_e64 s[14:15], v73, v71
	s_or_b64 s[18:19], s[14:15], s[18:19]
	s_andn2_b64 exec, exec, s[18:19]
	s_cbranch_execnz .LBB24_40
; %bb.41:                               ;   in Loop: Header=BB24_2 Depth=1
	s_or_b64 exec, exec, s[18:19]
.LBB24_42:                              ;   in Loop: Header=BB24_2 Depth=1
	s_or_b64 exec, exec, s[16:17]
	v_lshl_add_u32 v74, v73, 2, v65
	v_sub_u32_e32 v71, v37, v73
	v_lshlrev_b32_e32 v77, 2, v71
	ds_read_b32 v71, v74
	ds_read_b32 v72, v77 offset:96
	v_add_u32_e32 v75, v73, v33
	v_sub_u32_e32 v76, v38, v73
	v_cmp_le_i32_e64 s[16:17], v8, v75
	v_cmp_gt_i32_e64 s[14:15], v7, v76
	s_waitcnt lgkmcnt(0)
	v_cmp_lt_i32_e64 s[18:19], v72, v71
	s_or_b64 s[16:17], s[16:17], s[18:19]
	s_and_b64 s[14:15], s[14:15], s[16:17]
	s_xor_b64 s[16:17], s[14:15], -1
                                        ; implicit-def: $vgpr73
	s_and_saveexec_b64 s[18:19], s[16:17]
	s_xor_b64 s[16:17], exec, s[18:19]
; %bb.43:                               ;   in Loop: Header=BB24_2 Depth=1
	ds_read_b32 v73, v74 offset:4
                                        ; implicit-def: $vgpr77
; %bb.44:                               ;   in Loop: Header=BB24_2 Depth=1
	s_or_saveexec_b64 s[16:17], s[16:17]
	v_mov_b32_e32 v74, v72
	s_xor_b64 exec, exec, s[16:17]
	s_cbranch_execz .LBB24_46
; %bb.45:                               ;   in Loop: Header=BB24_2 Depth=1
	ds_read_b32 v74, v77 offset:100
	s_waitcnt lgkmcnt(1)
	v_mov_b32_e32 v73, v71
.LBB24_46:                              ;   in Loop: Header=BB24_2 Depth=1
	s_or_b64 exec, exec, s[16:17]
	v_add_u32_e32 v78, 1, v75
	v_add_u32_e32 v77, 1, v76
	v_cndmask_b32_e64 v75, v78, v75, s[14:15]
	v_cndmask_b32_e64 v76, v76, v77, s[14:15]
	v_cmp_ge_i32_e64 s[18:19], v75, v8
	s_waitcnt lgkmcnt(0)
	v_cmp_lt_i32_e64 s[20:21], v74, v73
	v_cmp_lt_i32_e64 s[16:17], v76, v7
	s_or_b64 s[18:19], s[18:19], s[20:21]
	s_and_b64 s[16:17], s[16:17], s[18:19]
	s_xor_b64 s[18:19], s[16:17], -1
                                        ; implicit-def: $vgpr77
	s_and_saveexec_b64 s[20:21], s[18:19]
	s_xor_b64 s[18:19], exec, s[20:21]
; %bb.47:                               ;   in Loop: Header=BB24_2 Depth=1
	v_lshlrev_b32_e32 v77, 2, v75
	ds_read_b32 v77, v77 offset:4
; %bb.48:                               ;   in Loop: Header=BB24_2 Depth=1
	s_or_saveexec_b64 s[18:19], s[18:19]
	v_mov_b32_e32 v78, v74
	s_xor_b64 exec, exec, s[18:19]
	s_cbranch_execz .LBB24_50
; %bb.49:                               ;   in Loop: Header=BB24_2 Depth=1
	s_waitcnt lgkmcnt(0)
	v_lshlrev_b32_e32 v77, 2, v76
	ds_read_b32 v78, v77 offset:4
	v_mov_b32_e32 v77, v73
.LBB24_50:                              ;   in Loop: Header=BB24_2 Depth=1
	s_or_b64 exec, exec, s[18:19]
	v_add_u32_e32 v79, 1, v75
	v_cndmask_b32_e64 v73, v73, v74, s[16:17]
	v_add_u32_e32 v74, 1, v76
	v_cndmask_b32_e64 v75, v79, v75, s[16:17]
	v_cndmask_b32_e64 v74, v76, v74, s[16:17]
	v_cmp_ge_i32_e64 s[16:17], v75, v8
	s_waitcnt lgkmcnt(0)
	v_cmp_lt_i32_e64 s[18:19], v78, v77
	v_cndmask_b32_e64 v71, v71, v72, s[14:15]
	v_cmp_lt_i32_e64 s[14:15], v74, v7
	s_or_b64 s[16:17], s[16:17], s[18:19]
	s_and_b64 s[14:15], s[14:15], s[16:17]
	v_cndmask_b32_e64 v72, v77, v78, s[14:15]
	s_barrier
	ds_write2_b32 v61, v71, v73 offset1:1
	ds_write_b32 v61, v72 offset:8
	v_mov_b32_e32 v73, v40
	s_waitcnt lgkmcnt(0)
	s_barrier
	s_and_saveexec_b64 s[16:17], s[6:7]
	s_cbranch_execz .LBB24_54
; %bb.51:                               ;   in Loop: Header=BB24_2 Depth=1
	s_mov_b64 s[18:19], 0
	v_mov_b32_e32 v73, v40
	v_mov_b32_e32 v71, v41
.LBB24_52:                              ;   Parent Loop BB24_2 Depth=1
                                        ; =>  This Inner Loop Header: Depth=2
	v_sub_u32_e32 v72, v71, v73
	v_lshrrev_b32_e32 v72, 1, v72
	v_add_u32_e32 v72, v72, v73
	v_not_b32_e32 v75, v72
	v_lshl_add_u32 v74, v72, 2, v66
	v_lshl_add_u32 v75, v75, 2, v42
	ds_read_b32 v74, v74
	ds_read_b32 v75, v75 offset:192
	v_add_u32_e32 v76, 1, v72
	s_waitcnt lgkmcnt(0)
	v_cmp_lt_i32_e64 s[14:15], v75, v74
	v_cndmask_b32_e64 v71, v71, v72, s[14:15]
	v_cndmask_b32_e64 v73, v76, v73, s[14:15]
	v_cmp_ge_i32_e64 s[14:15], v73, v71
	s_or_b64 s[18:19], s[14:15], s[18:19]
	s_andn2_b64 exec, exec, s[18:19]
	s_cbranch_execnz .LBB24_52
; %bb.53:                               ;   in Loop: Header=BB24_2 Depth=1
	s_or_b64 exec, exec, s[18:19]
.LBB24_54:                              ;   in Loop: Header=BB24_2 Depth=1
	s_or_b64 exec, exec, s[16:17]
	v_lshl_add_u32 v74, v73, 2, v66
	v_sub_u32_e32 v71, v43, v73
	v_lshlrev_b32_e32 v77, 2, v71
	ds_read_b32 v71, v74
	ds_read_b32 v72, v77 offset:192
	v_add_u32_e32 v75, v73, v39
	v_sub_u32_e32 v76, v44, v73
	v_cmp_le_i32_e64 s[16:17], v10, v75
	v_cmp_gt_i32_e64 s[14:15], v9, v76
	s_waitcnt lgkmcnt(0)
	v_cmp_lt_i32_e64 s[18:19], v72, v71
	s_or_b64 s[16:17], s[16:17], s[18:19]
	s_and_b64 s[14:15], s[14:15], s[16:17]
	s_xor_b64 s[16:17], s[14:15], -1
                                        ; implicit-def: $vgpr73
	s_and_saveexec_b64 s[18:19], s[16:17]
	s_xor_b64 s[16:17], exec, s[18:19]
; %bb.55:                               ;   in Loop: Header=BB24_2 Depth=1
	ds_read_b32 v73, v74 offset:4
                                        ; implicit-def: $vgpr77
; %bb.56:                               ;   in Loop: Header=BB24_2 Depth=1
	s_or_saveexec_b64 s[16:17], s[16:17]
	v_mov_b32_e32 v74, v72
	s_xor_b64 exec, exec, s[16:17]
	s_cbranch_execz .LBB24_58
; %bb.57:                               ;   in Loop: Header=BB24_2 Depth=1
	ds_read_b32 v74, v77 offset:196
	s_waitcnt lgkmcnt(1)
	v_mov_b32_e32 v73, v71
.LBB24_58:                              ;   in Loop: Header=BB24_2 Depth=1
	s_or_b64 exec, exec, s[16:17]
	v_add_u32_e32 v78, 1, v75
	v_add_u32_e32 v77, 1, v76
	v_cndmask_b32_e64 v75, v78, v75, s[14:15]
	v_cndmask_b32_e64 v76, v76, v77, s[14:15]
	v_cmp_ge_i32_e64 s[18:19], v75, v10
	s_waitcnt lgkmcnt(0)
	v_cmp_lt_i32_e64 s[20:21], v74, v73
	v_cmp_lt_i32_e64 s[16:17], v76, v9
	s_or_b64 s[18:19], s[18:19], s[20:21]
	s_and_b64 s[16:17], s[16:17], s[18:19]
	s_xor_b64 s[18:19], s[16:17], -1
                                        ; implicit-def: $vgpr77
	s_and_saveexec_b64 s[20:21], s[18:19]
	s_xor_b64 s[18:19], exec, s[20:21]
; %bb.59:                               ;   in Loop: Header=BB24_2 Depth=1
	v_lshlrev_b32_e32 v77, 2, v75
	ds_read_b32 v77, v77 offset:4
; %bb.60:                               ;   in Loop: Header=BB24_2 Depth=1
	s_or_saveexec_b64 s[18:19], s[18:19]
	v_mov_b32_e32 v78, v74
	s_xor_b64 exec, exec, s[18:19]
	s_cbranch_execz .LBB24_62
; %bb.61:                               ;   in Loop: Header=BB24_2 Depth=1
	s_waitcnt lgkmcnt(0)
	v_lshlrev_b32_e32 v77, 2, v76
	ds_read_b32 v78, v77 offset:4
	v_mov_b32_e32 v77, v73
.LBB24_62:                              ;   in Loop: Header=BB24_2 Depth=1
	s_or_b64 exec, exec, s[18:19]
	v_add_u32_e32 v79, 1, v75
	v_cndmask_b32_e64 v73, v73, v74, s[16:17]
	v_add_u32_e32 v74, 1, v76
	v_cndmask_b32_e64 v75, v79, v75, s[16:17]
	v_cndmask_b32_e64 v74, v76, v74, s[16:17]
	v_cmp_ge_i32_e64 s[16:17], v75, v10
	s_waitcnt lgkmcnt(0)
	v_cmp_lt_i32_e64 s[18:19], v78, v77
	v_cndmask_b32_e64 v71, v71, v72, s[14:15]
	v_cmp_lt_i32_e64 s[14:15], v74, v9
	s_or_b64 s[16:17], s[16:17], s[18:19]
	s_and_b64 s[14:15], s[14:15], s[16:17]
	v_cndmask_b32_e64 v72, v77, v78, s[14:15]
	s_barrier
	ds_write2_b32 v61, v71, v73 offset1:1
	ds_write_b32 v61, v72 offset:8
	v_mov_b32_e32 v73, v46
	s_waitcnt lgkmcnt(0)
	s_barrier
	s_and_saveexec_b64 s[16:17], s[8:9]
	s_cbranch_execz .LBB24_66
; %bb.63:                               ;   in Loop: Header=BB24_2 Depth=1
	s_mov_b64 s[18:19], 0
	v_mov_b32_e32 v73, v46
	v_mov_b32_e32 v71, v47
.LBB24_64:                              ;   Parent Loop BB24_2 Depth=1
                                        ; =>  This Inner Loop Header: Depth=2
	v_sub_u32_e32 v72, v71, v73
	v_lshrrev_b32_e32 v72, 1, v72
	v_add_u32_e32 v72, v72, v73
	v_not_b32_e32 v75, v72
	v_lshl_add_u32 v74, v72, 2, v67
	v_lshl_add_u32 v75, v75, 2, v48
	ds_read_b32 v74, v74
	ds_read_b32 v75, v75 offset:384
	v_add_u32_e32 v76, 1, v72
	s_waitcnt lgkmcnt(0)
	v_cmp_lt_i32_e64 s[14:15], v75, v74
	v_cndmask_b32_e64 v71, v71, v72, s[14:15]
	v_cndmask_b32_e64 v73, v76, v73, s[14:15]
	v_cmp_ge_i32_e64 s[14:15], v73, v71
	s_or_b64 s[18:19], s[14:15], s[18:19]
	s_andn2_b64 exec, exec, s[18:19]
	s_cbranch_execnz .LBB24_64
; %bb.65:                               ;   in Loop: Header=BB24_2 Depth=1
	s_or_b64 exec, exec, s[18:19]
.LBB24_66:                              ;   in Loop: Header=BB24_2 Depth=1
	s_or_b64 exec, exec, s[16:17]
	v_lshl_add_u32 v74, v73, 2, v67
	v_sub_u32_e32 v71, v49, v73
	v_lshlrev_b32_e32 v77, 2, v71
	ds_read_b32 v71, v74
	ds_read_b32 v72, v77 offset:384
	v_add_u32_e32 v75, v73, v45
	v_sub_u32_e32 v76, v50, v73
	v_cmp_le_i32_e64 s[16:17], v12, v75
	v_cmp_gt_i32_e64 s[14:15], v11, v76
	s_waitcnt lgkmcnt(0)
	v_cmp_lt_i32_e64 s[18:19], v72, v71
	s_or_b64 s[16:17], s[16:17], s[18:19]
	s_and_b64 s[14:15], s[14:15], s[16:17]
	s_xor_b64 s[16:17], s[14:15], -1
                                        ; implicit-def: $vgpr73
	s_and_saveexec_b64 s[18:19], s[16:17]
	s_xor_b64 s[16:17], exec, s[18:19]
; %bb.67:                               ;   in Loop: Header=BB24_2 Depth=1
	ds_read_b32 v73, v74 offset:4
                                        ; implicit-def: $vgpr77
; %bb.68:                               ;   in Loop: Header=BB24_2 Depth=1
	s_or_saveexec_b64 s[16:17], s[16:17]
	v_mov_b32_e32 v74, v72
	s_xor_b64 exec, exec, s[16:17]
	s_cbranch_execz .LBB24_70
; %bb.69:                               ;   in Loop: Header=BB24_2 Depth=1
	ds_read_b32 v74, v77 offset:388
	s_waitcnt lgkmcnt(1)
	v_mov_b32_e32 v73, v71
.LBB24_70:                              ;   in Loop: Header=BB24_2 Depth=1
	s_or_b64 exec, exec, s[16:17]
	v_add_u32_e32 v78, 1, v75
	v_add_u32_e32 v77, 1, v76
	v_cndmask_b32_e64 v75, v78, v75, s[14:15]
	v_cndmask_b32_e64 v76, v76, v77, s[14:15]
	v_cmp_ge_i32_e64 s[18:19], v75, v12
	s_waitcnt lgkmcnt(0)
	v_cmp_lt_i32_e64 s[20:21], v74, v73
	v_cmp_lt_i32_e64 s[16:17], v76, v11
	s_or_b64 s[18:19], s[18:19], s[20:21]
	s_and_b64 s[16:17], s[16:17], s[18:19]
	s_xor_b64 s[18:19], s[16:17], -1
                                        ; implicit-def: $vgpr77
	s_and_saveexec_b64 s[20:21], s[18:19]
	s_xor_b64 s[18:19], exec, s[20:21]
; %bb.71:                               ;   in Loop: Header=BB24_2 Depth=1
	v_lshlrev_b32_e32 v77, 2, v75
	ds_read_b32 v77, v77 offset:4
; %bb.72:                               ;   in Loop: Header=BB24_2 Depth=1
	s_or_saveexec_b64 s[18:19], s[18:19]
	v_mov_b32_e32 v78, v74
	s_xor_b64 exec, exec, s[18:19]
	s_cbranch_execz .LBB24_74
; %bb.73:                               ;   in Loop: Header=BB24_2 Depth=1
	s_waitcnt lgkmcnt(0)
	v_lshlrev_b32_e32 v77, 2, v76
	ds_read_b32 v78, v77 offset:4
	v_mov_b32_e32 v77, v73
.LBB24_74:                              ;   in Loop: Header=BB24_2 Depth=1
	s_or_b64 exec, exec, s[18:19]
	v_add_u32_e32 v79, 1, v75
	v_cndmask_b32_e64 v73, v73, v74, s[16:17]
	v_add_u32_e32 v74, 1, v76
	v_cndmask_b32_e64 v75, v79, v75, s[16:17]
	v_cndmask_b32_e64 v74, v76, v74, s[16:17]
	v_cmp_ge_i32_e64 s[16:17], v75, v12
	s_waitcnt lgkmcnt(0)
	v_cmp_lt_i32_e64 s[18:19], v78, v77
	v_cndmask_b32_e64 v71, v71, v72, s[14:15]
	v_cmp_lt_i32_e64 s[14:15], v74, v11
	s_or_b64 s[16:17], s[16:17], s[18:19]
	s_and_b64 s[14:15], s[14:15], s[16:17]
	v_cndmask_b32_e64 v72, v77, v78, s[14:15]
	s_barrier
	ds_write2_b32 v61, v71, v73 offset1:1
	ds_write_b32 v61, v72 offset:8
	v_mov_b32_e32 v73, v52
	s_waitcnt lgkmcnt(0)
	s_barrier
	s_and_saveexec_b64 s[16:17], s[10:11]
	s_cbranch_execz .LBB24_78
; %bb.75:                               ;   in Loop: Header=BB24_2 Depth=1
	s_mov_b64 s[18:19], 0
	v_mov_b32_e32 v73, v52
	v_mov_b32_e32 v71, v53
.LBB24_76:                              ;   Parent Loop BB24_2 Depth=1
                                        ; =>  This Inner Loop Header: Depth=2
	v_sub_u32_e32 v72, v71, v73
	v_lshrrev_b32_e32 v72, 1, v72
	v_add_u32_e32 v72, v72, v73
	v_not_b32_e32 v75, v72
	v_lshl_add_u32 v74, v72, 2, v68
	v_lshl_add_u32 v75, v75, 2, v54
	ds_read_b32 v74, v74
	ds_read_b32 v75, v75 offset:768
	v_add_u32_e32 v76, 1, v72
	s_waitcnt lgkmcnt(0)
	v_cmp_lt_i32_e64 s[14:15], v75, v74
	v_cndmask_b32_e64 v71, v71, v72, s[14:15]
	v_cndmask_b32_e64 v73, v76, v73, s[14:15]
	v_cmp_ge_i32_e64 s[14:15], v73, v71
	s_or_b64 s[18:19], s[14:15], s[18:19]
	s_andn2_b64 exec, exec, s[18:19]
	s_cbranch_execnz .LBB24_76
; %bb.77:                               ;   in Loop: Header=BB24_2 Depth=1
	s_or_b64 exec, exec, s[18:19]
.LBB24_78:                              ;   in Loop: Header=BB24_2 Depth=1
	s_or_b64 exec, exec, s[16:17]
	v_lshl_add_u32 v74, v73, 2, v68
	v_sub_u32_e32 v71, v55, v73
	v_lshlrev_b32_e32 v77, 2, v71
	ds_read_b32 v71, v74
	ds_read_b32 v72, v77 offset:768
	v_add_u32_e32 v75, v73, v51
	v_sub_u32_e32 v76, v56, v73
	v_cmp_le_i32_e64 s[16:17], v14, v75
	v_cmp_gt_i32_e64 s[14:15], v13, v76
	s_waitcnt lgkmcnt(0)
	v_cmp_lt_i32_e64 s[18:19], v72, v71
	s_or_b64 s[16:17], s[16:17], s[18:19]
	s_and_b64 s[14:15], s[14:15], s[16:17]
	s_xor_b64 s[16:17], s[14:15], -1
                                        ; implicit-def: $vgpr73
	s_and_saveexec_b64 s[18:19], s[16:17]
	s_xor_b64 s[16:17], exec, s[18:19]
; %bb.79:                               ;   in Loop: Header=BB24_2 Depth=1
	ds_read_b32 v73, v74 offset:4
                                        ; implicit-def: $vgpr77
; %bb.80:                               ;   in Loop: Header=BB24_2 Depth=1
	s_or_saveexec_b64 s[16:17], s[16:17]
	v_mov_b32_e32 v74, v72
	s_xor_b64 exec, exec, s[16:17]
	s_cbranch_execz .LBB24_82
; %bb.81:                               ;   in Loop: Header=BB24_2 Depth=1
	ds_read_b32 v74, v77 offset:772
	s_waitcnt lgkmcnt(1)
	v_mov_b32_e32 v73, v71
.LBB24_82:                              ;   in Loop: Header=BB24_2 Depth=1
	s_or_b64 exec, exec, s[16:17]
	v_add_u32_e32 v78, 1, v75
	v_add_u32_e32 v77, 1, v76
	v_cndmask_b32_e64 v75, v78, v75, s[14:15]
	v_cndmask_b32_e64 v76, v76, v77, s[14:15]
	v_cmp_ge_i32_e64 s[18:19], v75, v14
	s_waitcnt lgkmcnt(0)
	v_cmp_lt_i32_e64 s[20:21], v74, v73
	v_cmp_lt_i32_e64 s[16:17], v76, v13
	s_or_b64 s[18:19], s[18:19], s[20:21]
	s_and_b64 s[16:17], s[16:17], s[18:19]
	s_xor_b64 s[18:19], s[16:17], -1
                                        ; implicit-def: $vgpr77
	s_and_saveexec_b64 s[20:21], s[18:19]
	s_xor_b64 s[18:19], exec, s[20:21]
; %bb.83:                               ;   in Loop: Header=BB24_2 Depth=1
	v_lshlrev_b32_e32 v77, 2, v75
	ds_read_b32 v77, v77 offset:4
; %bb.84:                               ;   in Loop: Header=BB24_2 Depth=1
	s_or_saveexec_b64 s[18:19], s[18:19]
	v_mov_b32_e32 v78, v74
	s_xor_b64 exec, exec, s[18:19]
	s_cbranch_execz .LBB24_86
; %bb.85:                               ;   in Loop: Header=BB24_2 Depth=1
	s_waitcnt lgkmcnt(0)
	v_lshlrev_b32_e32 v77, 2, v76
	ds_read_b32 v78, v77 offset:4
	v_mov_b32_e32 v77, v73
.LBB24_86:                              ;   in Loop: Header=BB24_2 Depth=1
	s_or_b64 exec, exec, s[18:19]
	v_add_u32_e32 v79, 1, v75
	v_cndmask_b32_e64 v73, v73, v74, s[16:17]
	v_add_u32_e32 v74, 1, v76
	v_cndmask_b32_e64 v75, v79, v75, s[16:17]
	v_cndmask_b32_e64 v74, v76, v74, s[16:17]
	v_cmp_ge_i32_e64 s[16:17], v75, v14
	s_waitcnt lgkmcnt(0)
	v_cmp_lt_i32_e64 s[18:19], v78, v77
	v_cndmask_b32_e64 v71, v71, v72, s[14:15]
	v_cmp_lt_i32_e64 s[14:15], v74, v13
	s_or_b64 s[16:17], s[16:17], s[18:19]
	s_and_b64 s[14:15], s[14:15], s[16:17]
	v_cndmask_b32_e64 v72, v77, v78, s[14:15]
	s_barrier
	ds_write2_b32 v61, v71, v73 offset1:1
	ds_write_b32 v61, v72 offset:8
	v_mov_b32_e32 v73, v59
	s_waitcnt lgkmcnt(0)
	s_barrier
	s_and_saveexec_b64 s[16:17], s[12:13]
	s_cbranch_execz .LBB24_90
; %bb.87:                               ;   in Loop: Header=BB24_2 Depth=1
	s_mov_b64 s[18:19], 0
	v_mov_b32_e32 v73, v59
	v_mov_b32_e32 v71, v60
.LBB24_88:                              ;   Parent Loop BB24_2 Depth=1
                                        ; =>  This Inner Loop Header: Depth=2
	v_sub_u32_e32 v72, v71, v73
	v_lshrrev_b32_e32 v72, 1, v72
	v_add_u32_e32 v72, v72, v73
	v_not_b32_e32 v75, v72
	v_lshlrev_b32_e32 v74, 2, v72
	v_lshl_add_u32 v75, v75, 2, v70
	ds_read_b32 v74, v74
	ds_read_b32 v75, v75 offset:1536
	v_add_u32_e32 v76, 1, v72
	s_waitcnt lgkmcnt(0)
	v_cmp_lt_i32_e64 s[14:15], v75, v74
	v_cndmask_b32_e64 v71, v71, v72, s[14:15]
	v_cndmask_b32_e64 v73, v76, v73, s[14:15]
	v_cmp_ge_i32_e64 s[14:15], v73, v71
	s_or_b64 s[18:19], s[14:15], s[18:19]
	s_andn2_b64 exec, exec, s[18:19]
	s_cbranch_execnz .LBB24_88
; %bb.89:                               ;   in Loop: Header=BB24_2 Depth=1
	s_or_b64 exec, exec, s[18:19]
.LBB24_90:                              ;   in Loop: Header=BB24_2 Depth=1
	s_or_b64 exec, exec, s[16:17]
	v_lshlrev_b32_e32 v75, 2, v73
	v_sub_u32_e32 v71, v58, v73
	v_lshlrev_b32_e32 v77, 2, v71
	ds_read_b32 v71, v75
	ds_read_b32 v72, v77 offset:1536
	v_sub_u32_e32 v76, v69, v73
	v_cmp_le_i32_e64 s[16:17], v57, v73
	v_cmp_gt_i32_e64 s[14:15], s26, v76
                                        ; implicit-def: $vgpr74
	s_waitcnt lgkmcnt(0)
	v_cmp_lt_i32_e64 s[18:19], v72, v71
	s_or_b64 s[16:17], s[16:17], s[18:19]
	s_and_b64 s[14:15], s[14:15], s[16:17]
	s_xor_b64 s[16:17], s[14:15], -1
	s_and_saveexec_b64 s[18:19], s[16:17]
	s_xor_b64 s[16:17], exec, s[18:19]
; %bb.91:                               ;   in Loop: Header=BB24_2 Depth=1
	ds_read_b32 v74, v75 offset:4
                                        ; implicit-def: $vgpr77
; %bb.92:                               ;   in Loop: Header=BB24_2 Depth=1
	s_or_saveexec_b64 s[16:17], s[16:17]
	v_mov_b32_e32 v75, v72
	s_xor_b64 exec, exec, s[16:17]
	s_cbranch_execz .LBB24_94
; %bb.93:                               ;   in Loop: Header=BB24_2 Depth=1
	ds_read_b32 v75, v77 offset:1540
	s_waitcnt lgkmcnt(1)
	v_mov_b32_e32 v74, v71
.LBB24_94:                              ;   in Loop: Header=BB24_2 Depth=1
	s_or_b64 exec, exec, s[16:17]
	v_add_u32_e32 v77, 1, v76
	v_add_u32_e32 v78, 1, v73
	v_cndmask_b32_e64 v76, v76, v77, s[14:15]
	v_cndmask_b32_e64 v77, v78, v73, s[14:15]
	v_cmp_ge_i32_e64 s[18:19], v77, v57
	s_waitcnt lgkmcnt(0)
	v_cmp_lt_i32_e64 s[20:21], v75, v74
	v_cmp_gt_i32_e64 s[16:17], s26, v76
	s_or_b64 s[18:19], s[18:19], s[20:21]
	s_and_b64 s[16:17], s[16:17], s[18:19]
	s_xor_b64 s[18:19], s[16:17], -1
                                        ; implicit-def: $vgpr73
                                        ; implicit-def: $vgpr78
	s_and_saveexec_b64 s[20:21], s[18:19]
	s_xor_b64 s[18:19], exec, s[20:21]
; %bb.95:                               ;   in Loop: Header=BB24_2 Depth=1
	v_lshlrev_b32_e32 v73, 2, v77
	ds_read_b32 v73, v73 offset:4
	v_add_u32_e32 v78, 1, v77
                                        ; implicit-def: $vgpr77
; %bb.96:                               ;   in Loop: Header=BB24_2 Depth=1
	s_or_saveexec_b64 s[18:19], s[18:19]
	v_mov_b32_e32 v79, v75
	s_xor_b64 exec, exec, s[18:19]
	s_cbranch_execz .LBB24_1
; %bb.97:                               ;   in Loop: Header=BB24_2 Depth=1
	s_waitcnt lgkmcnt(0)
	v_lshlrev_b32_e32 v73, 2, v76
	ds_read_b32 v79, v73 offset:4
	v_add_u32_e32 v76, 1, v76
	v_mov_b32_e32 v78, v77
	v_mov_b32_e32 v73, v74
	s_branch .LBB24_1
.LBB24_98:
	s_add_u32 s0, s22, s24
	s_addc_u32 s1, s23, s25
	v_lshlrev_b32_e32 v0, 2, v0
	global_store_dword v0, v71, s[0:1]
	global_store_dword v0, v72, s[0:1] offset:1024
	global_store_dword v0, v73, s[0:1] offset:2048
	s_endpgm
	.section	.rodata,"a",@progbits
	.p2align	6, 0x0
	.amdhsa_kernel _Z16sort_keys_kernelIiLj256ELj3EN10test_utils4lessELj10EEvPKT_PS2_T2_
		.amdhsa_group_segment_fixed_size 3076
		.amdhsa_private_segment_fixed_size 0
		.amdhsa_kernarg_size 20
		.amdhsa_user_sgpr_count 6
		.amdhsa_user_sgpr_private_segment_buffer 1
		.amdhsa_user_sgpr_dispatch_ptr 0
		.amdhsa_user_sgpr_queue_ptr 0
		.amdhsa_user_sgpr_kernarg_segment_ptr 1
		.amdhsa_user_sgpr_dispatch_id 0
		.amdhsa_user_sgpr_flat_scratch_init 0
		.amdhsa_user_sgpr_private_segment_size 0
		.amdhsa_uses_dynamic_stack 0
		.amdhsa_system_sgpr_private_segment_wavefront_offset 0
		.amdhsa_system_sgpr_workgroup_id_x 1
		.amdhsa_system_sgpr_workgroup_id_y 0
		.amdhsa_system_sgpr_workgroup_id_z 0
		.amdhsa_system_sgpr_workgroup_info 0
		.amdhsa_system_vgpr_workitem_id 0
		.amdhsa_next_free_vgpr 80
		.amdhsa_next_free_sgpr 28
		.amdhsa_reserve_vcc 1
		.amdhsa_reserve_flat_scratch 0
		.amdhsa_float_round_mode_32 0
		.amdhsa_float_round_mode_16_64 0
		.amdhsa_float_denorm_mode_32 3
		.amdhsa_float_denorm_mode_16_64 3
		.amdhsa_dx10_clamp 1
		.amdhsa_ieee_mode 1
		.amdhsa_fp16_overflow 0
		.amdhsa_exception_fp_ieee_invalid_op 0
		.amdhsa_exception_fp_denorm_src 0
		.amdhsa_exception_fp_ieee_div_zero 0
		.amdhsa_exception_fp_ieee_overflow 0
		.amdhsa_exception_fp_ieee_underflow 0
		.amdhsa_exception_fp_ieee_inexact 0
		.amdhsa_exception_int_div_zero 0
	.end_amdhsa_kernel
	.section	.text._Z16sort_keys_kernelIiLj256ELj3EN10test_utils4lessELj10EEvPKT_PS2_T2_,"axG",@progbits,_Z16sort_keys_kernelIiLj256ELj3EN10test_utils4lessELj10EEvPKT_PS2_T2_,comdat
.Lfunc_end24:
	.size	_Z16sort_keys_kernelIiLj256ELj3EN10test_utils4lessELj10EEvPKT_PS2_T2_, .Lfunc_end24-_Z16sort_keys_kernelIiLj256ELj3EN10test_utils4lessELj10EEvPKT_PS2_T2_
                                        ; -- End function
	.set _Z16sort_keys_kernelIiLj256ELj3EN10test_utils4lessELj10EEvPKT_PS2_T2_.num_vgpr, 80
	.set _Z16sort_keys_kernelIiLj256ELj3EN10test_utils4lessELj10EEvPKT_PS2_T2_.num_agpr, 0
	.set _Z16sort_keys_kernelIiLj256ELj3EN10test_utils4lessELj10EEvPKT_PS2_T2_.numbered_sgpr, 28
	.set _Z16sort_keys_kernelIiLj256ELj3EN10test_utils4lessELj10EEvPKT_PS2_T2_.num_named_barrier, 0
	.set _Z16sort_keys_kernelIiLj256ELj3EN10test_utils4lessELj10EEvPKT_PS2_T2_.private_seg_size, 0
	.set _Z16sort_keys_kernelIiLj256ELj3EN10test_utils4lessELj10EEvPKT_PS2_T2_.uses_vcc, 1
	.set _Z16sort_keys_kernelIiLj256ELj3EN10test_utils4lessELj10EEvPKT_PS2_T2_.uses_flat_scratch, 0
	.set _Z16sort_keys_kernelIiLj256ELj3EN10test_utils4lessELj10EEvPKT_PS2_T2_.has_dyn_sized_stack, 0
	.set _Z16sort_keys_kernelIiLj256ELj3EN10test_utils4lessELj10EEvPKT_PS2_T2_.has_recursion, 0
	.set _Z16sort_keys_kernelIiLj256ELj3EN10test_utils4lessELj10EEvPKT_PS2_T2_.has_indirect_call, 0
	.section	.AMDGPU.csdata,"",@progbits
; Kernel info:
; codeLenInByte = 5128
; TotalNumSgprs: 32
; NumVgprs: 80
; ScratchSize: 0
; MemoryBound: 0
; FloatMode: 240
; IeeeMode: 1
; LDSByteSize: 3076 bytes/workgroup (compile time only)
; SGPRBlocks: 3
; VGPRBlocks: 19
; NumSGPRsForWavesPerEU: 32
; NumVGPRsForWavesPerEU: 80
; Occupancy: 3
; WaveLimiterHint : 1
; COMPUTE_PGM_RSRC2:SCRATCH_EN: 0
; COMPUTE_PGM_RSRC2:USER_SGPR: 6
; COMPUTE_PGM_RSRC2:TRAP_HANDLER: 0
; COMPUTE_PGM_RSRC2:TGID_X_EN: 1
; COMPUTE_PGM_RSRC2:TGID_Y_EN: 0
; COMPUTE_PGM_RSRC2:TGID_Z_EN: 0
; COMPUTE_PGM_RSRC2:TIDIG_COMP_CNT: 0
	.section	.text._Z17sort_pairs_kernelIiLj256ELj3EN10test_utils4lessELj10EEvPKT_PS2_T2_,"axG",@progbits,_Z17sort_pairs_kernelIiLj256ELj3EN10test_utils4lessELj10EEvPKT_PS2_T2_,comdat
	.protected	_Z17sort_pairs_kernelIiLj256ELj3EN10test_utils4lessELj10EEvPKT_PS2_T2_ ; -- Begin function _Z17sort_pairs_kernelIiLj256ELj3EN10test_utils4lessELj10EEvPKT_PS2_T2_
	.globl	_Z17sort_pairs_kernelIiLj256ELj3EN10test_utils4lessELj10EEvPKT_PS2_T2_
	.p2align	8
	.type	_Z17sort_pairs_kernelIiLj256ELj3EN10test_utils4lessELj10EEvPKT_PS2_T2_,@function
_Z17sort_pairs_kernelIiLj256ELj3EN10test_utils4lessELj10EEvPKT_PS2_T2_: ; @_Z17sort_pairs_kernelIiLj256ELj3EN10test_utils4lessELj10EEvPKT_PS2_T2_
; %bb.0:
	s_load_dwordx4 s[28:31], s[4:5], 0x0
	s_mul_i32 s36, s6, 0x300
	s_mov_b32 s37, 0
	s_lshl_b64 s[34:35], s[36:37], 2
	v_lshlrev_b32_e32 v18, 2, v0
	s_waitcnt lgkmcnt(0)
	s_add_u32 s0, s28, s34
	s_addc_u32 s1, s29, s35
	global_load_dword v73, v18, s[0:1]
	global_load_dword v74, v18, s[0:1] offset:1024
	global_load_dword v72, v18, s[0:1] offset:2048
	v_and_b32_e32 v1, 0xfe, v0
	v_and_b32_e32 v3, 0xfc, v0
	;; [unrolled: 1-line block ×7, first 2 shown]
	v_mul_u32_u24_e32 v15, 3, v1
	v_mul_u32_u24_e32 v21, 3, v3
	;; [unrolled: 1-line block ×7, first 2 shown]
	v_and_b32_e32 v1, 1, v0
	v_min_u32_e32 v19, 0x2fd, v15
	v_min_u32_e32 v2, 0x2fa, v15
	;; [unrolled: 1-line block ×14, first 2 shown]
	v_cmp_eq_u32_e32 vcc, 1, v1
	v_add_u32_e32 v1, 3, v19
	v_add_u32_e32 v2, 6, v2
	v_and_b32_e32 v26, 3, v0
	v_add_u32_e32 v3, 6, v25
	v_add_u32_e32 v4, 12, v4
	v_and_b32_e32 v32, 7, v0
	v_add_u32_e32 v5, 12, v31
	v_add_u32_e32 v6, 24, v6
	;; [unrolled: 1-line block ×3, first 2 shown]
	v_and_b32_e32 v38, 15, v0
	v_add_u32_e32 v8, 24, v37
	v_add_u32_e32 v9, 0x60, v9
	v_and_b32_e32 v44, 31, v0
	v_add_u32_e32 v10, 48, v43
	v_add_u32_e32 v11, 0xc0, v11
	;; [unrolled: 3-line block ×3, first 2 shown]
	v_and_b32_e32 v56, 0x7f, v0
	v_add_u32_e32 v14, 0xc0, v55
	v_cndmask_b32_e64 v20, 0, 3, vcc
	v_sub_u32_e32 v16, v2, v1
	v_mul_u32_u24_e32 v24, 3, v26
	v_sub_u32_e32 v22, v4, v3
	v_mul_u32_u24_e32 v30, 3, v32
	;; [unrolled: 2-line block ×6, first 2 shown]
	v_sub_u32_e32 v52, v13, v14
	v_sub_u32_e32 v17, v20, v16
	v_sub_u32_e32 v23, v24, v22
	v_sub_u32_e32 v29, v30, v28
	v_sub_u32_e32 v35, v36, v34
	v_sub_u32_e32 v41, v42, v40
	v_sub_u32_e32 v47, v48, v46
	v_sub_u32_e32 v53, v54, v52
	v_min_u32_e32 v15, 0x300, v15
	v_cmp_ge_i32_e32 vcc, v20, v16
	v_min_u32_e32 v21, 0x300, v21
	v_cmp_ge_i32_e64 s[0:1], v24, v22
	v_min_u32_e32 v27, 0x300, v27
	v_cmp_ge_i32_e64 s[2:3], v30, v28
	;; [unrolled: 2-line block ×6, first 2 shown]
	v_cndmask_b32_e32 v16, 0, v17, vcc
	v_sub_u32_e32 v17, v1, v15
	v_cndmask_b32_e64 v22, 0, v23, s[0:1]
	v_sub_u32_e32 v23, v3, v21
	v_cndmask_b32_e64 v28, 0, v29, s[2:3]
	;; [unrolled: 2-line block ×6, first 2 shown]
	v_sub_u32_e32 v53, v14, v51
	v_mov_b32_e32 v57, 0x180
	v_mul_u32_u24_e32 v58, 3, v0
	v_min_i32_e32 v17, v20, v17
	v_lshlrev_b32_e32 v18, 2, v20
	v_min_i32_e32 v23, v24, v23
	v_lshlrev_b32_e32 v24, 2, v24
	;; [unrolled: 2-line block ×7, first 2 shown]
	v_sub_u32_e64 v59, v58, v57 clamp
	v_min_i32_e32 v60, 0x180, v58
	s_movk_i32 s28, 0x300
	v_cmp_lt_i32_e32 vcc, v16, v17
	v_lshl_add_u32 v18, v19, 2, v18
	v_add_u32_e32 v19, v19, v20
	v_add_u32_e32 v20, v1, v20
	v_cmp_lt_i32_e64 s[0:1], v22, v23
	v_lshl_add_u32 v24, v25, 2, v24
	v_mad_u32_u24 v25, v26, 3, v25
	v_mad_u32_u24 v26, v26, 3, v3
	v_cmp_lt_i32_e64 s[2:3], v28, v29
	v_lshl_add_u32 v30, v31, 2, v30
	v_mad_u32_u24 v31, v32, 3, v31
	v_mad_u32_u24 v32, v32, 3, v5
	;; [unrolled: 4-line block ×6, first 2 shown]
	v_cmp_lt_i32_e64 s[12:13], v59, v60
	s_waitcnt vmcnt(2)
	v_add_u32_e32 v69, 1, v73
	s_waitcnt vmcnt(1)
	v_add_u32_e32 v71, 1, v74
	;; [unrolled: 2-line block ×3, first 2 shown]
	v_mul_u32_u24_e32 v61, 12, v0
	v_lshlrev_b32_e32 v62, 2, v15
	v_lshlrev_b32_e32 v63, 2, v21
	;; [unrolled: 1-line block ×7, first 2 shown]
	s_branch .LBB25_2
.LBB25_1:                               ;   in Loop: Header=BB25_2 Depth=1
	s_or_b64 exec, exec, s[18:19]
	v_cmp_ge_i32_e64 s[20:21], v79, v57
	s_waitcnt lgkmcnt(0)
	v_cmp_lt_i32_e64 s[22:23], v83, v80
	v_cmp_gt_i32_e64 s[18:19], s28, v78
	s_or_b64 s[20:21], s[20:21], s[22:23]
	v_cndmask_b32_e64 v76, v72, v76, s[14:15]
	s_and_b64 s[18:19], s[18:19], s[20:21]
	v_cndmask_b32_e64 v78, v79, v78, s[18:19]
	s_barrier
	ds_write2_b32 v61, v69, v70 offset1:1
	ds_write_b32 v61, v71 offset:8
	v_lshlrev_b32_e32 v69, 2, v76
	v_lshlrev_b32_e32 v70, 2, v81
	s_waitcnt lgkmcnt(0)
	s_barrier
	v_lshlrev_b32_e32 v76, 2, v78
	ds_read_b32 v69, v69
	ds_read_b32 v71, v70
	;; [unrolled: 1-line block ×3, first 2 shown]
	s_add_i32 s37, s37, 1
	v_cndmask_b32_e64 v72, v80, v83, s[18:19]
	v_cndmask_b32_e64 v73, v73, v74, s[14:15]
	s_cmp_eq_u32 s37, 10
	v_cndmask_b32_e64 v74, v75, v77, s[16:17]
	s_cbranch_scc1 .LBB25_98
.LBB25_2:                               ; =>This Loop Header: Depth=1
                                        ;     Child Loop BB25_4 Depth 2
                                        ;     Child Loop BB25_16 Depth 2
	;; [unrolled: 1-line block ×8, first 2 shown]
	v_cmp_lt_i32_e64 s[14:15], v74, v73
	v_cndmask_b32_e64 v75, v73, v74, s[14:15]
	v_cndmask_b32_e64 v76, v74, v73, s[14:15]
	v_max_i32_e32 v73, v74, v73
	v_cmp_lt_i32_e64 s[16:17], v72, v73
	v_cndmask_b32_e64 v74, v72, v73, s[16:17]
	v_cndmask_b32_e64 v76, v76, v72, s[16:17]
	v_min_i32_e32 v72, v72, v73
	v_cmp_lt_i32_e64 s[18:19], v72, v75
	v_cndmask_b32_e64 v73, v76, v75, s[18:19]
	v_cndmask_b32_e64 v72, v75, v72, s[18:19]
	v_mov_b32_e32 v75, v16
	s_waitcnt lgkmcnt(0)
	s_barrier
	ds_write2_b32 v61, v72, v73 offset1:1
	ds_write_b32 v61, v74 offset:8
	s_waitcnt lgkmcnt(0)
	s_barrier
	s_and_saveexec_b64 s[22:23], vcc
	s_cbranch_execz .LBB25_6
; %bb.3:                                ;   in Loop: Header=BB25_2 Depth=1
	s_mov_b64 s[24:25], 0
	v_mov_b32_e32 v75, v16
	v_mov_b32_e32 v72, v17
.LBB25_4:                               ;   Parent Loop BB25_2 Depth=1
                                        ; =>  This Inner Loop Header: Depth=2
	v_sub_u32_e32 v73, v72, v75
	v_lshrrev_b32_e32 v73, 1, v73
	v_add_u32_e32 v73, v73, v75
	v_not_b32_e32 v76, v73
	v_lshl_add_u32 v74, v73, 2, v62
	v_lshl_add_u32 v76, v76, 2, v18
	ds_read_b32 v74, v74
	ds_read_b32 v76, v76 offset:12
	v_add_u32_e32 v77, 1, v73
	s_waitcnt lgkmcnt(0)
	v_cmp_lt_i32_e64 s[20:21], v76, v74
	v_cndmask_b32_e64 v72, v72, v73, s[20:21]
	v_cndmask_b32_e64 v75, v77, v75, s[20:21]
	v_cmp_ge_i32_e64 s[20:21], v75, v72
	s_or_b64 s[24:25], s[20:21], s[24:25]
	s_andn2_b64 exec, exec, s[24:25]
	s_cbranch_execnz .LBB25_4
; %bb.5:                                ;   in Loop: Header=BB25_2 Depth=1
	s_or_b64 exec, exec, s[24:25]
.LBB25_6:                               ;   in Loop: Header=BB25_2 Depth=1
	s_or_b64 exec, exec, s[22:23]
	v_lshl_add_u32 v77, v75, 2, v62
	v_sub_u32_e32 v72, v19, v75
	v_lshlrev_b32_e32 v78, 2, v72
	ds_read_b32 v72, v77
	ds_read_b32 v74, v78 offset:12
	v_add_u32_e32 v73, v75, v15
	v_sub_u32_e32 v75, v20, v75
	v_cmp_le_i32_e64 s[22:23], v1, v73
	v_cmp_gt_i32_e64 s[20:21], v2, v75
	s_waitcnt lgkmcnt(0)
	v_cmp_lt_i32_e64 s[24:25], v74, v72
	s_or_b64 s[22:23], s[22:23], s[24:25]
	s_and_b64 s[20:21], s[20:21], s[22:23]
	s_xor_b64 s[22:23], s[20:21], -1
                                        ; implicit-def: $vgpr76
	s_and_saveexec_b64 s[24:25], s[22:23]
	s_xor_b64 s[22:23], exec, s[24:25]
; %bb.7:                                ;   in Loop: Header=BB25_2 Depth=1
	ds_read_b32 v76, v77 offset:4
                                        ; implicit-def: $vgpr78
; %bb.8:                                ;   in Loop: Header=BB25_2 Depth=1
	s_or_saveexec_b64 s[22:23], s[22:23]
	v_mov_b32_e32 v77, v74
	s_xor_b64 exec, exec, s[22:23]
	s_cbranch_execz .LBB25_10
; %bb.9:                                ;   in Loop: Header=BB25_2 Depth=1
	ds_read_b32 v77, v78 offset:16
	s_waitcnt lgkmcnt(1)
	v_mov_b32_e32 v76, v72
.LBB25_10:                              ;   in Loop: Header=BB25_2 Depth=1
	s_or_b64 exec, exec, s[22:23]
	v_add_u32_e32 v80, 1, v73
	v_add_u32_e32 v78, 1, v75
	v_cndmask_b32_e64 v80, v80, v73, s[20:21]
	v_cndmask_b32_e64 v79, v75, v78, s[20:21]
	v_cmp_ge_i32_e64 s[24:25], v80, v1
	s_waitcnt lgkmcnt(0)
	v_cmp_lt_i32_e64 s[26:27], v77, v76
	v_cmp_lt_i32_e64 s[22:23], v79, v2
	s_or_b64 s[24:25], s[24:25], s[26:27]
	s_and_b64 s[22:23], s[22:23], s[24:25]
	s_xor_b64 s[24:25], s[22:23], -1
                                        ; implicit-def: $vgpr78
	s_and_saveexec_b64 s[26:27], s[24:25]
	s_xor_b64 s[24:25], exec, s[26:27]
; %bb.11:                               ;   in Loop: Header=BB25_2 Depth=1
	v_lshlrev_b32_e32 v78, 2, v80
	ds_read_b32 v78, v78 offset:4
; %bb.12:                               ;   in Loop: Header=BB25_2 Depth=1
	s_or_saveexec_b64 s[24:25], s[24:25]
	v_mov_b32_e32 v81, v77
	s_xor_b64 exec, exec, s[24:25]
	s_cbranch_execz .LBB25_14
; %bb.13:                               ;   in Loop: Header=BB25_2 Depth=1
	s_waitcnt lgkmcnt(0)
	v_lshlrev_b32_e32 v78, 2, v79
	ds_read_b32 v81, v78 offset:4
	v_mov_b32_e32 v78, v76
.LBB25_14:                              ;   in Loop: Header=BB25_2 Depth=1
	s_or_b64 exec, exec, s[24:25]
	v_add_u32_e32 v82, 1, v80
	v_cndmask_b32_e64 v72, v72, v74, s[20:21]
	v_cndmask_b32_e64 v74, v69, v71, s[14:15]
	;; [unrolled: 1-line block ×4, first 2 shown]
	v_add_u32_e32 v77, 1, v79
	v_cndmask_b32_e64 v82, v82, v80, s[22:23]
	v_cndmask_b32_e64 v71, v70, v69, s[16:17]
	;; [unrolled: 1-line block ×6, first 2 shown]
	v_cmp_ge_i32_e64 s[16:17], v82, v1
	s_waitcnt lgkmcnt(0)
	v_cmp_lt_i32_e64 s[18:19], v81, v78
	v_cmp_lt_i32_e64 s[14:15], v77, v2
	s_or_b64 s[16:17], s[16:17], s[18:19]
	s_and_b64 s[14:15], s[14:15], s[16:17]
	v_cndmask_b32_e64 v79, v80, v79, s[22:23]
	v_cndmask_b32_e64 v73, v73, v75, s[20:21]
	;; [unrolled: 1-line block ×3, first 2 shown]
	s_barrier
	ds_write2_b32 v61, v69, v70 offset1:1
	ds_write_b32 v61, v71 offset:8
	v_lshlrev_b32_e32 v69, 2, v73
	v_lshlrev_b32_e32 v70, 2, v79
	;; [unrolled: 1-line block ×3, first 2 shown]
	s_waitcnt lgkmcnt(0)
	s_barrier
	ds_read_b32 v69, v69
	ds_read_b32 v70, v70
	;; [unrolled: 1-line block ×3, first 2 shown]
	v_mov_b32_e32 v75, v22
	v_cndmask_b32_e64 v74, v78, v81, s[14:15]
	s_waitcnt lgkmcnt(0)
	s_barrier
	ds_write2_b32 v61, v72, v76 offset1:1
	ds_write_b32 v61, v74 offset:8
	s_waitcnt lgkmcnt(0)
	s_barrier
	s_and_saveexec_b64 s[16:17], s[0:1]
	s_cbranch_execz .LBB25_18
; %bb.15:                               ;   in Loop: Header=BB25_2 Depth=1
	s_mov_b64 s[18:19], 0
	v_mov_b32_e32 v75, v22
	v_mov_b32_e32 v72, v23
.LBB25_16:                              ;   Parent Loop BB25_2 Depth=1
                                        ; =>  This Inner Loop Header: Depth=2
	v_sub_u32_e32 v73, v72, v75
	v_lshrrev_b32_e32 v73, 1, v73
	v_add_u32_e32 v73, v73, v75
	v_not_b32_e32 v76, v73
	v_lshl_add_u32 v74, v73, 2, v63
	v_lshl_add_u32 v76, v76, 2, v24
	ds_read_b32 v74, v74
	ds_read_b32 v76, v76 offset:24
	v_add_u32_e32 v77, 1, v73
	s_waitcnt lgkmcnt(0)
	v_cmp_lt_i32_e64 s[14:15], v76, v74
	v_cndmask_b32_e64 v72, v72, v73, s[14:15]
	v_cndmask_b32_e64 v75, v77, v75, s[14:15]
	v_cmp_ge_i32_e64 s[14:15], v75, v72
	s_or_b64 s[18:19], s[14:15], s[18:19]
	s_andn2_b64 exec, exec, s[18:19]
	s_cbranch_execnz .LBB25_16
; %bb.17:                               ;   in Loop: Header=BB25_2 Depth=1
	s_or_b64 exec, exec, s[18:19]
.LBB25_18:                              ;   in Loop: Header=BB25_2 Depth=1
	s_or_b64 exec, exec, s[16:17]
	v_lshl_add_u32 v77, v75, 2, v63
	v_sub_u32_e32 v72, v25, v75
	v_lshlrev_b32_e32 v78, 2, v72
	ds_read_b32 v72, v77
	ds_read_b32 v74, v78 offset:24
	v_add_u32_e32 v73, v75, v21
	v_sub_u32_e32 v75, v26, v75
	v_cmp_le_i32_e64 s[16:17], v3, v73
	v_cmp_gt_i32_e64 s[14:15], v4, v75
	s_waitcnt lgkmcnt(0)
	v_cmp_lt_i32_e64 s[18:19], v74, v72
	s_or_b64 s[16:17], s[16:17], s[18:19]
	s_and_b64 s[14:15], s[14:15], s[16:17]
	s_xor_b64 s[16:17], s[14:15], -1
                                        ; implicit-def: $vgpr76
	s_and_saveexec_b64 s[18:19], s[16:17]
	s_xor_b64 s[16:17], exec, s[18:19]
; %bb.19:                               ;   in Loop: Header=BB25_2 Depth=1
	ds_read_b32 v76, v77 offset:4
                                        ; implicit-def: $vgpr78
; %bb.20:                               ;   in Loop: Header=BB25_2 Depth=1
	s_or_saveexec_b64 s[16:17], s[16:17]
	v_mov_b32_e32 v77, v74
	s_xor_b64 exec, exec, s[16:17]
	s_cbranch_execz .LBB25_22
; %bb.21:                               ;   in Loop: Header=BB25_2 Depth=1
	ds_read_b32 v77, v78 offset:28
	s_waitcnt lgkmcnt(1)
	v_mov_b32_e32 v76, v72
.LBB25_22:                              ;   in Loop: Header=BB25_2 Depth=1
	s_or_b64 exec, exec, s[16:17]
	v_add_u32_e32 v79, 1, v73
	v_add_u32_e32 v78, 1, v75
	v_cndmask_b32_e64 v79, v79, v73, s[14:15]
	v_cndmask_b32_e64 v78, v75, v78, s[14:15]
	v_cmp_ge_i32_e64 s[18:19], v79, v3
	s_waitcnt lgkmcnt(0)
	v_cmp_lt_i32_e64 s[20:21], v77, v76
	v_cmp_lt_i32_e64 s[16:17], v78, v4
	s_or_b64 s[18:19], s[18:19], s[20:21]
	s_and_b64 s[16:17], s[16:17], s[18:19]
	s_xor_b64 s[18:19], s[16:17], -1
                                        ; implicit-def: $vgpr80
	s_and_saveexec_b64 s[20:21], s[18:19]
	s_xor_b64 s[18:19], exec, s[20:21]
; %bb.23:                               ;   in Loop: Header=BB25_2 Depth=1
	v_lshlrev_b32_e32 v80, 2, v79
	ds_read_b32 v80, v80 offset:4
; %bb.24:                               ;   in Loop: Header=BB25_2 Depth=1
	s_or_saveexec_b64 s[18:19], s[18:19]
	v_mov_b32_e32 v81, v77
	s_xor_b64 exec, exec, s[18:19]
	s_cbranch_execz .LBB25_26
; %bb.25:                               ;   in Loop: Header=BB25_2 Depth=1
	s_waitcnt lgkmcnt(0)
	v_lshlrev_b32_e32 v80, 2, v78
	ds_read_b32 v81, v80 offset:4
	v_mov_b32_e32 v80, v76
.LBB25_26:                              ;   in Loop: Header=BB25_2 Depth=1
	s_or_b64 exec, exec, s[18:19]
	v_add_u32_e32 v82, 1, v79
	v_cndmask_b32_e64 v76, v76, v77, s[16:17]
	v_add_u32_e32 v77, 1, v78
	v_cndmask_b32_e64 v82, v82, v79, s[16:17]
	v_cndmask_b32_e64 v77, v78, v77, s[16:17]
	v_cndmask_b32_e64 v78, v79, v78, s[16:17]
	v_cmp_ge_i32_e64 s[16:17], v82, v3
	s_waitcnt lgkmcnt(0)
	v_cmp_lt_i32_e64 s[18:19], v81, v80
	v_cndmask_b32_e64 v72, v72, v74, s[14:15]
	v_cndmask_b32_e64 v73, v73, v75, s[14:15]
	v_cmp_lt_i32_e64 s[14:15], v77, v4
	s_or_b64 s[16:17], s[16:17], s[18:19]
	s_and_b64 s[14:15], s[14:15], s[16:17]
	v_cndmask_b32_e64 v75, v82, v77, s[14:15]
	s_barrier
	ds_write2_b32 v61, v69, v70 offset1:1
	ds_write_b32 v61, v71 offset:8
	v_lshlrev_b32_e32 v69, 2, v73
	v_lshlrev_b32_e32 v70, 2, v78
	;; [unrolled: 1-line block ×3, first 2 shown]
	s_waitcnt lgkmcnt(0)
	s_barrier
	ds_read_b32 v69, v69
	ds_read_b32 v70, v70
	;; [unrolled: 1-line block ×3, first 2 shown]
	v_mov_b32_e32 v75, v28
	v_cndmask_b32_e64 v74, v80, v81, s[14:15]
	s_waitcnt lgkmcnt(0)
	s_barrier
	ds_write2_b32 v61, v72, v76 offset1:1
	ds_write_b32 v61, v74 offset:8
	s_waitcnt lgkmcnt(0)
	s_barrier
	s_and_saveexec_b64 s[16:17], s[2:3]
	s_cbranch_execz .LBB25_30
; %bb.27:                               ;   in Loop: Header=BB25_2 Depth=1
	s_mov_b64 s[18:19], 0
	v_mov_b32_e32 v75, v28
	v_mov_b32_e32 v72, v29
.LBB25_28:                              ;   Parent Loop BB25_2 Depth=1
                                        ; =>  This Inner Loop Header: Depth=2
	v_sub_u32_e32 v73, v72, v75
	v_lshrrev_b32_e32 v73, 1, v73
	v_add_u32_e32 v73, v73, v75
	v_not_b32_e32 v76, v73
	v_lshl_add_u32 v74, v73, 2, v64
	v_lshl_add_u32 v76, v76, 2, v30
	ds_read_b32 v74, v74
	ds_read_b32 v76, v76 offset:48
	v_add_u32_e32 v77, 1, v73
	s_waitcnt lgkmcnt(0)
	v_cmp_lt_i32_e64 s[14:15], v76, v74
	v_cndmask_b32_e64 v72, v72, v73, s[14:15]
	v_cndmask_b32_e64 v75, v77, v75, s[14:15]
	v_cmp_ge_i32_e64 s[14:15], v75, v72
	s_or_b64 s[18:19], s[14:15], s[18:19]
	s_andn2_b64 exec, exec, s[18:19]
	s_cbranch_execnz .LBB25_28
; %bb.29:                               ;   in Loop: Header=BB25_2 Depth=1
	s_or_b64 exec, exec, s[18:19]
.LBB25_30:                              ;   in Loop: Header=BB25_2 Depth=1
	s_or_b64 exec, exec, s[16:17]
	v_lshl_add_u32 v77, v75, 2, v64
	v_sub_u32_e32 v72, v31, v75
	v_lshlrev_b32_e32 v78, 2, v72
	ds_read_b32 v72, v77
	ds_read_b32 v74, v78 offset:48
	v_add_u32_e32 v73, v75, v27
	v_sub_u32_e32 v75, v32, v75
	v_cmp_le_i32_e64 s[16:17], v5, v73
	v_cmp_gt_i32_e64 s[14:15], v6, v75
	s_waitcnt lgkmcnt(0)
	v_cmp_lt_i32_e64 s[18:19], v74, v72
	s_or_b64 s[16:17], s[16:17], s[18:19]
	s_and_b64 s[14:15], s[14:15], s[16:17]
	s_xor_b64 s[16:17], s[14:15], -1
                                        ; implicit-def: $vgpr76
	s_and_saveexec_b64 s[18:19], s[16:17]
	s_xor_b64 s[16:17], exec, s[18:19]
; %bb.31:                               ;   in Loop: Header=BB25_2 Depth=1
	ds_read_b32 v76, v77 offset:4
                                        ; implicit-def: $vgpr78
; %bb.32:                               ;   in Loop: Header=BB25_2 Depth=1
	s_or_saveexec_b64 s[16:17], s[16:17]
	v_mov_b32_e32 v77, v74
	s_xor_b64 exec, exec, s[16:17]
	s_cbranch_execz .LBB25_34
; %bb.33:                               ;   in Loop: Header=BB25_2 Depth=1
	ds_read_b32 v77, v78 offset:52
	s_waitcnt lgkmcnt(1)
	v_mov_b32_e32 v76, v72
.LBB25_34:                              ;   in Loop: Header=BB25_2 Depth=1
	s_or_b64 exec, exec, s[16:17]
	v_add_u32_e32 v79, 1, v73
	v_add_u32_e32 v78, 1, v75
	v_cndmask_b32_e64 v79, v79, v73, s[14:15]
	v_cndmask_b32_e64 v78, v75, v78, s[14:15]
	v_cmp_ge_i32_e64 s[18:19], v79, v5
	s_waitcnt lgkmcnt(0)
	v_cmp_lt_i32_e64 s[20:21], v77, v76
	v_cmp_lt_i32_e64 s[16:17], v78, v6
	s_or_b64 s[18:19], s[18:19], s[20:21]
	s_and_b64 s[16:17], s[16:17], s[18:19]
	s_xor_b64 s[18:19], s[16:17], -1
                                        ; implicit-def: $vgpr80
	s_and_saveexec_b64 s[20:21], s[18:19]
	s_xor_b64 s[18:19], exec, s[20:21]
; %bb.35:                               ;   in Loop: Header=BB25_2 Depth=1
	v_lshlrev_b32_e32 v80, 2, v79
	ds_read_b32 v80, v80 offset:4
; %bb.36:                               ;   in Loop: Header=BB25_2 Depth=1
	s_or_saveexec_b64 s[18:19], s[18:19]
	v_mov_b32_e32 v81, v77
	s_xor_b64 exec, exec, s[18:19]
	s_cbranch_execz .LBB25_38
; %bb.37:                               ;   in Loop: Header=BB25_2 Depth=1
	s_waitcnt lgkmcnt(0)
	v_lshlrev_b32_e32 v80, 2, v78
	ds_read_b32 v81, v80 offset:4
	v_mov_b32_e32 v80, v76
.LBB25_38:                              ;   in Loop: Header=BB25_2 Depth=1
	s_or_b64 exec, exec, s[18:19]
	v_add_u32_e32 v82, 1, v79
	v_cndmask_b32_e64 v76, v76, v77, s[16:17]
	v_add_u32_e32 v77, 1, v78
	v_cndmask_b32_e64 v82, v82, v79, s[16:17]
	v_cndmask_b32_e64 v77, v78, v77, s[16:17]
	;; [unrolled: 1-line block ×3, first 2 shown]
	v_cmp_ge_i32_e64 s[16:17], v82, v5
	s_waitcnt lgkmcnt(0)
	v_cmp_lt_i32_e64 s[18:19], v81, v80
	v_cndmask_b32_e64 v72, v72, v74, s[14:15]
	v_cndmask_b32_e64 v73, v73, v75, s[14:15]
	v_cmp_lt_i32_e64 s[14:15], v77, v6
	s_or_b64 s[16:17], s[16:17], s[18:19]
	s_and_b64 s[14:15], s[14:15], s[16:17]
	v_cndmask_b32_e64 v75, v82, v77, s[14:15]
	s_barrier
	ds_write2_b32 v61, v69, v70 offset1:1
	ds_write_b32 v61, v71 offset:8
	v_lshlrev_b32_e32 v69, 2, v73
	v_lshlrev_b32_e32 v70, 2, v78
	;; [unrolled: 1-line block ×3, first 2 shown]
	s_waitcnt lgkmcnt(0)
	s_barrier
	ds_read_b32 v69, v69
	ds_read_b32 v70, v70
	;; [unrolled: 1-line block ×3, first 2 shown]
	v_mov_b32_e32 v75, v34
	v_cndmask_b32_e64 v74, v80, v81, s[14:15]
	s_waitcnt lgkmcnt(0)
	s_barrier
	ds_write2_b32 v61, v72, v76 offset1:1
	ds_write_b32 v61, v74 offset:8
	s_waitcnt lgkmcnt(0)
	s_barrier
	s_and_saveexec_b64 s[16:17], s[4:5]
	s_cbranch_execz .LBB25_42
; %bb.39:                               ;   in Loop: Header=BB25_2 Depth=1
	s_mov_b64 s[18:19], 0
	v_mov_b32_e32 v75, v34
	v_mov_b32_e32 v72, v35
.LBB25_40:                              ;   Parent Loop BB25_2 Depth=1
                                        ; =>  This Inner Loop Header: Depth=2
	v_sub_u32_e32 v73, v72, v75
	v_lshrrev_b32_e32 v73, 1, v73
	v_add_u32_e32 v73, v73, v75
	v_not_b32_e32 v76, v73
	v_lshl_add_u32 v74, v73, 2, v65
	v_lshl_add_u32 v76, v76, 2, v36
	ds_read_b32 v74, v74
	ds_read_b32 v76, v76 offset:96
	v_add_u32_e32 v77, 1, v73
	s_waitcnt lgkmcnt(0)
	v_cmp_lt_i32_e64 s[14:15], v76, v74
	v_cndmask_b32_e64 v72, v72, v73, s[14:15]
	v_cndmask_b32_e64 v75, v77, v75, s[14:15]
	v_cmp_ge_i32_e64 s[14:15], v75, v72
	s_or_b64 s[18:19], s[14:15], s[18:19]
	s_andn2_b64 exec, exec, s[18:19]
	s_cbranch_execnz .LBB25_40
; %bb.41:                               ;   in Loop: Header=BB25_2 Depth=1
	s_or_b64 exec, exec, s[18:19]
.LBB25_42:                              ;   in Loop: Header=BB25_2 Depth=1
	s_or_b64 exec, exec, s[16:17]
	v_lshl_add_u32 v77, v75, 2, v65
	v_sub_u32_e32 v72, v37, v75
	v_lshlrev_b32_e32 v78, 2, v72
	ds_read_b32 v72, v77
	ds_read_b32 v74, v78 offset:96
	v_add_u32_e32 v73, v75, v33
	v_sub_u32_e32 v75, v38, v75
	v_cmp_le_i32_e64 s[16:17], v8, v73
	v_cmp_gt_i32_e64 s[14:15], v7, v75
	s_waitcnt lgkmcnt(0)
	v_cmp_lt_i32_e64 s[18:19], v74, v72
	s_or_b64 s[16:17], s[16:17], s[18:19]
	s_and_b64 s[14:15], s[14:15], s[16:17]
	s_xor_b64 s[16:17], s[14:15], -1
                                        ; implicit-def: $vgpr76
	s_and_saveexec_b64 s[18:19], s[16:17]
	s_xor_b64 s[16:17], exec, s[18:19]
; %bb.43:                               ;   in Loop: Header=BB25_2 Depth=1
	ds_read_b32 v76, v77 offset:4
                                        ; implicit-def: $vgpr78
; %bb.44:                               ;   in Loop: Header=BB25_2 Depth=1
	s_or_saveexec_b64 s[16:17], s[16:17]
	v_mov_b32_e32 v77, v74
	s_xor_b64 exec, exec, s[16:17]
	s_cbranch_execz .LBB25_46
; %bb.45:                               ;   in Loop: Header=BB25_2 Depth=1
	ds_read_b32 v77, v78 offset:100
	s_waitcnt lgkmcnt(1)
	v_mov_b32_e32 v76, v72
.LBB25_46:                              ;   in Loop: Header=BB25_2 Depth=1
	s_or_b64 exec, exec, s[16:17]
	v_add_u32_e32 v79, 1, v73
	v_add_u32_e32 v78, 1, v75
	v_cndmask_b32_e64 v79, v79, v73, s[14:15]
	v_cndmask_b32_e64 v78, v75, v78, s[14:15]
	v_cmp_ge_i32_e64 s[18:19], v79, v8
	s_waitcnt lgkmcnt(0)
	v_cmp_lt_i32_e64 s[20:21], v77, v76
	v_cmp_lt_i32_e64 s[16:17], v78, v7
	s_or_b64 s[18:19], s[18:19], s[20:21]
	s_and_b64 s[16:17], s[16:17], s[18:19]
	s_xor_b64 s[18:19], s[16:17], -1
                                        ; implicit-def: $vgpr80
	s_and_saveexec_b64 s[20:21], s[18:19]
	s_xor_b64 s[18:19], exec, s[20:21]
; %bb.47:                               ;   in Loop: Header=BB25_2 Depth=1
	v_lshlrev_b32_e32 v80, 2, v79
	ds_read_b32 v80, v80 offset:4
; %bb.48:                               ;   in Loop: Header=BB25_2 Depth=1
	s_or_saveexec_b64 s[18:19], s[18:19]
	v_mov_b32_e32 v81, v77
	s_xor_b64 exec, exec, s[18:19]
	s_cbranch_execz .LBB25_50
; %bb.49:                               ;   in Loop: Header=BB25_2 Depth=1
	s_waitcnt lgkmcnt(0)
	v_lshlrev_b32_e32 v80, 2, v78
	ds_read_b32 v81, v80 offset:4
	v_mov_b32_e32 v80, v76
.LBB25_50:                              ;   in Loop: Header=BB25_2 Depth=1
	s_or_b64 exec, exec, s[18:19]
	v_add_u32_e32 v82, 1, v79
	v_cndmask_b32_e64 v76, v76, v77, s[16:17]
	v_add_u32_e32 v77, 1, v78
	v_cndmask_b32_e64 v82, v82, v79, s[16:17]
	v_cndmask_b32_e64 v77, v78, v77, s[16:17]
	v_cndmask_b32_e64 v78, v79, v78, s[16:17]
	v_cmp_ge_i32_e64 s[16:17], v82, v8
	s_waitcnt lgkmcnt(0)
	v_cmp_lt_i32_e64 s[18:19], v81, v80
	v_cndmask_b32_e64 v72, v72, v74, s[14:15]
	v_cndmask_b32_e64 v73, v73, v75, s[14:15]
	v_cmp_lt_i32_e64 s[14:15], v77, v7
	s_or_b64 s[16:17], s[16:17], s[18:19]
	s_and_b64 s[14:15], s[14:15], s[16:17]
	v_cndmask_b32_e64 v75, v82, v77, s[14:15]
	s_barrier
	ds_write2_b32 v61, v69, v70 offset1:1
	ds_write_b32 v61, v71 offset:8
	v_lshlrev_b32_e32 v69, 2, v73
	v_lshlrev_b32_e32 v70, 2, v78
	;; [unrolled: 1-line block ×3, first 2 shown]
	s_waitcnt lgkmcnt(0)
	s_barrier
	ds_read_b32 v69, v69
	ds_read_b32 v70, v70
	;; [unrolled: 1-line block ×3, first 2 shown]
	v_mov_b32_e32 v75, v40
	v_cndmask_b32_e64 v74, v80, v81, s[14:15]
	s_waitcnt lgkmcnt(0)
	s_barrier
	ds_write2_b32 v61, v72, v76 offset1:1
	ds_write_b32 v61, v74 offset:8
	s_waitcnt lgkmcnt(0)
	s_barrier
	s_and_saveexec_b64 s[16:17], s[6:7]
	s_cbranch_execz .LBB25_54
; %bb.51:                               ;   in Loop: Header=BB25_2 Depth=1
	s_mov_b64 s[18:19], 0
	v_mov_b32_e32 v75, v40
	v_mov_b32_e32 v72, v41
.LBB25_52:                              ;   Parent Loop BB25_2 Depth=1
                                        ; =>  This Inner Loop Header: Depth=2
	v_sub_u32_e32 v73, v72, v75
	v_lshrrev_b32_e32 v73, 1, v73
	v_add_u32_e32 v73, v73, v75
	v_not_b32_e32 v76, v73
	v_lshl_add_u32 v74, v73, 2, v66
	v_lshl_add_u32 v76, v76, 2, v42
	ds_read_b32 v74, v74
	ds_read_b32 v76, v76 offset:192
	v_add_u32_e32 v77, 1, v73
	s_waitcnt lgkmcnt(0)
	v_cmp_lt_i32_e64 s[14:15], v76, v74
	v_cndmask_b32_e64 v72, v72, v73, s[14:15]
	v_cndmask_b32_e64 v75, v77, v75, s[14:15]
	v_cmp_ge_i32_e64 s[14:15], v75, v72
	s_or_b64 s[18:19], s[14:15], s[18:19]
	s_andn2_b64 exec, exec, s[18:19]
	s_cbranch_execnz .LBB25_52
; %bb.53:                               ;   in Loop: Header=BB25_2 Depth=1
	s_or_b64 exec, exec, s[18:19]
.LBB25_54:                              ;   in Loop: Header=BB25_2 Depth=1
	s_or_b64 exec, exec, s[16:17]
	v_lshl_add_u32 v77, v75, 2, v66
	v_sub_u32_e32 v72, v43, v75
	v_lshlrev_b32_e32 v78, 2, v72
	ds_read_b32 v72, v77
	ds_read_b32 v74, v78 offset:192
	v_add_u32_e32 v73, v75, v39
	v_sub_u32_e32 v75, v44, v75
	v_cmp_le_i32_e64 s[16:17], v10, v73
	v_cmp_gt_i32_e64 s[14:15], v9, v75
	s_waitcnt lgkmcnt(0)
	v_cmp_lt_i32_e64 s[18:19], v74, v72
	s_or_b64 s[16:17], s[16:17], s[18:19]
	s_and_b64 s[14:15], s[14:15], s[16:17]
	s_xor_b64 s[16:17], s[14:15], -1
                                        ; implicit-def: $vgpr76
	s_and_saveexec_b64 s[18:19], s[16:17]
	s_xor_b64 s[16:17], exec, s[18:19]
; %bb.55:                               ;   in Loop: Header=BB25_2 Depth=1
	ds_read_b32 v76, v77 offset:4
                                        ; implicit-def: $vgpr78
; %bb.56:                               ;   in Loop: Header=BB25_2 Depth=1
	s_or_saveexec_b64 s[16:17], s[16:17]
	v_mov_b32_e32 v77, v74
	s_xor_b64 exec, exec, s[16:17]
	s_cbranch_execz .LBB25_58
; %bb.57:                               ;   in Loop: Header=BB25_2 Depth=1
	ds_read_b32 v77, v78 offset:196
	s_waitcnt lgkmcnt(1)
	v_mov_b32_e32 v76, v72
.LBB25_58:                              ;   in Loop: Header=BB25_2 Depth=1
	s_or_b64 exec, exec, s[16:17]
	v_add_u32_e32 v79, 1, v73
	v_add_u32_e32 v78, 1, v75
	v_cndmask_b32_e64 v79, v79, v73, s[14:15]
	v_cndmask_b32_e64 v78, v75, v78, s[14:15]
	v_cmp_ge_i32_e64 s[18:19], v79, v10
	s_waitcnt lgkmcnt(0)
	v_cmp_lt_i32_e64 s[20:21], v77, v76
	v_cmp_lt_i32_e64 s[16:17], v78, v9
	s_or_b64 s[18:19], s[18:19], s[20:21]
	s_and_b64 s[16:17], s[16:17], s[18:19]
	s_xor_b64 s[18:19], s[16:17], -1
                                        ; implicit-def: $vgpr80
	s_and_saveexec_b64 s[20:21], s[18:19]
	s_xor_b64 s[18:19], exec, s[20:21]
; %bb.59:                               ;   in Loop: Header=BB25_2 Depth=1
	v_lshlrev_b32_e32 v80, 2, v79
	ds_read_b32 v80, v80 offset:4
; %bb.60:                               ;   in Loop: Header=BB25_2 Depth=1
	s_or_saveexec_b64 s[18:19], s[18:19]
	v_mov_b32_e32 v81, v77
	s_xor_b64 exec, exec, s[18:19]
	s_cbranch_execz .LBB25_62
; %bb.61:                               ;   in Loop: Header=BB25_2 Depth=1
	s_waitcnt lgkmcnt(0)
	v_lshlrev_b32_e32 v80, 2, v78
	ds_read_b32 v81, v80 offset:4
	v_mov_b32_e32 v80, v76
.LBB25_62:                              ;   in Loop: Header=BB25_2 Depth=1
	s_or_b64 exec, exec, s[18:19]
	v_add_u32_e32 v82, 1, v79
	v_cndmask_b32_e64 v76, v76, v77, s[16:17]
	v_add_u32_e32 v77, 1, v78
	v_cndmask_b32_e64 v82, v82, v79, s[16:17]
	v_cndmask_b32_e64 v77, v78, v77, s[16:17]
	;; [unrolled: 1-line block ×3, first 2 shown]
	v_cmp_ge_i32_e64 s[16:17], v82, v10
	s_waitcnt lgkmcnt(0)
	v_cmp_lt_i32_e64 s[18:19], v81, v80
	v_cndmask_b32_e64 v72, v72, v74, s[14:15]
	v_cndmask_b32_e64 v73, v73, v75, s[14:15]
	v_cmp_lt_i32_e64 s[14:15], v77, v9
	s_or_b64 s[16:17], s[16:17], s[18:19]
	s_and_b64 s[14:15], s[14:15], s[16:17]
	v_cndmask_b32_e64 v75, v82, v77, s[14:15]
	s_barrier
	ds_write2_b32 v61, v69, v70 offset1:1
	ds_write_b32 v61, v71 offset:8
	v_lshlrev_b32_e32 v69, 2, v73
	v_lshlrev_b32_e32 v70, 2, v78
	;; [unrolled: 1-line block ×3, first 2 shown]
	s_waitcnt lgkmcnt(0)
	s_barrier
	ds_read_b32 v69, v69
	ds_read_b32 v70, v70
	;; [unrolled: 1-line block ×3, first 2 shown]
	v_mov_b32_e32 v75, v46
	v_cndmask_b32_e64 v74, v80, v81, s[14:15]
	s_waitcnt lgkmcnt(0)
	s_barrier
	ds_write2_b32 v61, v72, v76 offset1:1
	ds_write_b32 v61, v74 offset:8
	s_waitcnt lgkmcnt(0)
	s_barrier
	s_and_saveexec_b64 s[16:17], s[8:9]
	s_cbranch_execz .LBB25_66
; %bb.63:                               ;   in Loop: Header=BB25_2 Depth=1
	s_mov_b64 s[18:19], 0
	v_mov_b32_e32 v75, v46
	v_mov_b32_e32 v72, v47
.LBB25_64:                              ;   Parent Loop BB25_2 Depth=1
                                        ; =>  This Inner Loop Header: Depth=2
	v_sub_u32_e32 v73, v72, v75
	v_lshrrev_b32_e32 v73, 1, v73
	v_add_u32_e32 v73, v73, v75
	v_not_b32_e32 v76, v73
	v_lshl_add_u32 v74, v73, 2, v67
	v_lshl_add_u32 v76, v76, 2, v48
	ds_read_b32 v74, v74
	ds_read_b32 v76, v76 offset:384
	v_add_u32_e32 v77, 1, v73
	s_waitcnt lgkmcnt(0)
	v_cmp_lt_i32_e64 s[14:15], v76, v74
	v_cndmask_b32_e64 v72, v72, v73, s[14:15]
	v_cndmask_b32_e64 v75, v77, v75, s[14:15]
	v_cmp_ge_i32_e64 s[14:15], v75, v72
	s_or_b64 s[18:19], s[14:15], s[18:19]
	s_andn2_b64 exec, exec, s[18:19]
	s_cbranch_execnz .LBB25_64
; %bb.65:                               ;   in Loop: Header=BB25_2 Depth=1
	s_or_b64 exec, exec, s[18:19]
.LBB25_66:                              ;   in Loop: Header=BB25_2 Depth=1
	s_or_b64 exec, exec, s[16:17]
	v_lshl_add_u32 v77, v75, 2, v67
	v_sub_u32_e32 v72, v49, v75
	v_lshlrev_b32_e32 v78, 2, v72
	ds_read_b32 v72, v77
	ds_read_b32 v74, v78 offset:384
	v_add_u32_e32 v73, v75, v45
	v_sub_u32_e32 v75, v50, v75
	v_cmp_le_i32_e64 s[16:17], v12, v73
	v_cmp_gt_i32_e64 s[14:15], v11, v75
	s_waitcnt lgkmcnt(0)
	v_cmp_lt_i32_e64 s[18:19], v74, v72
	s_or_b64 s[16:17], s[16:17], s[18:19]
	s_and_b64 s[14:15], s[14:15], s[16:17]
	s_xor_b64 s[16:17], s[14:15], -1
                                        ; implicit-def: $vgpr76
	s_and_saveexec_b64 s[18:19], s[16:17]
	s_xor_b64 s[16:17], exec, s[18:19]
; %bb.67:                               ;   in Loop: Header=BB25_2 Depth=1
	ds_read_b32 v76, v77 offset:4
                                        ; implicit-def: $vgpr78
; %bb.68:                               ;   in Loop: Header=BB25_2 Depth=1
	s_or_saveexec_b64 s[16:17], s[16:17]
	v_mov_b32_e32 v77, v74
	s_xor_b64 exec, exec, s[16:17]
	s_cbranch_execz .LBB25_70
; %bb.69:                               ;   in Loop: Header=BB25_2 Depth=1
	ds_read_b32 v77, v78 offset:388
	s_waitcnt lgkmcnt(1)
	v_mov_b32_e32 v76, v72
.LBB25_70:                              ;   in Loop: Header=BB25_2 Depth=1
	s_or_b64 exec, exec, s[16:17]
	v_add_u32_e32 v79, 1, v73
	v_add_u32_e32 v78, 1, v75
	v_cndmask_b32_e64 v79, v79, v73, s[14:15]
	v_cndmask_b32_e64 v78, v75, v78, s[14:15]
	v_cmp_ge_i32_e64 s[18:19], v79, v12
	s_waitcnt lgkmcnt(0)
	v_cmp_lt_i32_e64 s[20:21], v77, v76
	v_cmp_lt_i32_e64 s[16:17], v78, v11
	s_or_b64 s[18:19], s[18:19], s[20:21]
	s_and_b64 s[16:17], s[16:17], s[18:19]
	s_xor_b64 s[18:19], s[16:17], -1
                                        ; implicit-def: $vgpr80
	s_and_saveexec_b64 s[20:21], s[18:19]
	s_xor_b64 s[18:19], exec, s[20:21]
; %bb.71:                               ;   in Loop: Header=BB25_2 Depth=1
	v_lshlrev_b32_e32 v80, 2, v79
	ds_read_b32 v80, v80 offset:4
; %bb.72:                               ;   in Loop: Header=BB25_2 Depth=1
	s_or_saveexec_b64 s[18:19], s[18:19]
	v_mov_b32_e32 v81, v77
	s_xor_b64 exec, exec, s[18:19]
	s_cbranch_execz .LBB25_74
; %bb.73:                               ;   in Loop: Header=BB25_2 Depth=1
	s_waitcnt lgkmcnt(0)
	v_lshlrev_b32_e32 v80, 2, v78
	ds_read_b32 v81, v80 offset:4
	v_mov_b32_e32 v80, v76
.LBB25_74:                              ;   in Loop: Header=BB25_2 Depth=1
	s_or_b64 exec, exec, s[18:19]
	v_add_u32_e32 v82, 1, v79
	v_cndmask_b32_e64 v76, v76, v77, s[16:17]
	v_add_u32_e32 v77, 1, v78
	v_cndmask_b32_e64 v82, v82, v79, s[16:17]
	v_cndmask_b32_e64 v77, v78, v77, s[16:17]
	;; [unrolled: 1-line block ×3, first 2 shown]
	v_cmp_ge_i32_e64 s[16:17], v82, v12
	s_waitcnt lgkmcnt(0)
	v_cmp_lt_i32_e64 s[18:19], v81, v80
	v_cndmask_b32_e64 v72, v72, v74, s[14:15]
	v_cndmask_b32_e64 v73, v73, v75, s[14:15]
	v_cmp_lt_i32_e64 s[14:15], v77, v11
	s_or_b64 s[16:17], s[16:17], s[18:19]
	s_and_b64 s[14:15], s[14:15], s[16:17]
	v_cndmask_b32_e64 v75, v82, v77, s[14:15]
	s_barrier
	ds_write2_b32 v61, v69, v70 offset1:1
	ds_write_b32 v61, v71 offset:8
	v_lshlrev_b32_e32 v69, 2, v73
	v_lshlrev_b32_e32 v70, 2, v78
	;; [unrolled: 1-line block ×3, first 2 shown]
	s_waitcnt lgkmcnt(0)
	s_barrier
	ds_read_b32 v69, v69
	ds_read_b32 v70, v70
	;; [unrolled: 1-line block ×3, first 2 shown]
	v_mov_b32_e32 v75, v52
	v_cndmask_b32_e64 v74, v80, v81, s[14:15]
	s_waitcnt lgkmcnt(0)
	s_barrier
	ds_write2_b32 v61, v72, v76 offset1:1
	ds_write_b32 v61, v74 offset:8
	s_waitcnt lgkmcnt(0)
	s_barrier
	s_and_saveexec_b64 s[16:17], s[10:11]
	s_cbranch_execz .LBB25_78
; %bb.75:                               ;   in Loop: Header=BB25_2 Depth=1
	s_mov_b64 s[18:19], 0
	v_mov_b32_e32 v75, v52
	v_mov_b32_e32 v72, v53
.LBB25_76:                              ;   Parent Loop BB25_2 Depth=1
                                        ; =>  This Inner Loop Header: Depth=2
	v_sub_u32_e32 v73, v72, v75
	v_lshrrev_b32_e32 v73, 1, v73
	v_add_u32_e32 v73, v73, v75
	v_not_b32_e32 v76, v73
	v_lshl_add_u32 v74, v73, 2, v68
	v_lshl_add_u32 v76, v76, 2, v54
	ds_read_b32 v74, v74
	ds_read_b32 v76, v76 offset:768
	v_add_u32_e32 v77, 1, v73
	s_waitcnt lgkmcnt(0)
	v_cmp_lt_i32_e64 s[14:15], v76, v74
	v_cndmask_b32_e64 v72, v72, v73, s[14:15]
	v_cndmask_b32_e64 v75, v77, v75, s[14:15]
	v_cmp_ge_i32_e64 s[14:15], v75, v72
	s_or_b64 s[18:19], s[14:15], s[18:19]
	s_andn2_b64 exec, exec, s[18:19]
	s_cbranch_execnz .LBB25_76
; %bb.77:                               ;   in Loop: Header=BB25_2 Depth=1
	s_or_b64 exec, exec, s[18:19]
.LBB25_78:                              ;   in Loop: Header=BB25_2 Depth=1
	s_or_b64 exec, exec, s[16:17]
	v_lshl_add_u32 v77, v75, 2, v68
	v_sub_u32_e32 v72, v55, v75
	v_lshlrev_b32_e32 v78, 2, v72
	ds_read_b32 v72, v77
	ds_read_b32 v74, v78 offset:768
	v_add_u32_e32 v73, v75, v51
	v_sub_u32_e32 v75, v56, v75
	v_cmp_le_i32_e64 s[16:17], v14, v73
	v_cmp_gt_i32_e64 s[14:15], v13, v75
	s_waitcnt lgkmcnt(0)
	v_cmp_lt_i32_e64 s[18:19], v74, v72
	s_or_b64 s[16:17], s[16:17], s[18:19]
	s_and_b64 s[14:15], s[14:15], s[16:17]
	s_xor_b64 s[16:17], s[14:15], -1
                                        ; implicit-def: $vgpr76
	s_and_saveexec_b64 s[18:19], s[16:17]
	s_xor_b64 s[16:17], exec, s[18:19]
; %bb.79:                               ;   in Loop: Header=BB25_2 Depth=1
	ds_read_b32 v76, v77 offset:4
                                        ; implicit-def: $vgpr78
; %bb.80:                               ;   in Loop: Header=BB25_2 Depth=1
	s_or_saveexec_b64 s[16:17], s[16:17]
	v_mov_b32_e32 v77, v74
	s_xor_b64 exec, exec, s[16:17]
	s_cbranch_execz .LBB25_82
; %bb.81:                               ;   in Loop: Header=BB25_2 Depth=1
	ds_read_b32 v77, v78 offset:772
	s_waitcnt lgkmcnt(1)
	v_mov_b32_e32 v76, v72
.LBB25_82:                              ;   in Loop: Header=BB25_2 Depth=1
	s_or_b64 exec, exec, s[16:17]
	v_add_u32_e32 v79, 1, v73
	v_add_u32_e32 v78, 1, v75
	v_cndmask_b32_e64 v79, v79, v73, s[14:15]
	v_cndmask_b32_e64 v78, v75, v78, s[14:15]
	v_cmp_ge_i32_e64 s[18:19], v79, v14
	s_waitcnt lgkmcnt(0)
	v_cmp_lt_i32_e64 s[20:21], v77, v76
	v_cmp_lt_i32_e64 s[16:17], v78, v13
	s_or_b64 s[18:19], s[18:19], s[20:21]
	s_and_b64 s[16:17], s[16:17], s[18:19]
	s_xor_b64 s[18:19], s[16:17], -1
                                        ; implicit-def: $vgpr80
	s_and_saveexec_b64 s[20:21], s[18:19]
	s_xor_b64 s[18:19], exec, s[20:21]
; %bb.83:                               ;   in Loop: Header=BB25_2 Depth=1
	v_lshlrev_b32_e32 v80, 2, v79
	ds_read_b32 v80, v80 offset:4
; %bb.84:                               ;   in Loop: Header=BB25_2 Depth=1
	s_or_saveexec_b64 s[18:19], s[18:19]
	v_mov_b32_e32 v81, v77
	s_xor_b64 exec, exec, s[18:19]
	s_cbranch_execz .LBB25_86
; %bb.85:                               ;   in Loop: Header=BB25_2 Depth=1
	s_waitcnt lgkmcnt(0)
	v_lshlrev_b32_e32 v80, 2, v78
	ds_read_b32 v81, v80 offset:4
	v_mov_b32_e32 v80, v76
.LBB25_86:                              ;   in Loop: Header=BB25_2 Depth=1
	s_or_b64 exec, exec, s[18:19]
	v_add_u32_e32 v82, 1, v79
	v_cndmask_b32_e64 v76, v76, v77, s[16:17]
	v_add_u32_e32 v77, 1, v78
	v_cndmask_b32_e64 v82, v82, v79, s[16:17]
	v_cndmask_b32_e64 v77, v78, v77, s[16:17]
	;; [unrolled: 1-line block ×3, first 2 shown]
	v_cmp_ge_i32_e64 s[16:17], v82, v14
	s_waitcnt lgkmcnt(0)
	v_cmp_lt_i32_e64 s[18:19], v81, v80
	v_cndmask_b32_e64 v72, v72, v74, s[14:15]
	v_cndmask_b32_e64 v73, v73, v75, s[14:15]
	v_cmp_lt_i32_e64 s[14:15], v77, v13
	s_or_b64 s[16:17], s[16:17], s[18:19]
	s_and_b64 s[14:15], s[14:15], s[16:17]
	v_cndmask_b32_e64 v75, v82, v77, s[14:15]
	s_barrier
	ds_write2_b32 v61, v69, v70 offset1:1
	ds_write_b32 v61, v71 offset:8
	v_lshlrev_b32_e32 v69, 2, v73
	v_lshlrev_b32_e32 v70, 2, v78
	;; [unrolled: 1-line block ×3, first 2 shown]
	s_waitcnt lgkmcnt(0)
	s_barrier
	ds_read_b32 v69, v69
	ds_read_b32 v70, v70
	;; [unrolled: 1-line block ×3, first 2 shown]
	v_cndmask_b32_e64 v74, v80, v81, s[14:15]
	s_waitcnt lgkmcnt(0)
	s_barrier
	ds_write2_b32 v61, v72, v76 offset1:1
	ds_write_b32 v61, v74 offset:8
	v_mov_b32_e32 v72, v59
	s_waitcnt lgkmcnt(0)
	s_barrier
	s_and_saveexec_b64 s[16:17], s[12:13]
	s_cbranch_execz .LBB25_90
; %bb.87:                               ;   in Loop: Header=BB25_2 Depth=1
	s_mov_b64 s[18:19], 0
	v_mov_b32_e32 v72, v59
	v_mov_b32_e32 v73, v60
.LBB25_88:                              ;   Parent Loop BB25_2 Depth=1
                                        ; =>  This Inner Loop Header: Depth=2
	v_sub_u32_e32 v74, v73, v72
	v_lshrrev_b32_e32 v74, 1, v74
	v_add_u32_e32 v74, v74, v72
	v_lshlrev_b32_e32 v75, 2, v58
	v_not_b32_e32 v77, v74
	v_lshlrev_b32_e32 v76, 2, v74
	v_lshl_add_u32 v75, v77, 2, v75
	ds_read_b32 v76, v76
	ds_read_b32 v75, v75 offset:1536
	v_add_u32_e32 v77, 1, v74
	s_waitcnt lgkmcnt(0)
	v_cmp_lt_i32_e64 s[14:15], v75, v76
	v_cndmask_b32_e64 v73, v73, v74, s[14:15]
	v_cndmask_b32_e64 v72, v77, v72, s[14:15]
	v_cmp_ge_i32_e64 s[14:15], v72, v73
	s_or_b64 s[18:19], s[14:15], s[18:19]
	s_andn2_b64 exec, exec, s[18:19]
	s_cbranch_execnz .LBB25_88
; %bb.89:                               ;   in Loop: Header=BB25_2 Depth=1
	s_or_b64 exec, exec, s[18:19]
.LBB25_90:                              ;   in Loop: Header=BB25_2 Depth=1
	s_or_b64 exec, exec, s[16:17]
	v_lshlrev_b32_e32 v77, 2, v72
	v_sub_u32_e32 v73, v58, v72
	v_lshlrev_b32_e32 v78, 2, v73
	ds_read_b32 v73, v77
	ds_read_b32 v74, v78 offset:1536
	v_mad_u32_u24 v75, v0, 3, v57
	v_sub_u32_e32 v76, v75, v72
	v_cmp_le_i32_e64 s[16:17], v57, v72
	v_cmp_gt_i32_e64 s[14:15], s28, v76
	s_waitcnt lgkmcnt(0)
	v_cmp_lt_i32_e64 s[18:19], v74, v73
	s_or_b64 s[16:17], s[16:17], s[18:19]
	s_and_b64 s[14:15], s[14:15], s[16:17]
	s_xor_b64 s[16:17], s[14:15], -1
                                        ; implicit-def: $vgpr75
	s_and_saveexec_b64 s[18:19], s[16:17]
	s_xor_b64 s[16:17], exec, s[18:19]
; %bb.91:                               ;   in Loop: Header=BB25_2 Depth=1
	ds_read_b32 v75, v77 offset:4
                                        ; implicit-def: $vgpr78
; %bb.92:                               ;   in Loop: Header=BB25_2 Depth=1
	s_or_saveexec_b64 s[16:17], s[16:17]
	v_mov_b32_e32 v77, v74
	s_xor_b64 exec, exec, s[16:17]
	s_cbranch_execz .LBB25_94
; %bb.93:                               ;   in Loop: Header=BB25_2 Depth=1
	ds_read_b32 v77, v78 offset:1540
	s_waitcnt lgkmcnt(1)
	v_mov_b32_e32 v75, v73
.LBB25_94:                              ;   in Loop: Header=BB25_2 Depth=1
	s_or_b64 exec, exec, s[16:17]
	v_add_u32_e32 v79, 1, v72
	v_add_u32_e32 v78, 1, v76
	v_cndmask_b32_e64 v82, v79, v72, s[14:15]
	v_cndmask_b32_e64 v78, v76, v78, s[14:15]
	v_cmp_ge_i32_e64 s[18:19], v82, v57
	s_waitcnt lgkmcnt(0)
	v_cmp_lt_i32_e64 s[20:21], v77, v75
	v_cmp_gt_i32_e64 s[16:17], s28, v78
	s_or_b64 s[18:19], s[18:19], s[20:21]
	s_and_b64 s[16:17], s[16:17], s[18:19]
	s_xor_b64 s[18:19], s[16:17], -1
                                        ; implicit-def: $vgpr80
                                        ; implicit-def: $vgpr79
	s_and_saveexec_b64 s[20:21], s[18:19]
	s_xor_b64 s[18:19], exec, s[20:21]
; %bb.95:                               ;   in Loop: Header=BB25_2 Depth=1
	v_lshlrev_b32_e32 v79, 2, v82
	ds_read_b32 v80, v79 offset:4
	v_add_u32_e32 v79, 1, v82
; %bb.96:                               ;   in Loop: Header=BB25_2 Depth=1
	s_or_saveexec_b64 s[18:19], s[18:19]
	v_mov_b32_e32 v81, v82
	v_mov_b32_e32 v83, v77
	s_xor_b64 exec, exec, s[18:19]
	s_cbranch_execz .LBB25_1
; %bb.97:                               ;   in Loop: Header=BB25_2 Depth=1
	v_lshlrev_b32_e32 v79, 2, v78
	ds_read_b32 v83, v79 offset:4
	s_waitcnt lgkmcnt(1)
	v_add_u32_e32 v80, 1, v78
	v_mov_b32_e32 v81, v78
	v_mov_b32_e32 v79, v82
	;; [unrolled: 1-line block ×4, first 2 shown]
	s_branch .LBB25_1
.LBB25_98:
	s_add_u32 s0, s30, s34
	s_waitcnt lgkmcnt(2)
	v_add_u32_e32 v1, v73, v69
	s_addc_u32 s1, s31, s35
	v_lshlrev_b32_e32 v0, 2, v0
	s_waitcnt lgkmcnt(1)
	v_add_u32_e32 v2, v74, v71
	s_waitcnt lgkmcnt(0)
	v_add_u32_e32 v3, v72, v70
	global_store_dword v0, v1, s[0:1]
	global_store_dword v0, v2, s[0:1] offset:1024
	global_store_dword v0, v3, s[0:1] offset:2048
	s_endpgm
	.section	.rodata,"a",@progbits
	.p2align	6, 0x0
	.amdhsa_kernel _Z17sort_pairs_kernelIiLj256ELj3EN10test_utils4lessELj10EEvPKT_PS2_T2_
		.amdhsa_group_segment_fixed_size 3076
		.amdhsa_private_segment_fixed_size 0
		.amdhsa_kernarg_size 20
		.amdhsa_user_sgpr_count 6
		.amdhsa_user_sgpr_private_segment_buffer 1
		.amdhsa_user_sgpr_dispatch_ptr 0
		.amdhsa_user_sgpr_queue_ptr 0
		.amdhsa_user_sgpr_kernarg_segment_ptr 1
		.amdhsa_user_sgpr_dispatch_id 0
		.amdhsa_user_sgpr_flat_scratch_init 0
		.amdhsa_user_sgpr_private_segment_size 0
		.amdhsa_uses_dynamic_stack 0
		.amdhsa_system_sgpr_private_segment_wavefront_offset 0
		.amdhsa_system_sgpr_workgroup_id_x 1
		.amdhsa_system_sgpr_workgroup_id_y 0
		.amdhsa_system_sgpr_workgroup_id_z 0
		.amdhsa_system_sgpr_workgroup_info 0
		.amdhsa_system_vgpr_workitem_id 0
		.amdhsa_next_free_vgpr 84
		.amdhsa_next_free_sgpr 38
		.amdhsa_reserve_vcc 1
		.amdhsa_reserve_flat_scratch 0
		.amdhsa_float_round_mode_32 0
		.amdhsa_float_round_mode_16_64 0
		.amdhsa_float_denorm_mode_32 3
		.amdhsa_float_denorm_mode_16_64 3
		.amdhsa_dx10_clamp 1
		.amdhsa_ieee_mode 1
		.amdhsa_fp16_overflow 0
		.amdhsa_exception_fp_ieee_invalid_op 0
		.amdhsa_exception_fp_denorm_src 0
		.amdhsa_exception_fp_ieee_div_zero 0
		.amdhsa_exception_fp_ieee_overflow 0
		.amdhsa_exception_fp_ieee_underflow 0
		.amdhsa_exception_fp_ieee_inexact 0
		.amdhsa_exception_int_div_zero 0
	.end_amdhsa_kernel
	.section	.text._Z17sort_pairs_kernelIiLj256ELj3EN10test_utils4lessELj10EEvPKT_PS2_T2_,"axG",@progbits,_Z17sort_pairs_kernelIiLj256ELj3EN10test_utils4lessELj10EEvPKT_PS2_T2_,comdat
.Lfunc_end25:
	.size	_Z17sort_pairs_kernelIiLj256ELj3EN10test_utils4lessELj10EEvPKT_PS2_T2_, .Lfunc_end25-_Z17sort_pairs_kernelIiLj256ELj3EN10test_utils4lessELj10EEvPKT_PS2_T2_
                                        ; -- End function
	.set _Z17sort_pairs_kernelIiLj256ELj3EN10test_utils4lessELj10EEvPKT_PS2_T2_.num_vgpr, 84
	.set _Z17sort_pairs_kernelIiLj256ELj3EN10test_utils4lessELj10EEvPKT_PS2_T2_.num_agpr, 0
	.set _Z17sort_pairs_kernelIiLj256ELj3EN10test_utils4lessELj10EEvPKT_PS2_T2_.numbered_sgpr, 38
	.set _Z17sort_pairs_kernelIiLj256ELj3EN10test_utils4lessELj10EEvPKT_PS2_T2_.num_named_barrier, 0
	.set _Z17sort_pairs_kernelIiLj256ELj3EN10test_utils4lessELj10EEvPKT_PS2_T2_.private_seg_size, 0
	.set _Z17sort_pairs_kernelIiLj256ELj3EN10test_utils4lessELj10EEvPKT_PS2_T2_.uses_vcc, 1
	.set _Z17sort_pairs_kernelIiLj256ELj3EN10test_utils4lessELj10EEvPKT_PS2_T2_.uses_flat_scratch, 0
	.set _Z17sort_pairs_kernelIiLj256ELj3EN10test_utils4lessELj10EEvPKT_PS2_T2_.has_dyn_sized_stack, 0
	.set _Z17sort_pairs_kernelIiLj256ELj3EN10test_utils4lessELj10EEvPKT_PS2_T2_.has_recursion, 0
	.set _Z17sort_pairs_kernelIiLj256ELj3EN10test_utils4lessELj10EEvPKT_PS2_T2_.has_indirect_call, 0
	.section	.AMDGPU.csdata,"",@progbits
; Kernel info:
; codeLenInByte = 5952
; TotalNumSgprs: 42
; NumVgprs: 84
; ScratchSize: 0
; MemoryBound: 0
; FloatMode: 240
; IeeeMode: 1
; LDSByteSize: 3076 bytes/workgroup (compile time only)
; SGPRBlocks: 5
; VGPRBlocks: 20
; NumSGPRsForWavesPerEU: 42
; NumVGPRsForWavesPerEU: 84
; Occupancy: 3
; WaveLimiterHint : 1
; COMPUTE_PGM_RSRC2:SCRATCH_EN: 0
; COMPUTE_PGM_RSRC2:USER_SGPR: 6
; COMPUTE_PGM_RSRC2:TRAP_HANDLER: 0
; COMPUTE_PGM_RSRC2:TGID_X_EN: 1
; COMPUTE_PGM_RSRC2:TGID_Y_EN: 0
; COMPUTE_PGM_RSRC2:TGID_Z_EN: 0
; COMPUTE_PGM_RSRC2:TIDIG_COMP_CNT: 0
	.section	.text._Z16sort_keys_kernelIiLj256ELj4EN10test_utils4lessELj10EEvPKT_PS2_T2_,"axG",@progbits,_Z16sort_keys_kernelIiLj256ELj4EN10test_utils4lessELj10EEvPKT_PS2_T2_,comdat
	.protected	_Z16sort_keys_kernelIiLj256ELj4EN10test_utils4lessELj10EEvPKT_PS2_T2_ ; -- Begin function _Z16sort_keys_kernelIiLj256ELj4EN10test_utils4lessELj10EEvPKT_PS2_T2_
	.globl	_Z16sort_keys_kernelIiLj256ELj4EN10test_utils4lessELj10EEvPKT_PS2_T2_
	.p2align	8
	.type	_Z16sort_keys_kernelIiLj256ELj4EN10test_utils4lessELj10EEvPKT_PS2_T2_,@function
_Z16sort_keys_kernelIiLj256ELj4EN10test_utils4lessELj10EEvPKT_PS2_T2_: ; @_Z16sort_keys_kernelIiLj256ELj4EN10test_utils4lessELj10EEvPKT_PS2_T2_
; %bb.0:
	s_load_dwordx4 s[24:27], s[4:5], 0x0
	s_lshl_b32 s30, s6, 10
	s_mov_b32 s31, 0
	s_lshl_b64 s[28:29], s[30:31], 2
	v_lshlrev_b32_e32 v39, 2, v0
	s_waitcnt lgkmcnt(0)
	s_add_u32 s0, s24, s28
	s_addc_u32 s1, s25, s29
	global_load_dword v64, v39, s[0:1]
	global_load_dword v65, v39, s[0:1] offset:1024
	global_load_dword v63, v39, s[0:1] offset:2048
	;; [unrolled: 1-line block ×3, first 2 shown]
	v_and_b32_e32 v1, 0x3f8, v39
	v_and_b32_e32 v4, 0x3f0, v39
	;; [unrolled: 1-line block ×7, first 2 shown]
	v_or_b32_e32 v2, 4, v1
	v_add_u32_e32 v3, 8, v1
	v_or_b32_e32 v5, 8, v4
	v_add_u32_e32 v6, 16, v4
	;; [unrolled: 2-line block ×7, first 2 shown]
	v_and_b32_e32 v41, 4, v39
	v_sub_u32_e32 v22, v3, v2
	v_and_b32_e32 v43, 12, v39
	v_sub_u32_e32 v24, v6, v5
	;; [unrolled: 2-line block ×7, first 2 shown]
	v_sub_u32_e32 v23, v41, v22
	v_sub_u32_e32 v25, v43, v24
	;; [unrolled: 1-line block ×7, first 2 shown]
	v_cmp_ge_i32_e32 vcc, v41, v22
	v_cmp_ge_i32_e64 s[0:1], v43, v24
	v_cmp_ge_i32_e64 s[2:3], v45, v26
	;; [unrolled: 1-line block ×6, first 2 shown]
	v_cndmask_b32_e32 v22, 0, v23, vcc
	v_sub_u32_e32 v23, v2, v1
	v_cndmask_b32_e64 v24, 0, v25, s[0:1]
	v_sub_u32_e32 v25, v5, v4
	v_cndmask_b32_e64 v26, 0, v27, s[2:3]
	;; [unrolled: 2-line block ×6, first 2 shown]
	v_sub_u32_e32 v35, v20, v19
	v_mov_b32_e32 v36, 0x200
	v_min_i32_e32 v23, v41, v23
	v_min_i32_e32 v25, v43, v25
	;; [unrolled: 1-line block ×7, first 2 shown]
	v_sub_u32_e64 v37, v39, v36 clamp
	v_min_i32_e32 v38, 0x200, v39
	v_add_u32_e32 v40, v2, v41
	v_lshlrev_b32_e32 v41, 2, v41
	v_add_u32_e32 v42, v5, v43
	v_lshlrev_b32_e32 v43, 2, v43
	;; [unrolled: 2-line block ×7, first 2 shown]
	v_lshlrev_b32_e32 v54, 4, v0
	v_cmp_lt_i32_e32 vcc, v22, v23
	v_cmp_lt_i32_e64 s[0:1], v24, v25
	v_cmp_lt_i32_e64 s[2:3], v26, v27
	;; [unrolled: 1-line block ×7, first 2 shown]
	v_add_u32_e32 v39, 0x200, v39
	v_lshl_add_u32 v41, v2, 2, v41
	v_lshl_add_u32 v43, v5, 2, v43
	;; [unrolled: 1-line block ×7, first 2 shown]
	s_movk_i32 s24, 0x400
	v_lshlrev_b32_e32 v55, 2, v1
	v_lshlrev_b32_e32 v56, 2, v4
	;; [unrolled: 1-line block ×7, first 2 shown]
	v_add_u32_e32 v62, 0x800, v54
	s_branch .LBB26_2
.LBB26_1:                               ;   in Loop: Header=BB26_2 Depth=1
	s_or_b64 exec, exec, s[20:21]
	v_cndmask_b32_e64 v64, v63, v64, s[14:15]
	v_cndmask_b32_e64 v65, v65, v66, s[16:17]
	;; [unrolled: 1-line block ×3, first 2 shown]
	v_cmp_ge_i32_e64 s[16:17], v72, v36
	s_waitcnt lgkmcnt(0)
	v_cmp_lt_i32_e64 s[18:19], v73, v70
	v_cmp_gt_i32_e64 s[14:15], s24, v69
	s_or_b64 s[16:17], s[16:17], s[18:19]
	s_and_b64 s[14:15], s[14:15], s[16:17]
	s_add_i32 s31, s31, 1
	s_cmp_eq_u32 s31, 10
	v_cndmask_b32_e64 v66, v70, v73, s[14:15]
	s_cbranch_scc1 .LBB26_130
.LBB26_2:                               ; =>This Loop Header: Depth=1
                                        ;     Child Loop BB26_4 Depth 2
                                        ;     Child Loop BB26_20 Depth 2
	;; [unrolled: 1-line block ×8, first 2 shown]
	s_waitcnt vmcnt(2)
	v_cmp_lt_i32_e64 s[14:15], v65, v64
	v_cndmask_b32_e64 v67, v64, v65, s[14:15]
	v_cndmask_b32_e64 v68, v65, v64, s[14:15]
	s_waitcnt vmcnt(0)
	v_cmp_lt_i32_e64 s[14:15], v66, v63
	v_min_i32_e32 v69, v65, v64
	v_max_i32_e32 v64, v65, v64
	v_cndmask_b32_e64 v65, v66, v63, s[14:15]
	v_cndmask_b32_e64 v70, v63, v66, s[14:15]
	v_max_i32_e32 v71, v66, v63
	v_min_i32_e32 v63, v66, v63
	v_cmp_lt_i32_e64 s[14:15], v63, v64
	v_cndmask_b32_e64 v66, v70, v64, s[14:15]
	v_cndmask_b32_e64 v68, v68, v63, s[14:15]
	v_min_i32_e32 v72, v63, v64
	v_cmp_lt_i32_e64 s[14:15], v63, v69
	v_max_i32_e32 v70, v63, v64
	v_cndmask_b32_e64 v63, v67, v72, s[14:15]
	v_cndmask_b32_e64 v67, v68, v69, s[14:15]
	v_cndmask_b32_e64 v68, v72, v69, s[14:15]
	v_cmp_gt_i32_e64 s[14:15], v64, v71
	v_cndmask_b32_e64 v64, v65, v70, s[14:15]
	v_cndmask_b32_e64 v65, v66, v71, s[14:15]
	;; [unrolled: 1-line block ×3, first 2 shown]
	v_cmp_lt_i32_e64 s[14:15], v66, v68
	v_cndmask_b32_e64 v65, v65, v68, s[14:15]
	v_cndmask_b32_e64 v66, v67, v66, s[14:15]
	s_barrier
	ds_write2_b32 v54, v63, v66 offset1:1
	ds_write2_b32 v54, v65, v64 offset0:2 offset1:3
	v_mov_b32_e32 v65, v22
	s_waitcnt lgkmcnt(0)
	s_barrier
	s_and_saveexec_b64 s[16:17], vcc
	s_cbranch_execz .LBB26_6
; %bb.3:                                ;   in Loop: Header=BB26_2 Depth=1
	s_mov_b64 s[18:19], 0
	v_mov_b32_e32 v65, v22
	v_mov_b32_e32 v63, v23
.LBB26_4:                               ;   Parent Loop BB26_2 Depth=1
                                        ; =>  This Inner Loop Header: Depth=2
	v_sub_u32_e32 v64, v63, v65
	v_lshrrev_b32_e32 v64, 1, v64
	v_add_u32_e32 v64, v64, v65
	v_not_b32_e32 v67, v64
	v_lshl_add_u32 v66, v64, 2, v55
	v_lshl_add_u32 v67, v67, 2, v41
	ds_read_b32 v66, v66
	ds_read_b32 v67, v67
	v_add_u32_e32 v68, 1, v64
	s_waitcnt lgkmcnt(0)
	v_cmp_lt_i32_e64 s[14:15], v67, v66
	v_cndmask_b32_e64 v63, v63, v64, s[14:15]
	v_cndmask_b32_e64 v65, v68, v65, s[14:15]
	v_cmp_ge_i32_e64 s[14:15], v65, v63
	s_or_b64 s[18:19], s[14:15], s[18:19]
	s_andn2_b64 exec, exec, s[18:19]
	s_cbranch_execnz .LBB26_4
; %bb.5:                                ;   in Loop: Header=BB26_2 Depth=1
	s_or_b64 exec, exec, s[18:19]
.LBB26_6:                               ;   in Loop: Header=BB26_2 Depth=1
	s_or_b64 exec, exec, s[16:17]
	v_sub_u32_e32 v67, v40, v65
	v_lshl_add_u32 v66, v65, 2, v55
	v_lshlrev_b32_e32 v69, 2, v67
	ds_read_b32 v63, v66
	ds_read_b32 v64, v69
	v_add_u32_e32 v68, v65, v1
	v_cmp_le_i32_e64 s[16:17], v2, v68
	v_cmp_gt_i32_e64 s[14:15], v3, v67
                                        ; implicit-def: $vgpr65
	s_waitcnt lgkmcnt(0)
	v_cmp_lt_i32_e64 s[18:19], v64, v63
	s_or_b64 s[16:17], s[16:17], s[18:19]
	s_and_b64 s[14:15], s[14:15], s[16:17]
	s_xor_b64 s[16:17], s[14:15], -1
	s_and_saveexec_b64 s[18:19], s[16:17]
	s_xor_b64 s[16:17], exec, s[18:19]
; %bb.7:                                ;   in Loop: Header=BB26_2 Depth=1
	ds_read_b32 v65, v66 offset:4
                                        ; implicit-def: $vgpr69
; %bb.8:                                ;   in Loop: Header=BB26_2 Depth=1
	s_or_saveexec_b64 s[16:17], s[16:17]
	v_mov_b32_e32 v66, v64
	s_xor_b64 exec, exec, s[16:17]
	s_cbranch_execz .LBB26_10
; %bb.9:                                ;   in Loop: Header=BB26_2 Depth=1
	ds_read_b32 v66, v69 offset:4
	s_waitcnt lgkmcnt(1)
	v_mov_b32_e32 v65, v63
.LBB26_10:                              ;   in Loop: Header=BB26_2 Depth=1
	s_or_b64 exec, exec, s[16:17]
	v_add_u32_e32 v70, 1, v68
	v_add_u32_e32 v69, 1, v67
	v_cndmask_b32_e64 v70, v70, v68, s[14:15]
	v_cndmask_b32_e64 v69, v67, v69, s[14:15]
	v_cmp_ge_i32_e64 s[18:19], v70, v2
	s_waitcnt lgkmcnt(0)
	v_cmp_lt_i32_e64 s[20:21], v66, v65
	v_cmp_lt_i32_e64 s[16:17], v69, v3
	s_or_b64 s[18:19], s[18:19], s[20:21]
	s_and_b64 s[16:17], s[16:17], s[18:19]
	s_xor_b64 s[18:19], s[16:17], -1
                                        ; implicit-def: $vgpr67
	s_and_saveexec_b64 s[20:21], s[18:19]
	s_xor_b64 s[18:19], exec, s[20:21]
; %bb.11:                               ;   in Loop: Header=BB26_2 Depth=1
	v_lshlrev_b32_e32 v67, 2, v70
	ds_read_b32 v67, v67 offset:4
; %bb.12:                               ;   in Loop: Header=BB26_2 Depth=1
	s_or_saveexec_b64 s[18:19], s[18:19]
	v_mov_b32_e32 v68, v66
	s_xor_b64 exec, exec, s[18:19]
	s_cbranch_execz .LBB26_14
; %bb.13:                               ;   in Loop: Header=BB26_2 Depth=1
	s_waitcnt lgkmcnt(0)
	v_lshlrev_b32_e32 v67, 2, v69
	ds_read_b32 v68, v67 offset:4
	v_mov_b32_e32 v67, v65
.LBB26_14:                              ;   in Loop: Header=BB26_2 Depth=1
	s_or_b64 exec, exec, s[18:19]
	v_add_u32_e32 v72, 1, v70
	v_add_u32_e32 v71, 1, v69
	v_cndmask_b32_e64 v70, v72, v70, s[16:17]
	v_cndmask_b32_e64 v69, v69, v71, s[16:17]
	v_cmp_ge_i32_e64 s[20:21], v70, v2
	s_waitcnt lgkmcnt(0)
	v_cmp_lt_i32_e64 s[22:23], v68, v67
	v_cmp_lt_i32_e64 s[18:19], v69, v3
	s_or_b64 s[20:21], s[20:21], s[22:23]
	s_and_b64 s[18:19], s[18:19], s[20:21]
	s_xor_b64 s[20:21], s[18:19], -1
                                        ; implicit-def: $vgpr71
	s_and_saveexec_b64 s[22:23], s[20:21]
	s_xor_b64 s[20:21], exec, s[22:23]
; %bb.15:                               ;   in Loop: Header=BB26_2 Depth=1
	v_lshlrev_b32_e32 v71, 2, v70
	ds_read_b32 v71, v71 offset:4
; %bb.16:                               ;   in Loop: Header=BB26_2 Depth=1
	s_or_saveexec_b64 s[20:21], s[20:21]
	v_mov_b32_e32 v72, v68
	s_xor_b64 exec, exec, s[20:21]
	s_cbranch_execz .LBB26_18
; %bb.17:                               ;   in Loop: Header=BB26_2 Depth=1
	s_waitcnt lgkmcnt(0)
	v_lshlrev_b32_e32 v71, 2, v69
	ds_read_b32 v72, v71 offset:4
	v_mov_b32_e32 v71, v67
.LBB26_18:                              ;   in Loop: Header=BB26_2 Depth=1
	s_or_b64 exec, exec, s[20:21]
	v_cndmask_b32_e64 v67, v67, v68, s[18:19]
	v_add_u32_e32 v68, 1, v69
	v_add_u32_e32 v73, 1, v70
	v_cndmask_b32_e64 v68, v69, v68, s[18:19]
	v_cndmask_b32_e64 v69, v73, v70, s[18:19]
	;; [unrolled: 1-line block ×3, first 2 shown]
	v_cmp_ge_i32_e64 s[16:17], v69, v2
	s_waitcnt lgkmcnt(0)
	v_cmp_lt_i32_e64 s[18:19], v72, v71
	v_cndmask_b32_e64 v63, v63, v64, s[14:15]
	v_cmp_lt_i32_e64 s[14:15], v68, v3
	s_or_b64 s[16:17], s[16:17], s[18:19]
	s_and_b64 s[14:15], s[14:15], s[16:17]
	v_cndmask_b32_e64 v64, v71, v72, s[14:15]
	s_barrier
	ds_write2_b32 v54, v63, v65 offset1:1
	ds_write2_b32 v54, v67, v64 offset0:2 offset1:3
	v_mov_b32_e32 v65, v24
	s_waitcnt lgkmcnt(0)
	s_barrier
	s_and_saveexec_b64 s[16:17], s[0:1]
	s_cbranch_execz .LBB26_22
; %bb.19:                               ;   in Loop: Header=BB26_2 Depth=1
	s_mov_b64 s[18:19], 0
	v_mov_b32_e32 v65, v24
	v_mov_b32_e32 v63, v25
.LBB26_20:                              ;   Parent Loop BB26_2 Depth=1
                                        ; =>  This Inner Loop Header: Depth=2
	v_sub_u32_e32 v64, v63, v65
	v_lshrrev_b32_e32 v64, 1, v64
	v_add_u32_e32 v64, v64, v65
	v_not_b32_e32 v67, v64
	v_lshl_add_u32 v66, v64, 2, v56
	v_lshl_add_u32 v67, v67, 2, v43
	ds_read_b32 v66, v66
	ds_read_b32 v67, v67
	v_add_u32_e32 v68, 1, v64
	s_waitcnt lgkmcnt(0)
	v_cmp_lt_i32_e64 s[14:15], v67, v66
	v_cndmask_b32_e64 v63, v63, v64, s[14:15]
	v_cndmask_b32_e64 v65, v68, v65, s[14:15]
	v_cmp_ge_i32_e64 s[14:15], v65, v63
	s_or_b64 s[18:19], s[14:15], s[18:19]
	s_andn2_b64 exec, exec, s[18:19]
	s_cbranch_execnz .LBB26_20
; %bb.21:                               ;   in Loop: Header=BB26_2 Depth=1
	s_or_b64 exec, exec, s[18:19]
.LBB26_22:                              ;   in Loop: Header=BB26_2 Depth=1
	s_or_b64 exec, exec, s[16:17]
	v_sub_u32_e32 v67, v42, v65
	v_lshl_add_u32 v66, v65, 2, v56
	v_lshlrev_b32_e32 v69, 2, v67
	ds_read_b32 v63, v66
	ds_read_b32 v64, v69
	v_add_u32_e32 v68, v65, v4
	v_cmp_le_i32_e64 s[16:17], v5, v68
	v_cmp_gt_i32_e64 s[14:15], v6, v67
                                        ; implicit-def: $vgpr65
	s_waitcnt lgkmcnt(0)
	v_cmp_lt_i32_e64 s[18:19], v64, v63
	s_or_b64 s[16:17], s[16:17], s[18:19]
	s_and_b64 s[14:15], s[14:15], s[16:17]
	s_xor_b64 s[16:17], s[14:15], -1
	s_and_saveexec_b64 s[18:19], s[16:17]
	s_xor_b64 s[16:17], exec, s[18:19]
; %bb.23:                               ;   in Loop: Header=BB26_2 Depth=1
	ds_read_b32 v65, v66 offset:4
                                        ; implicit-def: $vgpr69
; %bb.24:                               ;   in Loop: Header=BB26_2 Depth=1
	s_or_saveexec_b64 s[16:17], s[16:17]
	v_mov_b32_e32 v66, v64
	s_xor_b64 exec, exec, s[16:17]
	s_cbranch_execz .LBB26_26
; %bb.25:                               ;   in Loop: Header=BB26_2 Depth=1
	ds_read_b32 v66, v69 offset:4
	s_waitcnt lgkmcnt(1)
	v_mov_b32_e32 v65, v63
.LBB26_26:                              ;   in Loop: Header=BB26_2 Depth=1
	s_or_b64 exec, exec, s[16:17]
	v_add_u32_e32 v70, 1, v68
	v_add_u32_e32 v69, 1, v67
	v_cndmask_b32_e64 v70, v70, v68, s[14:15]
	v_cndmask_b32_e64 v69, v67, v69, s[14:15]
	v_cmp_ge_i32_e64 s[18:19], v70, v5
	s_waitcnt lgkmcnt(0)
	v_cmp_lt_i32_e64 s[20:21], v66, v65
	v_cmp_lt_i32_e64 s[16:17], v69, v6
	s_or_b64 s[18:19], s[18:19], s[20:21]
	s_and_b64 s[16:17], s[16:17], s[18:19]
	s_xor_b64 s[18:19], s[16:17], -1
                                        ; implicit-def: $vgpr67
	s_and_saveexec_b64 s[20:21], s[18:19]
	s_xor_b64 s[18:19], exec, s[20:21]
; %bb.27:                               ;   in Loop: Header=BB26_2 Depth=1
	v_lshlrev_b32_e32 v67, 2, v70
	ds_read_b32 v67, v67 offset:4
; %bb.28:                               ;   in Loop: Header=BB26_2 Depth=1
	s_or_saveexec_b64 s[18:19], s[18:19]
	v_mov_b32_e32 v68, v66
	s_xor_b64 exec, exec, s[18:19]
	s_cbranch_execz .LBB26_30
; %bb.29:                               ;   in Loop: Header=BB26_2 Depth=1
	s_waitcnt lgkmcnt(0)
	v_lshlrev_b32_e32 v67, 2, v69
	ds_read_b32 v68, v67 offset:4
	v_mov_b32_e32 v67, v65
.LBB26_30:                              ;   in Loop: Header=BB26_2 Depth=1
	s_or_b64 exec, exec, s[18:19]
	v_add_u32_e32 v72, 1, v70
	v_add_u32_e32 v71, 1, v69
	v_cndmask_b32_e64 v70, v72, v70, s[16:17]
	v_cndmask_b32_e64 v69, v69, v71, s[16:17]
	v_cmp_ge_i32_e64 s[20:21], v70, v5
	s_waitcnt lgkmcnt(0)
	v_cmp_lt_i32_e64 s[22:23], v68, v67
	v_cmp_lt_i32_e64 s[18:19], v69, v6
	s_or_b64 s[20:21], s[20:21], s[22:23]
	s_and_b64 s[18:19], s[18:19], s[20:21]
	s_xor_b64 s[20:21], s[18:19], -1
                                        ; implicit-def: $vgpr71
	s_and_saveexec_b64 s[22:23], s[20:21]
	s_xor_b64 s[20:21], exec, s[22:23]
; %bb.31:                               ;   in Loop: Header=BB26_2 Depth=1
	v_lshlrev_b32_e32 v71, 2, v70
	ds_read_b32 v71, v71 offset:4
; %bb.32:                               ;   in Loop: Header=BB26_2 Depth=1
	s_or_saveexec_b64 s[20:21], s[20:21]
	v_mov_b32_e32 v72, v68
	s_xor_b64 exec, exec, s[20:21]
	s_cbranch_execz .LBB26_34
; %bb.33:                               ;   in Loop: Header=BB26_2 Depth=1
	s_waitcnt lgkmcnt(0)
	v_lshlrev_b32_e32 v71, 2, v69
	ds_read_b32 v72, v71 offset:4
	v_mov_b32_e32 v71, v67
.LBB26_34:                              ;   in Loop: Header=BB26_2 Depth=1
	s_or_b64 exec, exec, s[20:21]
	v_cndmask_b32_e64 v67, v67, v68, s[18:19]
	v_add_u32_e32 v68, 1, v69
	v_add_u32_e32 v73, 1, v70
	v_cndmask_b32_e64 v68, v69, v68, s[18:19]
	v_cndmask_b32_e64 v69, v73, v70, s[18:19]
	;; [unrolled: 1-line block ×3, first 2 shown]
	v_cmp_ge_i32_e64 s[16:17], v69, v5
	s_waitcnt lgkmcnt(0)
	v_cmp_lt_i32_e64 s[18:19], v72, v71
	v_cndmask_b32_e64 v63, v63, v64, s[14:15]
	v_cmp_lt_i32_e64 s[14:15], v68, v6
	s_or_b64 s[16:17], s[16:17], s[18:19]
	s_and_b64 s[14:15], s[14:15], s[16:17]
	v_cndmask_b32_e64 v64, v71, v72, s[14:15]
	s_barrier
	ds_write2_b32 v54, v63, v65 offset1:1
	ds_write2_b32 v54, v67, v64 offset0:2 offset1:3
	v_mov_b32_e32 v65, v26
	s_waitcnt lgkmcnt(0)
	s_barrier
	s_and_saveexec_b64 s[16:17], s[2:3]
	s_cbranch_execz .LBB26_38
; %bb.35:                               ;   in Loop: Header=BB26_2 Depth=1
	s_mov_b64 s[18:19], 0
	v_mov_b32_e32 v65, v26
	v_mov_b32_e32 v63, v27
.LBB26_36:                              ;   Parent Loop BB26_2 Depth=1
                                        ; =>  This Inner Loop Header: Depth=2
	v_sub_u32_e32 v64, v63, v65
	v_lshrrev_b32_e32 v64, 1, v64
	v_add_u32_e32 v64, v64, v65
	v_not_b32_e32 v67, v64
	v_lshl_add_u32 v66, v64, 2, v57
	v_lshl_add_u32 v67, v67, 2, v45
	ds_read_b32 v66, v66
	ds_read_b32 v67, v67
	v_add_u32_e32 v68, 1, v64
	s_waitcnt lgkmcnt(0)
	v_cmp_lt_i32_e64 s[14:15], v67, v66
	v_cndmask_b32_e64 v63, v63, v64, s[14:15]
	v_cndmask_b32_e64 v65, v68, v65, s[14:15]
	v_cmp_ge_i32_e64 s[14:15], v65, v63
	s_or_b64 s[18:19], s[14:15], s[18:19]
	s_andn2_b64 exec, exec, s[18:19]
	s_cbranch_execnz .LBB26_36
; %bb.37:                               ;   in Loop: Header=BB26_2 Depth=1
	s_or_b64 exec, exec, s[18:19]
.LBB26_38:                              ;   in Loop: Header=BB26_2 Depth=1
	s_or_b64 exec, exec, s[16:17]
	v_sub_u32_e32 v67, v44, v65
	v_lshl_add_u32 v66, v65, 2, v57
	v_lshlrev_b32_e32 v69, 2, v67
	ds_read_b32 v63, v66
	ds_read_b32 v64, v69
	v_add_u32_e32 v68, v65, v7
	v_cmp_le_i32_e64 s[16:17], v8, v68
	v_cmp_gt_i32_e64 s[14:15], v9, v67
                                        ; implicit-def: $vgpr65
	s_waitcnt lgkmcnt(0)
	v_cmp_lt_i32_e64 s[18:19], v64, v63
	s_or_b64 s[16:17], s[16:17], s[18:19]
	s_and_b64 s[14:15], s[14:15], s[16:17]
	s_xor_b64 s[16:17], s[14:15], -1
	s_and_saveexec_b64 s[18:19], s[16:17]
	s_xor_b64 s[16:17], exec, s[18:19]
; %bb.39:                               ;   in Loop: Header=BB26_2 Depth=1
	ds_read_b32 v65, v66 offset:4
                                        ; implicit-def: $vgpr69
; %bb.40:                               ;   in Loop: Header=BB26_2 Depth=1
	s_or_saveexec_b64 s[16:17], s[16:17]
	v_mov_b32_e32 v66, v64
	s_xor_b64 exec, exec, s[16:17]
	s_cbranch_execz .LBB26_42
; %bb.41:                               ;   in Loop: Header=BB26_2 Depth=1
	ds_read_b32 v66, v69 offset:4
	s_waitcnt lgkmcnt(1)
	v_mov_b32_e32 v65, v63
.LBB26_42:                              ;   in Loop: Header=BB26_2 Depth=1
	s_or_b64 exec, exec, s[16:17]
	v_add_u32_e32 v70, 1, v68
	v_add_u32_e32 v69, 1, v67
	v_cndmask_b32_e64 v70, v70, v68, s[14:15]
	v_cndmask_b32_e64 v69, v67, v69, s[14:15]
	v_cmp_ge_i32_e64 s[18:19], v70, v8
	s_waitcnt lgkmcnt(0)
	v_cmp_lt_i32_e64 s[20:21], v66, v65
	v_cmp_lt_i32_e64 s[16:17], v69, v9
	s_or_b64 s[18:19], s[18:19], s[20:21]
	s_and_b64 s[16:17], s[16:17], s[18:19]
	s_xor_b64 s[18:19], s[16:17], -1
                                        ; implicit-def: $vgpr67
	s_and_saveexec_b64 s[20:21], s[18:19]
	s_xor_b64 s[18:19], exec, s[20:21]
; %bb.43:                               ;   in Loop: Header=BB26_2 Depth=1
	v_lshlrev_b32_e32 v67, 2, v70
	ds_read_b32 v67, v67 offset:4
; %bb.44:                               ;   in Loop: Header=BB26_2 Depth=1
	s_or_saveexec_b64 s[18:19], s[18:19]
	v_mov_b32_e32 v68, v66
	s_xor_b64 exec, exec, s[18:19]
	s_cbranch_execz .LBB26_46
; %bb.45:                               ;   in Loop: Header=BB26_2 Depth=1
	s_waitcnt lgkmcnt(0)
	v_lshlrev_b32_e32 v67, 2, v69
	ds_read_b32 v68, v67 offset:4
	v_mov_b32_e32 v67, v65
.LBB26_46:                              ;   in Loop: Header=BB26_2 Depth=1
	s_or_b64 exec, exec, s[18:19]
	v_add_u32_e32 v72, 1, v70
	v_add_u32_e32 v71, 1, v69
	v_cndmask_b32_e64 v70, v72, v70, s[16:17]
	v_cndmask_b32_e64 v69, v69, v71, s[16:17]
	v_cmp_ge_i32_e64 s[20:21], v70, v8
	s_waitcnt lgkmcnt(0)
	v_cmp_lt_i32_e64 s[22:23], v68, v67
	v_cmp_lt_i32_e64 s[18:19], v69, v9
	s_or_b64 s[20:21], s[20:21], s[22:23]
	s_and_b64 s[18:19], s[18:19], s[20:21]
	s_xor_b64 s[20:21], s[18:19], -1
                                        ; implicit-def: $vgpr71
	s_and_saveexec_b64 s[22:23], s[20:21]
	s_xor_b64 s[20:21], exec, s[22:23]
; %bb.47:                               ;   in Loop: Header=BB26_2 Depth=1
	v_lshlrev_b32_e32 v71, 2, v70
	ds_read_b32 v71, v71 offset:4
; %bb.48:                               ;   in Loop: Header=BB26_2 Depth=1
	s_or_saveexec_b64 s[20:21], s[20:21]
	v_mov_b32_e32 v72, v68
	s_xor_b64 exec, exec, s[20:21]
	s_cbranch_execz .LBB26_50
; %bb.49:                               ;   in Loop: Header=BB26_2 Depth=1
	s_waitcnt lgkmcnt(0)
	v_lshlrev_b32_e32 v71, 2, v69
	ds_read_b32 v72, v71 offset:4
	v_mov_b32_e32 v71, v67
.LBB26_50:                              ;   in Loop: Header=BB26_2 Depth=1
	s_or_b64 exec, exec, s[20:21]
	v_cndmask_b32_e64 v67, v67, v68, s[18:19]
	v_add_u32_e32 v68, 1, v69
	v_add_u32_e32 v73, 1, v70
	v_cndmask_b32_e64 v68, v69, v68, s[18:19]
	v_cndmask_b32_e64 v69, v73, v70, s[18:19]
	;; [unrolled: 1-line block ×3, first 2 shown]
	v_cmp_ge_i32_e64 s[16:17], v69, v8
	s_waitcnt lgkmcnt(0)
	v_cmp_lt_i32_e64 s[18:19], v72, v71
	v_cndmask_b32_e64 v63, v63, v64, s[14:15]
	v_cmp_lt_i32_e64 s[14:15], v68, v9
	s_or_b64 s[16:17], s[16:17], s[18:19]
	s_and_b64 s[14:15], s[14:15], s[16:17]
	v_cndmask_b32_e64 v64, v71, v72, s[14:15]
	s_barrier
	ds_write2_b32 v54, v63, v65 offset1:1
	ds_write2_b32 v54, v67, v64 offset0:2 offset1:3
	v_mov_b32_e32 v65, v28
	s_waitcnt lgkmcnt(0)
	s_barrier
	s_and_saveexec_b64 s[16:17], s[4:5]
	s_cbranch_execz .LBB26_54
; %bb.51:                               ;   in Loop: Header=BB26_2 Depth=1
	s_mov_b64 s[18:19], 0
	v_mov_b32_e32 v65, v28
	v_mov_b32_e32 v63, v29
.LBB26_52:                              ;   Parent Loop BB26_2 Depth=1
                                        ; =>  This Inner Loop Header: Depth=2
	v_sub_u32_e32 v64, v63, v65
	v_lshrrev_b32_e32 v64, 1, v64
	v_add_u32_e32 v64, v64, v65
	v_not_b32_e32 v67, v64
	v_lshl_add_u32 v66, v64, 2, v58
	v_lshl_add_u32 v67, v67, 2, v47
	ds_read_b32 v66, v66
	ds_read_b32 v67, v67
	v_add_u32_e32 v68, 1, v64
	s_waitcnt lgkmcnt(0)
	v_cmp_lt_i32_e64 s[14:15], v67, v66
	v_cndmask_b32_e64 v63, v63, v64, s[14:15]
	v_cndmask_b32_e64 v65, v68, v65, s[14:15]
	v_cmp_ge_i32_e64 s[14:15], v65, v63
	s_or_b64 s[18:19], s[14:15], s[18:19]
	s_andn2_b64 exec, exec, s[18:19]
	s_cbranch_execnz .LBB26_52
; %bb.53:                               ;   in Loop: Header=BB26_2 Depth=1
	s_or_b64 exec, exec, s[18:19]
.LBB26_54:                              ;   in Loop: Header=BB26_2 Depth=1
	s_or_b64 exec, exec, s[16:17]
	v_sub_u32_e32 v67, v46, v65
	v_lshl_add_u32 v66, v65, 2, v58
	v_lshlrev_b32_e32 v69, 2, v67
	ds_read_b32 v63, v66
	ds_read_b32 v64, v69
	v_add_u32_e32 v68, v65, v10
	v_cmp_le_i32_e64 s[16:17], v11, v68
	v_cmp_gt_i32_e64 s[14:15], v12, v67
                                        ; implicit-def: $vgpr65
	s_waitcnt lgkmcnt(0)
	v_cmp_lt_i32_e64 s[18:19], v64, v63
	s_or_b64 s[16:17], s[16:17], s[18:19]
	s_and_b64 s[14:15], s[14:15], s[16:17]
	s_xor_b64 s[16:17], s[14:15], -1
	s_and_saveexec_b64 s[18:19], s[16:17]
	s_xor_b64 s[16:17], exec, s[18:19]
; %bb.55:                               ;   in Loop: Header=BB26_2 Depth=1
	ds_read_b32 v65, v66 offset:4
                                        ; implicit-def: $vgpr69
; %bb.56:                               ;   in Loop: Header=BB26_2 Depth=1
	s_or_saveexec_b64 s[16:17], s[16:17]
	v_mov_b32_e32 v66, v64
	s_xor_b64 exec, exec, s[16:17]
	s_cbranch_execz .LBB26_58
; %bb.57:                               ;   in Loop: Header=BB26_2 Depth=1
	ds_read_b32 v66, v69 offset:4
	s_waitcnt lgkmcnt(1)
	v_mov_b32_e32 v65, v63
.LBB26_58:                              ;   in Loop: Header=BB26_2 Depth=1
	s_or_b64 exec, exec, s[16:17]
	v_add_u32_e32 v70, 1, v68
	v_add_u32_e32 v69, 1, v67
	v_cndmask_b32_e64 v70, v70, v68, s[14:15]
	v_cndmask_b32_e64 v69, v67, v69, s[14:15]
	v_cmp_ge_i32_e64 s[18:19], v70, v11
	s_waitcnt lgkmcnt(0)
	v_cmp_lt_i32_e64 s[20:21], v66, v65
	v_cmp_lt_i32_e64 s[16:17], v69, v12
	s_or_b64 s[18:19], s[18:19], s[20:21]
	s_and_b64 s[16:17], s[16:17], s[18:19]
	s_xor_b64 s[18:19], s[16:17], -1
                                        ; implicit-def: $vgpr67
	s_and_saveexec_b64 s[20:21], s[18:19]
	s_xor_b64 s[18:19], exec, s[20:21]
; %bb.59:                               ;   in Loop: Header=BB26_2 Depth=1
	v_lshlrev_b32_e32 v67, 2, v70
	ds_read_b32 v67, v67 offset:4
; %bb.60:                               ;   in Loop: Header=BB26_2 Depth=1
	s_or_saveexec_b64 s[18:19], s[18:19]
	v_mov_b32_e32 v68, v66
	s_xor_b64 exec, exec, s[18:19]
	s_cbranch_execz .LBB26_62
; %bb.61:                               ;   in Loop: Header=BB26_2 Depth=1
	s_waitcnt lgkmcnt(0)
	v_lshlrev_b32_e32 v67, 2, v69
	ds_read_b32 v68, v67 offset:4
	v_mov_b32_e32 v67, v65
.LBB26_62:                              ;   in Loop: Header=BB26_2 Depth=1
	s_or_b64 exec, exec, s[18:19]
	v_add_u32_e32 v72, 1, v70
	v_add_u32_e32 v71, 1, v69
	v_cndmask_b32_e64 v70, v72, v70, s[16:17]
	v_cndmask_b32_e64 v69, v69, v71, s[16:17]
	v_cmp_ge_i32_e64 s[20:21], v70, v11
	s_waitcnt lgkmcnt(0)
	v_cmp_lt_i32_e64 s[22:23], v68, v67
	v_cmp_lt_i32_e64 s[18:19], v69, v12
	s_or_b64 s[20:21], s[20:21], s[22:23]
	s_and_b64 s[18:19], s[18:19], s[20:21]
	s_xor_b64 s[20:21], s[18:19], -1
                                        ; implicit-def: $vgpr71
	s_and_saveexec_b64 s[22:23], s[20:21]
	s_xor_b64 s[20:21], exec, s[22:23]
; %bb.63:                               ;   in Loop: Header=BB26_2 Depth=1
	v_lshlrev_b32_e32 v71, 2, v70
	ds_read_b32 v71, v71 offset:4
; %bb.64:                               ;   in Loop: Header=BB26_2 Depth=1
	s_or_saveexec_b64 s[20:21], s[20:21]
	v_mov_b32_e32 v72, v68
	s_xor_b64 exec, exec, s[20:21]
	s_cbranch_execz .LBB26_66
; %bb.65:                               ;   in Loop: Header=BB26_2 Depth=1
	s_waitcnt lgkmcnt(0)
	v_lshlrev_b32_e32 v71, 2, v69
	ds_read_b32 v72, v71 offset:4
	v_mov_b32_e32 v71, v67
.LBB26_66:                              ;   in Loop: Header=BB26_2 Depth=1
	s_or_b64 exec, exec, s[20:21]
	v_cndmask_b32_e64 v67, v67, v68, s[18:19]
	v_add_u32_e32 v68, 1, v69
	v_add_u32_e32 v73, 1, v70
	v_cndmask_b32_e64 v68, v69, v68, s[18:19]
	v_cndmask_b32_e64 v69, v73, v70, s[18:19]
	;; [unrolled: 1-line block ×3, first 2 shown]
	v_cmp_ge_i32_e64 s[16:17], v69, v11
	s_waitcnt lgkmcnt(0)
	v_cmp_lt_i32_e64 s[18:19], v72, v71
	v_cndmask_b32_e64 v63, v63, v64, s[14:15]
	v_cmp_lt_i32_e64 s[14:15], v68, v12
	s_or_b64 s[16:17], s[16:17], s[18:19]
	s_and_b64 s[14:15], s[14:15], s[16:17]
	v_cndmask_b32_e64 v64, v71, v72, s[14:15]
	s_barrier
	ds_write2_b32 v54, v63, v65 offset1:1
	ds_write2_b32 v54, v67, v64 offset0:2 offset1:3
	v_mov_b32_e32 v65, v30
	s_waitcnt lgkmcnt(0)
	s_barrier
	s_and_saveexec_b64 s[16:17], s[6:7]
	s_cbranch_execz .LBB26_70
; %bb.67:                               ;   in Loop: Header=BB26_2 Depth=1
	s_mov_b64 s[18:19], 0
	v_mov_b32_e32 v65, v30
	v_mov_b32_e32 v63, v31
.LBB26_68:                              ;   Parent Loop BB26_2 Depth=1
                                        ; =>  This Inner Loop Header: Depth=2
	v_sub_u32_e32 v64, v63, v65
	v_lshrrev_b32_e32 v64, 1, v64
	v_add_u32_e32 v64, v64, v65
	v_not_b32_e32 v67, v64
	v_lshl_add_u32 v66, v64, 2, v59
	v_lshl_add_u32 v67, v67, 2, v49
	ds_read_b32 v66, v66
	ds_read_b32 v67, v67
	v_add_u32_e32 v68, 1, v64
	s_waitcnt lgkmcnt(0)
	v_cmp_lt_i32_e64 s[14:15], v67, v66
	v_cndmask_b32_e64 v63, v63, v64, s[14:15]
	v_cndmask_b32_e64 v65, v68, v65, s[14:15]
	v_cmp_ge_i32_e64 s[14:15], v65, v63
	s_or_b64 s[18:19], s[14:15], s[18:19]
	s_andn2_b64 exec, exec, s[18:19]
	s_cbranch_execnz .LBB26_68
; %bb.69:                               ;   in Loop: Header=BB26_2 Depth=1
	s_or_b64 exec, exec, s[18:19]
.LBB26_70:                              ;   in Loop: Header=BB26_2 Depth=1
	s_or_b64 exec, exec, s[16:17]
	v_sub_u32_e32 v67, v48, v65
	v_lshl_add_u32 v66, v65, 2, v59
	v_lshlrev_b32_e32 v69, 2, v67
	ds_read_b32 v63, v66
	ds_read_b32 v64, v69
	v_add_u32_e32 v68, v65, v13
	v_cmp_le_i32_e64 s[16:17], v14, v68
	v_cmp_gt_i32_e64 s[14:15], v15, v67
                                        ; implicit-def: $vgpr65
	s_waitcnt lgkmcnt(0)
	v_cmp_lt_i32_e64 s[18:19], v64, v63
	s_or_b64 s[16:17], s[16:17], s[18:19]
	s_and_b64 s[14:15], s[14:15], s[16:17]
	s_xor_b64 s[16:17], s[14:15], -1
	s_and_saveexec_b64 s[18:19], s[16:17]
	s_xor_b64 s[16:17], exec, s[18:19]
; %bb.71:                               ;   in Loop: Header=BB26_2 Depth=1
	ds_read_b32 v65, v66 offset:4
                                        ; implicit-def: $vgpr69
; %bb.72:                               ;   in Loop: Header=BB26_2 Depth=1
	s_or_saveexec_b64 s[16:17], s[16:17]
	v_mov_b32_e32 v66, v64
	s_xor_b64 exec, exec, s[16:17]
	s_cbranch_execz .LBB26_74
; %bb.73:                               ;   in Loop: Header=BB26_2 Depth=1
	ds_read_b32 v66, v69 offset:4
	s_waitcnt lgkmcnt(1)
	v_mov_b32_e32 v65, v63
.LBB26_74:                              ;   in Loop: Header=BB26_2 Depth=1
	s_or_b64 exec, exec, s[16:17]
	v_add_u32_e32 v70, 1, v68
	v_add_u32_e32 v69, 1, v67
	v_cndmask_b32_e64 v70, v70, v68, s[14:15]
	v_cndmask_b32_e64 v69, v67, v69, s[14:15]
	v_cmp_ge_i32_e64 s[18:19], v70, v14
	s_waitcnt lgkmcnt(0)
	v_cmp_lt_i32_e64 s[20:21], v66, v65
	v_cmp_lt_i32_e64 s[16:17], v69, v15
	s_or_b64 s[18:19], s[18:19], s[20:21]
	s_and_b64 s[16:17], s[16:17], s[18:19]
	s_xor_b64 s[18:19], s[16:17], -1
                                        ; implicit-def: $vgpr67
	s_and_saveexec_b64 s[20:21], s[18:19]
	s_xor_b64 s[18:19], exec, s[20:21]
; %bb.75:                               ;   in Loop: Header=BB26_2 Depth=1
	v_lshlrev_b32_e32 v67, 2, v70
	ds_read_b32 v67, v67 offset:4
; %bb.76:                               ;   in Loop: Header=BB26_2 Depth=1
	s_or_saveexec_b64 s[18:19], s[18:19]
	v_mov_b32_e32 v68, v66
	s_xor_b64 exec, exec, s[18:19]
	s_cbranch_execz .LBB26_78
; %bb.77:                               ;   in Loop: Header=BB26_2 Depth=1
	s_waitcnt lgkmcnt(0)
	v_lshlrev_b32_e32 v67, 2, v69
	ds_read_b32 v68, v67 offset:4
	v_mov_b32_e32 v67, v65
.LBB26_78:                              ;   in Loop: Header=BB26_2 Depth=1
	s_or_b64 exec, exec, s[18:19]
	v_add_u32_e32 v72, 1, v70
	v_add_u32_e32 v71, 1, v69
	v_cndmask_b32_e64 v70, v72, v70, s[16:17]
	v_cndmask_b32_e64 v69, v69, v71, s[16:17]
	v_cmp_ge_i32_e64 s[20:21], v70, v14
	s_waitcnt lgkmcnt(0)
	v_cmp_lt_i32_e64 s[22:23], v68, v67
	v_cmp_lt_i32_e64 s[18:19], v69, v15
	s_or_b64 s[20:21], s[20:21], s[22:23]
	s_and_b64 s[18:19], s[18:19], s[20:21]
	s_xor_b64 s[20:21], s[18:19], -1
                                        ; implicit-def: $vgpr71
	s_and_saveexec_b64 s[22:23], s[20:21]
	s_xor_b64 s[20:21], exec, s[22:23]
; %bb.79:                               ;   in Loop: Header=BB26_2 Depth=1
	v_lshlrev_b32_e32 v71, 2, v70
	ds_read_b32 v71, v71 offset:4
; %bb.80:                               ;   in Loop: Header=BB26_2 Depth=1
	s_or_saveexec_b64 s[20:21], s[20:21]
	v_mov_b32_e32 v72, v68
	s_xor_b64 exec, exec, s[20:21]
	s_cbranch_execz .LBB26_82
; %bb.81:                               ;   in Loop: Header=BB26_2 Depth=1
	s_waitcnt lgkmcnt(0)
	v_lshlrev_b32_e32 v71, 2, v69
	ds_read_b32 v72, v71 offset:4
	v_mov_b32_e32 v71, v67
.LBB26_82:                              ;   in Loop: Header=BB26_2 Depth=1
	s_or_b64 exec, exec, s[20:21]
	v_cndmask_b32_e64 v67, v67, v68, s[18:19]
	v_add_u32_e32 v68, 1, v69
	v_add_u32_e32 v73, 1, v70
	v_cndmask_b32_e64 v68, v69, v68, s[18:19]
	v_cndmask_b32_e64 v69, v73, v70, s[18:19]
	;; [unrolled: 1-line block ×3, first 2 shown]
	v_cmp_ge_i32_e64 s[16:17], v69, v14
	s_waitcnt lgkmcnt(0)
	v_cmp_lt_i32_e64 s[18:19], v72, v71
	v_cndmask_b32_e64 v63, v63, v64, s[14:15]
	v_cmp_lt_i32_e64 s[14:15], v68, v15
	s_or_b64 s[16:17], s[16:17], s[18:19]
	s_and_b64 s[14:15], s[14:15], s[16:17]
	v_cndmask_b32_e64 v64, v71, v72, s[14:15]
	s_barrier
	ds_write2_b32 v54, v63, v65 offset1:1
	ds_write2_b32 v54, v67, v64 offset0:2 offset1:3
	v_mov_b32_e32 v65, v32
	s_waitcnt lgkmcnt(0)
	s_barrier
	s_and_saveexec_b64 s[16:17], s[8:9]
	s_cbranch_execz .LBB26_86
; %bb.83:                               ;   in Loop: Header=BB26_2 Depth=1
	s_mov_b64 s[18:19], 0
	v_mov_b32_e32 v65, v32
	v_mov_b32_e32 v63, v33
.LBB26_84:                              ;   Parent Loop BB26_2 Depth=1
                                        ; =>  This Inner Loop Header: Depth=2
	v_sub_u32_e32 v64, v63, v65
	v_lshrrev_b32_e32 v64, 1, v64
	v_add_u32_e32 v64, v64, v65
	v_not_b32_e32 v67, v64
	v_lshl_add_u32 v66, v64, 2, v60
	v_lshl_add_u32 v67, v67, 2, v51
	ds_read_b32 v66, v66
	ds_read_b32 v67, v67
	v_add_u32_e32 v68, 1, v64
	s_waitcnt lgkmcnt(0)
	v_cmp_lt_i32_e64 s[14:15], v67, v66
	v_cndmask_b32_e64 v63, v63, v64, s[14:15]
	v_cndmask_b32_e64 v65, v68, v65, s[14:15]
	v_cmp_ge_i32_e64 s[14:15], v65, v63
	s_or_b64 s[18:19], s[14:15], s[18:19]
	s_andn2_b64 exec, exec, s[18:19]
	s_cbranch_execnz .LBB26_84
; %bb.85:                               ;   in Loop: Header=BB26_2 Depth=1
	s_or_b64 exec, exec, s[18:19]
.LBB26_86:                              ;   in Loop: Header=BB26_2 Depth=1
	s_or_b64 exec, exec, s[16:17]
	v_sub_u32_e32 v67, v50, v65
	v_lshl_add_u32 v66, v65, 2, v60
	v_lshlrev_b32_e32 v69, 2, v67
	ds_read_b32 v63, v66
	ds_read_b32 v64, v69
	v_add_u32_e32 v68, v65, v16
	v_cmp_le_i32_e64 s[16:17], v17, v68
	v_cmp_gt_i32_e64 s[14:15], v18, v67
                                        ; implicit-def: $vgpr65
	s_waitcnt lgkmcnt(0)
	v_cmp_lt_i32_e64 s[18:19], v64, v63
	s_or_b64 s[16:17], s[16:17], s[18:19]
	s_and_b64 s[14:15], s[14:15], s[16:17]
	s_xor_b64 s[16:17], s[14:15], -1
	s_and_saveexec_b64 s[18:19], s[16:17]
	s_xor_b64 s[16:17], exec, s[18:19]
; %bb.87:                               ;   in Loop: Header=BB26_2 Depth=1
	ds_read_b32 v65, v66 offset:4
                                        ; implicit-def: $vgpr69
; %bb.88:                               ;   in Loop: Header=BB26_2 Depth=1
	s_or_saveexec_b64 s[16:17], s[16:17]
	v_mov_b32_e32 v66, v64
	s_xor_b64 exec, exec, s[16:17]
	s_cbranch_execz .LBB26_90
; %bb.89:                               ;   in Loop: Header=BB26_2 Depth=1
	ds_read_b32 v66, v69 offset:4
	s_waitcnt lgkmcnt(1)
	v_mov_b32_e32 v65, v63
.LBB26_90:                              ;   in Loop: Header=BB26_2 Depth=1
	s_or_b64 exec, exec, s[16:17]
	v_add_u32_e32 v70, 1, v68
	v_add_u32_e32 v69, 1, v67
	v_cndmask_b32_e64 v70, v70, v68, s[14:15]
	v_cndmask_b32_e64 v69, v67, v69, s[14:15]
	v_cmp_ge_i32_e64 s[18:19], v70, v17
	s_waitcnt lgkmcnt(0)
	v_cmp_lt_i32_e64 s[20:21], v66, v65
	v_cmp_lt_i32_e64 s[16:17], v69, v18
	s_or_b64 s[18:19], s[18:19], s[20:21]
	s_and_b64 s[16:17], s[16:17], s[18:19]
	s_xor_b64 s[18:19], s[16:17], -1
                                        ; implicit-def: $vgpr67
	s_and_saveexec_b64 s[20:21], s[18:19]
	s_xor_b64 s[18:19], exec, s[20:21]
; %bb.91:                               ;   in Loop: Header=BB26_2 Depth=1
	v_lshlrev_b32_e32 v67, 2, v70
	ds_read_b32 v67, v67 offset:4
; %bb.92:                               ;   in Loop: Header=BB26_2 Depth=1
	s_or_saveexec_b64 s[18:19], s[18:19]
	v_mov_b32_e32 v68, v66
	s_xor_b64 exec, exec, s[18:19]
	s_cbranch_execz .LBB26_94
; %bb.93:                               ;   in Loop: Header=BB26_2 Depth=1
	s_waitcnt lgkmcnt(0)
	v_lshlrev_b32_e32 v67, 2, v69
	ds_read_b32 v68, v67 offset:4
	v_mov_b32_e32 v67, v65
.LBB26_94:                              ;   in Loop: Header=BB26_2 Depth=1
	s_or_b64 exec, exec, s[18:19]
	v_add_u32_e32 v72, 1, v70
	v_add_u32_e32 v71, 1, v69
	v_cndmask_b32_e64 v70, v72, v70, s[16:17]
	v_cndmask_b32_e64 v69, v69, v71, s[16:17]
	v_cmp_ge_i32_e64 s[20:21], v70, v17
	s_waitcnt lgkmcnt(0)
	v_cmp_lt_i32_e64 s[22:23], v68, v67
	v_cmp_lt_i32_e64 s[18:19], v69, v18
	s_or_b64 s[20:21], s[20:21], s[22:23]
	s_and_b64 s[18:19], s[18:19], s[20:21]
	s_xor_b64 s[20:21], s[18:19], -1
                                        ; implicit-def: $vgpr71
	s_and_saveexec_b64 s[22:23], s[20:21]
	s_xor_b64 s[20:21], exec, s[22:23]
; %bb.95:                               ;   in Loop: Header=BB26_2 Depth=1
	v_lshlrev_b32_e32 v71, 2, v70
	ds_read_b32 v71, v71 offset:4
; %bb.96:                               ;   in Loop: Header=BB26_2 Depth=1
	s_or_saveexec_b64 s[20:21], s[20:21]
	v_mov_b32_e32 v72, v68
	s_xor_b64 exec, exec, s[20:21]
	s_cbranch_execz .LBB26_98
; %bb.97:                               ;   in Loop: Header=BB26_2 Depth=1
	s_waitcnt lgkmcnt(0)
	v_lshlrev_b32_e32 v71, 2, v69
	ds_read_b32 v72, v71 offset:4
	v_mov_b32_e32 v71, v67
.LBB26_98:                              ;   in Loop: Header=BB26_2 Depth=1
	s_or_b64 exec, exec, s[20:21]
	v_cndmask_b32_e64 v67, v67, v68, s[18:19]
	v_add_u32_e32 v68, 1, v69
	v_add_u32_e32 v73, 1, v70
	v_cndmask_b32_e64 v68, v69, v68, s[18:19]
	v_cndmask_b32_e64 v69, v73, v70, s[18:19]
	;; [unrolled: 1-line block ×3, first 2 shown]
	v_cmp_ge_i32_e64 s[16:17], v69, v17
	s_waitcnt lgkmcnt(0)
	v_cmp_lt_i32_e64 s[18:19], v72, v71
	v_cndmask_b32_e64 v63, v63, v64, s[14:15]
	v_cmp_lt_i32_e64 s[14:15], v68, v18
	s_or_b64 s[16:17], s[16:17], s[18:19]
	s_and_b64 s[14:15], s[14:15], s[16:17]
	v_cndmask_b32_e64 v64, v71, v72, s[14:15]
	s_barrier
	ds_write2_b32 v54, v63, v65 offset1:1
	ds_write2_b32 v54, v67, v64 offset0:2 offset1:3
	v_mov_b32_e32 v65, v34
	s_waitcnt lgkmcnt(0)
	s_barrier
	s_and_saveexec_b64 s[16:17], s[10:11]
	s_cbranch_execz .LBB26_102
; %bb.99:                               ;   in Loop: Header=BB26_2 Depth=1
	s_mov_b64 s[18:19], 0
	v_mov_b32_e32 v65, v34
	v_mov_b32_e32 v63, v35
.LBB26_100:                             ;   Parent Loop BB26_2 Depth=1
                                        ; =>  This Inner Loop Header: Depth=2
	v_sub_u32_e32 v64, v63, v65
	v_lshrrev_b32_e32 v64, 1, v64
	v_add_u32_e32 v64, v64, v65
	v_not_b32_e32 v67, v64
	v_lshl_add_u32 v66, v64, 2, v61
	v_lshl_add_u32 v67, v67, 2, v53
	ds_read_b32 v66, v66
	ds_read_b32 v67, v67
	v_add_u32_e32 v68, 1, v64
	s_waitcnt lgkmcnt(0)
	v_cmp_lt_i32_e64 s[14:15], v67, v66
	v_cndmask_b32_e64 v63, v63, v64, s[14:15]
	v_cndmask_b32_e64 v65, v68, v65, s[14:15]
	v_cmp_ge_i32_e64 s[14:15], v65, v63
	s_or_b64 s[18:19], s[14:15], s[18:19]
	s_andn2_b64 exec, exec, s[18:19]
	s_cbranch_execnz .LBB26_100
; %bb.101:                              ;   in Loop: Header=BB26_2 Depth=1
	s_or_b64 exec, exec, s[18:19]
.LBB26_102:                             ;   in Loop: Header=BB26_2 Depth=1
	s_or_b64 exec, exec, s[16:17]
	v_sub_u32_e32 v67, v52, v65
	v_lshl_add_u32 v66, v65, 2, v61
	v_lshlrev_b32_e32 v69, 2, v67
	ds_read_b32 v63, v66
	ds_read_b32 v64, v69
	v_add_u32_e32 v68, v65, v19
	v_cmp_le_i32_e64 s[16:17], v20, v68
	v_cmp_gt_i32_e64 s[14:15], v21, v67
                                        ; implicit-def: $vgpr65
	s_waitcnt lgkmcnt(0)
	v_cmp_lt_i32_e64 s[18:19], v64, v63
	s_or_b64 s[16:17], s[16:17], s[18:19]
	s_and_b64 s[14:15], s[14:15], s[16:17]
	s_xor_b64 s[16:17], s[14:15], -1
	s_and_saveexec_b64 s[18:19], s[16:17]
	s_xor_b64 s[16:17], exec, s[18:19]
; %bb.103:                              ;   in Loop: Header=BB26_2 Depth=1
	ds_read_b32 v65, v66 offset:4
                                        ; implicit-def: $vgpr69
; %bb.104:                              ;   in Loop: Header=BB26_2 Depth=1
	s_or_saveexec_b64 s[16:17], s[16:17]
	v_mov_b32_e32 v66, v64
	s_xor_b64 exec, exec, s[16:17]
	s_cbranch_execz .LBB26_106
; %bb.105:                              ;   in Loop: Header=BB26_2 Depth=1
	ds_read_b32 v66, v69 offset:4
	s_waitcnt lgkmcnt(1)
	v_mov_b32_e32 v65, v63
.LBB26_106:                             ;   in Loop: Header=BB26_2 Depth=1
	s_or_b64 exec, exec, s[16:17]
	v_add_u32_e32 v70, 1, v68
	v_add_u32_e32 v69, 1, v67
	v_cndmask_b32_e64 v70, v70, v68, s[14:15]
	v_cndmask_b32_e64 v69, v67, v69, s[14:15]
	v_cmp_ge_i32_e64 s[18:19], v70, v20
	s_waitcnt lgkmcnt(0)
	v_cmp_lt_i32_e64 s[20:21], v66, v65
	v_cmp_lt_i32_e64 s[16:17], v69, v21
	s_or_b64 s[18:19], s[18:19], s[20:21]
	s_and_b64 s[16:17], s[16:17], s[18:19]
	s_xor_b64 s[18:19], s[16:17], -1
                                        ; implicit-def: $vgpr67
	s_and_saveexec_b64 s[20:21], s[18:19]
	s_xor_b64 s[18:19], exec, s[20:21]
; %bb.107:                              ;   in Loop: Header=BB26_2 Depth=1
	v_lshlrev_b32_e32 v67, 2, v70
	ds_read_b32 v67, v67 offset:4
; %bb.108:                              ;   in Loop: Header=BB26_2 Depth=1
	s_or_saveexec_b64 s[18:19], s[18:19]
	v_mov_b32_e32 v68, v66
	s_xor_b64 exec, exec, s[18:19]
	s_cbranch_execz .LBB26_110
; %bb.109:                              ;   in Loop: Header=BB26_2 Depth=1
	s_waitcnt lgkmcnt(0)
	v_lshlrev_b32_e32 v67, 2, v69
	ds_read_b32 v68, v67 offset:4
	v_mov_b32_e32 v67, v65
.LBB26_110:                             ;   in Loop: Header=BB26_2 Depth=1
	s_or_b64 exec, exec, s[18:19]
	v_add_u32_e32 v72, 1, v70
	v_add_u32_e32 v71, 1, v69
	v_cndmask_b32_e64 v70, v72, v70, s[16:17]
	v_cndmask_b32_e64 v69, v69, v71, s[16:17]
	v_cmp_ge_i32_e64 s[20:21], v70, v20
	s_waitcnt lgkmcnt(0)
	v_cmp_lt_i32_e64 s[22:23], v68, v67
	v_cmp_lt_i32_e64 s[18:19], v69, v21
	s_or_b64 s[20:21], s[20:21], s[22:23]
	s_and_b64 s[18:19], s[18:19], s[20:21]
	s_xor_b64 s[20:21], s[18:19], -1
                                        ; implicit-def: $vgpr71
	s_and_saveexec_b64 s[22:23], s[20:21]
	s_xor_b64 s[20:21], exec, s[22:23]
; %bb.111:                              ;   in Loop: Header=BB26_2 Depth=1
	v_lshlrev_b32_e32 v71, 2, v70
	ds_read_b32 v71, v71 offset:4
; %bb.112:                              ;   in Loop: Header=BB26_2 Depth=1
	s_or_saveexec_b64 s[20:21], s[20:21]
	v_mov_b32_e32 v72, v68
	s_xor_b64 exec, exec, s[20:21]
	s_cbranch_execz .LBB26_114
; %bb.113:                              ;   in Loop: Header=BB26_2 Depth=1
	s_waitcnt lgkmcnt(0)
	v_lshlrev_b32_e32 v71, 2, v69
	ds_read_b32 v72, v71 offset:4
	v_mov_b32_e32 v71, v67
.LBB26_114:                             ;   in Loop: Header=BB26_2 Depth=1
	s_or_b64 exec, exec, s[20:21]
	v_cndmask_b32_e64 v67, v67, v68, s[18:19]
	v_add_u32_e32 v68, 1, v69
	v_add_u32_e32 v73, 1, v70
	v_cndmask_b32_e64 v68, v69, v68, s[18:19]
	v_cndmask_b32_e64 v69, v73, v70, s[18:19]
	;; [unrolled: 1-line block ×3, first 2 shown]
	v_cmp_ge_i32_e64 s[16:17], v69, v20
	s_waitcnt lgkmcnt(0)
	v_cmp_lt_i32_e64 s[18:19], v72, v71
	v_cndmask_b32_e64 v63, v63, v64, s[14:15]
	v_cmp_lt_i32_e64 s[14:15], v68, v21
	s_or_b64 s[16:17], s[16:17], s[18:19]
	s_and_b64 s[14:15], s[14:15], s[16:17]
	v_cndmask_b32_e64 v64, v71, v72, s[14:15]
	s_barrier
	ds_write2_b32 v54, v63, v65 offset1:1
	ds_write2_b32 v54, v67, v64 offset0:2 offset1:3
	v_mov_b32_e32 v67, v37
	s_waitcnt lgkmcnt(0)
	s_barrier
	s_and_saveexec_b64 s[16:17], s[12:13]
	s_cbranch_execz .LBB26_118
; %bb.115:                              ;   in Loop: Header=BB26_2 Depth=1
	s_mov_b64 s[18:19], 0
	v_mov_b32_e32 v67, v37
	v_mov_b32_e32 v63, v38
.LBB26_116:                             ;   Parent Loop BB26_2 Depth=1
                                        ; =>  This Inner Loop Header: Depth=2
	v_sub_u32_e32 v64, v63, v67
	v_lshrrev_b32_e32 v64, 1, v64
	v_add_u32_e32 v64, v64, v67
	v_not_b32_e32 v66, v64
	v_lshlrev_b32_e32 v65, 2, v64
	v_lshl_add_u32 v66, v66, 2, v62
	ds_read_b32 v65, v65
	ds_read_b32 v66, v66
	v_add_u32_e32 v68, 1, v64
	s_waitcnt lgkmcnt(0)
	v_cmp_lt_i32_e64 s[14:15], v66, v65
	v_cndmask_b32_e64 v63, v63, v64, s[14:15]
	v_cndmask_b32_e64 v67, v68, v67, s[14:15]
	v_cmp_ge_i32_e64 s[14:15], v67, v63
	s_or_b64 s[18:19], s[14:15], s[18:19]
	s_andn2_b64 exec, exec, s[18:19]
	s_cbranch_execnz .LBB26_116
; %bb.117:                              ;   in Loop: Header=BB26_2 Depth=1
	s_or_b64 exec, exec, s[18:19]
.LBB26_118:                             ;   in Loop: Header=BB26_2 Depth=1
	s_or_b64 exec, exec, s[16:17]
	v_sub_u32_e32 v68, v39, v67
	v_lshlrev_b32_e32 v66, 2, v67
	v_lshlrev_b32_e32 v69, 2, v68
	ds_read_b32 v63, v66
	ds_read_b32 v64, v69
	v_cmp_le_i32_e64 s[16:17], v36, v67
	v_cmp_gt_i32_e64 s[14:15], s24, v68
                                        ; implicit-def: $vgpr65
	s_waitcnt lgkmcnt(0)
	v_cmp_lt_i32_e64 s[18:19], v64, v63
	s_or_b64 s[16:17], s[16:17], s[18:19]
	s_and_b64 s[14:15], s[14:15], s[16:17]
	s_xor_b64 s[16:17], s[14:15], -1
	s_and_saveexec_b64 s[18:19], s[16:17]
	s_xor_b64 s[16:17], exec, s[18:19]
; %bb.119:                              ;   in Loop: Header=BB26_2 Depth=1
	ds_read_b32 v65, v66 offset:4
                                        ; implicit-def: $vgpr69
; %bb.120:                              ;   in Loop: Header=BB26_2 Depth=1
	s_or_saveexec_b64 s[16:17], s[16:17]
	v_mov_b32_e32 v66, v64
	s_xor_b64 exec, exec, s[16:17]
	s_cbranch_execz .LBB26_122
; %bb.121:                              ;   in Loop: Header=BB26_2 Depth=1
	ds_read_b32 v66, v69 offset:4
	s_waitcnt lgkmcnt(1)
	v_mov_b32_e32 v65, v63
.LBB26_122:                             ;   in Loop: Header=BB26_2 Depth=1
	s_or_b64 exec, exec, s[16:17]
	v_add_u32_e32 v70, 1, v67
	v_add_u32_e32 v69, 1, v68
	v_cndmask_b32_e64 v70, v70, v67, s[14:15]
	v_cndmask_b32_e64 v69, v68, v69, s[14:15]
	v_cmp_ge_i32_e64 s[18:19], v70, v36
	s_waitcnt lgkmcnt(0)
	v_cmp_lt_i32_e64 s[20:21], v66, v65
	v_cmp_gt_i32_e64 s[16:17], s24, v69
	s_or_b64 s[18:19], s[18:19], s[20:21]
	s_and_b64 s[16:17], s[16:17], s[18:19]
	s_xor_b64 s[18:19], s[16:17], -1
                                        ; implicit-def: $vgpr67
	s_and_saveexec_b64 s[20:21], s[18:19]
	s_xor_b64 s[18:19], exec, s[20:21]
; %bb.123:                              ;   in Loop: Header=BB26_2 Depth=1
	v_lshlrev_b32_e32 v67, 2, v70
	ds_read_b32 v67, v67 offset:4
; %bb.124:                              ;   in Loop: Header=BB26_2 Depth=1
	s_or_saveexec_b64 s[18:19], s[18:19]
	v_mov_b32_e32 v68, v66
	s_xor_b64 exec, exec, s[18:19]
	s_cbranch_execz .LBB26_126
; %bb.125:                              ;   in Loop: Header=BB26_2 Depth=1
	s_waitcnt lgkmcnt(0)
	v_lshlrev_b32_e32 v67, 2, v69
	ds_read_b32 v68, v67 offset:4
	v_mov_b32_e32 v67, v65
.LBB26_126:                             ;   in Loop: Header=BB26_2 Depth=1
	s_or_b64 exec, exec, s[18:19]
	v_add_u32_e32 v71, 1, v69
	v_add_u32_e32 v72, 1, v70
	v_cndmask_b32_e64 v69, v69, v71, s[16:17]
	v_cndmask_b32_e64 v71, v72, v70, s[16:17]
	v_cmp_ge_i32_e64 s[20:21], v71, v36
	s_waitcnt lgkmcnt(0)
	v_cmp_lt_i32_e64 s[22:23], v68, v67
	v_cmp_gt_i32_e64 s[18:19], s24, v69
	s_or_b64 s[20:21], s[20:21], s[22:23]
	s_and_b64 s[18:19], s[18:19], s[20:21]
	s_xor_b64 s[20:21], s[18:19], -1
                                        ; implicit-def: $vgpr70
                                        ; implicit-def: $vgpr72
	s_and_saveexec_b64 s[22:23], s[20:21]
	s_xor_b64 s[20:21], exec, s[22:23]
; %bb.127:                              ;   in Loop: Header=BB26_2 Depth=1
	v_lshlrev_b32_e32 v70, 2, v71
	ds_read_b32 v70, v70 offset:4
	v_add_u32_e32 v72, 1, v71
                                        ; implicit-def: $vgpr71
; %bb.128:                              ;   in Loop: Header=BB26_2 Depth=1
	s_or_saveexec_b64 s[20:21], s[20:21]
	v_mov_b32_e32 v73, v68
	s_xor_b64 exec, exec, s[20:21]
	s_cbranch_execz .LBB26_1
; %bb.129:                              ;   in Loop: Header=BB26_2 Depth=1
	s_waitcnt lgkmcnt(0)
	v_lshlrev_b32_e32 v70, 2, v69
	ds_read_b32 v73, v70 offset:4
	v_add_u32_e32 v69, 1, v69
	v_mov_b32_e32 v72, v71
	v_mov_b32_e32 v70, v67
	s_branch .LBB26_1
.LBB26_130:
	s_add_u32 s0, s26, s28
	s_addc_u32 s1, s27, s29
	v_lshlrev_b32_e32 v0, 2, v0
	global_store_dword v0, v64, s[0:1]
	global_store_dword v0, v65, s[0:1] offset:1024
	global_store_dword v0, v63, s[0:1] offset:2048
	;; [unrolled: 1-line block ×3, first 2 shown]
	s_endpgm
	.section	.rodata,"a",@progbits
	.p2align	6, 0x0
	.amdhsa_kernel _Z16sort_keys_kernelIiLj256ELj4EN10test_utils4lessELj10EEvPKT_PS2_T2_
		.amdhsa_group_segment_fixed_size 4100
		.amdhsa_private_segment_fixed_size 0
		.amdhsa_kernarg_size 20
		.amdhsa_user_sgpr_count 6
		.amdhsa_user_sgpr_private_segment_buffer 1
		.amdhsa_user_sgpr_dispatch_ptr 0
		.amdhsa_user_sgpr_queue_ptr 0
		.amdhsa_user_sgpr_kernarg_segment_ptr 1
		.amdhsa_user_sgpr_dispatch_id 0
		.amdhsa_user_sgpr_flat_scratch_init 0
		.amdhsa_user_sgpr_private_segment_size 0
		.amdhsa_uses_dynamic_stack 0
		.amdhsa_system_sgpr_private_segment_wavefront_offset 0
		.amdhsa_system_sgpr_workgroup_id_x 1
		.amdhsa_system_sgpr_workgroup_id_y 0
		.amdhsa_system_sgpr_workgroup_id_z 0
		.amdhsa_system_sgpr_workgroup_info 0
		.amdhsa_system_vgpr_workitem_id 0
		.amdhsa_next_free_vgpr 74
		.amdhsa_next_free_sgpr 32
		.amdhsa_reserve_vcc 1
		.amdhsa_reserve_flat_scratch 0
		.amdhsa_float_round_mode_32 0
		.amdhsa_float_round_mode_16_64 0
		.amdhsa_float_denorm_mode_32 3
		.amdhsa_float_denorm_mode_16_64 3
		.amdhsa_dx10_clamp 1
		.amdhsa_ieee_mode 1
		.amdhsa_fp16_overflow 0
		.amdhsa_exception_fp_ieee_invalid_op 0
		.amdhsa_exception_fp_denorm_src 0
		.amdhsa_exception_fp_ieee_div_zero 0
		.amdhsa_exception_fp_ieee_overflow 0
		.amdhsa_exception_fp_ieee_underflow 0
		.amdhsa_exception_fp_ieee_inexact 0
		.amdhsa_exception_int_div_zero 0
	.end_amdhsa_kernel
	.section	.text._Z16sort_keys_kernelIiLj256ELj4EN10test_utils4lessELj10EEvPKT_PS2_T2_,"axG",@progbits,_Z16sort_keys_kernelIiLj256ELj4EN10test_utils4lessELj10EEvPKT_PS2_T2_,comdat
.Lfunc_end26:
	.size	_Z16sort_keys_kernelIiLj256ELj4EN10test_utils4lessELj10EEvPKT_PS2_T2_, .Lfunc_end26-_Z16sort_keys_kernelIiLj256ELj4EN10test_utils4lessELj10EEvPKT_PS2_T2_
                                        ; -- End function
	.set _Z16sort_keys_kernelIiLj256ELj4EN10test_utils4lessELj10EEvPKT_PS2_T2_.num_vgpr, 74
	.set _Z16sort_keys_kernelIiLj256ELj4EN10test_utils4lessELj10EEvPKT_PS2_T2_.num_agpr, 0
	.set _Z16sort_keys_kernelIiLj256ELj4EN10test_utils4lessELj10EEvPKT_PS2_T2_.numbered_sgpr, 32
	.set _Z16sort_keys_kernelIiLj256ELj4EN10test_utils4lessELj10EEvPKT_PS2_T2_.num_named_barrier, 0
	.set _Z16sort_keys_kernelIiLj256ELj4EN10test_utils4lessELj10EEvPKT_PS2_T2_.private_seg_size, 0
	.set _Z16sort_keys_kernelIiLj256ELj4EN10test_utils4lessELj10EEvPKT_PS2_T2_.uses_vcc, 1
	.set _Z16sort_keys_kernelIiLj256ELj4EN10test_utils4lessELj10EEvPKT_PS2_T2_.uses_flat_scratch, 0
	.set _Z16sort_keys_kernelIiLj256ELj4EN10test_utils4lessELj10EEvPKT_PS2_T2_.has_dyn_sized_stack, 0
	.set _Z16sort_keys_kernelIiLj256ELj4EN10test_utils4lessELj10EEvPKT_PS2_T2_.has_recursion, 0
	.set _Z16sort_keys_kernelIiLj256ELj4EN10test_utils4lessELj10EEvPKT_PS2_T2_.has_indirect_call, 0
	.section	.AMDGPU.csdata,"",@progbits
; Kernel info:
; codeLenInByte = 5964
; TotalNumSgprs: 36
; NumVgprs: 74
; ScratchSize: 0
; MemoryBound: 0
; FloatMode: 240
; IeeeMode: 1
; LDSByteSize: 4100 bytes/workgroup (compile time only)
; SGPRBlocks: 4
; VGPRBlocks: 18
; NumSGPRsForWavesPerEU: 36
; NumVGPRsForWavesPerEU: 74
; Occupancy: 3
; WaveLimiterHint : 1
; COMPUTE_PGM_RSRC2:SCRATCH_EN: 0
; COMPUTE_PGM_RSRC2:USER_SGPR: 6
; COMPUTE_PGM_RSRC2:TRAP_HANDLER: 0
; COMPUTE_PGM_RSRC2:TGID_X_EN: 1
; COMPUTE_PGM_RSRC2:TGID_Y_EN: 0
; COMPUTE_PGM_RSRC2:TGID_Z_EN: 0
; COMPUTE_PGM_RSRC2:TIDIG_COMP_CNT: 0
	.section	.text._Z17sort_pairs_kernelIiLj256ELj4EN10test_utils4lessELj10EEvPKT_PS2_T2_,"axG",@progbits,_Z17sort_pairs_kernelIiLj256ELj4EN10test_utils4lessELj10EEvPKT_PS2_T2_,comdat
	.protected	_Z17sort_pairs_kernelIiLj256ELj4EN10test_utils4lessELj10EEvPKT_PS2_T2_ ; -- Begin function _Z17sort_pairs_kernelIiLj256ELj4EN10test_utils4lessELj10EEvPKT_PS2_T2_
	.globl	_Z17sort_pairs_kernelIiLj256ELj4EN10test_utils4lessELj10EEvPKT_PS2_T2_
	.p2align	8
	.type	_Z17sort_pairs_kernelIiLj256ELj4EN10test_utils4lessELj10EEvPKT_PS2_T2_,@function
_Z17sort_pairs_kernelIiLj256ELj4EN10test_utils4lessELj10EEvPKT_PS2_T2_: ; @_Z17sort_pairs_kernelIiLj256ELj4EN10test_utils4lessELj10EEvPKT_PS2_T2_
; %bb.0:
	s_load_dwordx4 s[36:39], s[4:5], 0x0
	s_lshl_b32 s42, s6, 10
	s_mov_b32 s43, 0
	s_lshl_b64 s[40:41], s[42:43], 2
	v_lshlrev_b32_e32 v39, 2, v0
	s_waitcnt lgkmcnt(0)
	s_add_u32 s0, s36, s40
	s_addc_u32 s1, s37, s41
	global_load_dword v68, v39, s[0:1]
	global_load_dword v70, v39, s[0:1] offset:1024
	global_load_dword v69, v39, s[0:1] offset:2048
	;; [unrolled: 1-line block ×3, first 2 shown]
	v_and_b32_e32 v1, 0x3f8, v39
	v_and_b32_e32 v4, 0x3f0, v39
	;; [unrolled: 1-line block ×7, first 2 shown]
	v_or_b32_e32 v2, 4, v1
	v_add_u32_e32 v3, 8, v1
	v_or_b32_e32 v5, 8, v4
	v_add_u32_e32 v6, 16, v4
	;; [unrolled: 2-line block ×7, first 2 shown]
	v_and_b32_e32 v41, 4, v39
	v_sub_u32_e32 v22, v3, v2
	v_and_b32_e32 v43, 12, v39
	v_sub_u32_e32 v24, v6, v5
	;; [unrolled: 2-line block ×7, first 2 shown]
	v_sub_u32_e32 v23, v41, v22
	v_sub_u32_e32 v25, v43, v24
	;; [unrolled: 1-line block ×7, first 2 shown]
	v_cmp_ge_i32_e32 vcc, v41, v22
	v_cmp_ge_i32_e64 s[0:1], v43, v24
	v_cmp_ge_i32_e64 s[2:3], v45, v26
	v_cmp_ge_i32_e64 s[4:5], v47, v28
	v_cmp_ge_i32_e64 s[6:7], v49, v30
	v_cmp_ge_i32_e64 s[8:9], v51, v32
	v_cmp_ge_i32_e64 s[10:11], v53, v34
	v_cndmask_b32_e32 v22, 0, v23, vcc
	v_sub_u32_e32 v23, v2, v1
	v_cndmask_b32_e64 v24, 0, v25, s[0:1]
	v_sub_u32_e32 v25, v5, v4
	v_cndmask_b32_e64 v26, 0, v27, s[2:3]
	;; [unrolled: 2-line block ×6, first 2 shown]
	v_sub_u32_e32 v35, v20, v19
	v_mov_b32_e32 v36, 0x200
	v_min_i32_e32 v23, v41, v23
	v_min_i32_e32 v25, v43, v25
	;; [unrolled: 1-line block ×7, first 2 shown]
	v_sub_u32_e64 v37, v39, v36 clamp
	v_min_i32_e32 v38, 0x200, v39
	v_add_u32_e32 v40, v2, v41
	v_lshlrev_b32_e32 v41, 2, v41
	v_add_u32_e32 v42, v5, v43
	v_lshlrev_b32_e32 v43, 2, v43
	;; [unrolled: 2-line block ×7, first 2 shown]
	v_lshlrev_b32_e32 v54, 4, v0
	v_cmp_lt_i32_e32 vcc, v22, v23
	v_cmp_lt_i32_e64 s[0:1], v24, v25
	v_cmp_lt_i32_e64 s[2:3], v26, v27
	;; [unrolled: 1-line block ×7, first 2 shown]
	v_add_u32_e32 v39, 0x200, v39
	v_lshl_add_u32 v41, v2, 2, v41
	v_lshl_add_u32 v43, v5, 2, v43
	;; [unrolled: 1-line block ×7, first 2 shown]
	s_movk_i32 s33, 0x400
	s_waitcnt vmcnt(3)
	v_add_u32_e32 v63, 1, v68
	s_waitcnt vmcnt(2)
	v_add_u32_e32 v65, 1, v70
	;; [unrolled: 2-line block ×4, first 2 shown]
	v_lshlrev_b32_e32 v55, 2, v1
	v_lshlrev_b32_e32 v56, 2, v4
	v_lshlrev_b32_e32 v57, 2, v7
	v_lshlrev_b32_e32 v58, 2, v10
	v_lshlrev_b32_e32 v59, 2, v13
	v_lshlrev_b32_e32 v60, 2, v16
	v_lshlrev_b32_e32 v61, 2, v19
	v_add_u32_e32 v62, 0x800, v54
	s_branch .LBB27_2
.LBB27_1:                               ;   in Loop: Header=BB27_2 Depth=1
	s_or_b64 exec, exec, s[20:21]
	v_cmp_ge_i32_e64 s[20:21], v79, v36
	s_waitcnt lgkmcnt(0)
	v_cmp_lt_i32_e64 s[22:23], v82, v80
	v_cndmask_b32_e64 v68, v68, v72, s[14:15]
	v_cndmask_b32_e64 v70, v67, v70, s[14:15]
	v_cmp_gt_i32_e64 s[14:15], s33, v77
	s_or_b64 s[20:21], s[20:21], s[22:23]
	v_cndmask_b32_e64 v72, v76, v75, s[16:17]
	s_and_b64 s[14:15], s[14:15], s[20:21]
	v_cndmask_b32_e64 v75, v79, v77, s[14:15]
	s_barrier
	ds_write2_b32 v54, v63, v64 offset1:1
	ds_write2_b32 v54, v65, v66 offset0:2 offset1:3
	v_lshlrev_b32_e32 v63, 2, v70
	v_lshlrev_b32_e32 v64, 2, v72
	;; [unrolled: 1-line block ×3, first 2 shown]
	s_waitcnt lgkmcnt(0)
	s_barrier
	v_lshlrev_b32_e32 v70, 2, v75
	ds_read_b32 v63, v63
	ds_read_b32 v65, v64
	;; [unrolled: 1-line block ×4, first 2 shown]
	s_add_i32 s43, s43, 1
	v_cndmask_b32_e64 v67, v80, v82, s[14:15]
	v_cndmask_b32_e64 v70, v69, v71, s[16:17]
	s_cmp_eq_u32 s43, 10
	v_cndmask_b32_e64 v69, v73, v74, s[18:19]
	s_cbranch_scc1 .LBB27_130
.LBB27_2:                               ; =>This Loop Header: Depth=1
                                        ;     Child Loop BB27_4 Depth 2
                                        ;     Child Loop BB27_20 Depth 2
	;; [unrolled: 1-line block ×8, first 2 shown]
	v_cmp_lt_i32_e64 s[14:15], v70, v68
	v_cmp_lt_i32_e64 s[16:17], v67, v69
	v_cndmask_b32_e64 v71, v68, v70, s[14:15]
	v_cndmask_b32_e64 v68, v70, v68, s[14:15]
	;; [unrolled: 1-line block ×4, first 2 shown]
	v_min_i32_e32 v67, v67, v69
	v_cmp_lt_i32_e64 s[18:19], v67, v68
	v_cndmask_b32_e64 v69, v72, v68, s[18:19]
	v_cndmask_b32_e64 v72, v68, v67, s[18:19]
	v_min_i32_e32 v67, v67, v68
	v_cmp_lt_i32_e64 s[20:21], v67, v71
	v_cmp_lt_i32_e64 s[22:23], v70, v69
	v_cndmask_b32_e64 v67, v71, v67, s[20:21]
	v_cndmask_b32_e64 v68, v72, v71, s[20:21]
	;; [unrolled: 1-line block ×4, first 2 shown]
	v_min_i32_e32 v69, v70, v69
	v_cmp_lt_i32_e64 s[24:25], v69, v68
	v_cndmask_b32_e64 v70, v72, v68, s[24:25]
	v_cndmask_b32_e64 v68, v68, v69, s[24:25]
	v_mov_b32_e32 v69, v22
	s_waitcnt lgkmcnt(0)
	s_barrier
	ds_write2_b32 v54, v67, v68 offset1:1
	ds_write2_b32 v54, v70, v71 offset0:2 offset1:3
	s_waitcnt lgkmcnt(0)
	s_barrier
	s_and_saveexec_b64 s[28:29], vcc
	s_cbranch_execz .LBB27_6
; %bb.3:                                ;   in Loop: Header=BB27_2 Depth=1
	s_mov_b64 s[30:31], 0
	v_mov_b32_e32 v69, v22
	v_mov_b32_e32 v67, v23
.LBB27_4:                               ;   Parent Loop BB27_2 Depth=1
                                        ; =>  This Inner Loop Header: Depth=2
	v_sub_u32_e32 v68, v67, v69
	v_lshrrev_b32_e32 v68, 1, v68
	v_add_u32_e32 v68, v68, v69
	v_not_b32_e32 v71, v68
	v_lshl_add_u32 v70, v68, 2, v55
	v_lshl_add_u32 v71, v71, 2, v41
	ds_read_b32 v70, v70
	ds_read_b32 v71, v71
	v_add_u32_e32 v72, 1, v68
	s_waitcnt lgkmcnt(0)
	v_cmp_lt_i32_e64 s[26:27], v71, v70
	v_cndmask_b32_e64 v67, v67, v68, s[26:27]
	v_cndmask_b32_e64 v69, v72, v69, s[26:27]
	v_cmp_ge_i32_e64 s[26:27], v69, v67
	s_or_b64 s[30:31], s[26:27], s[30:31]
	s_andn2_b64 exec, exec, s[30:31]
	s_cbranch_execnz .LBB27_4
; %bb.5:                                ;   in Loop: Header=BB27_2 Depth=1
	s_or_b64 exec, exec, s[30:31]
.LBB27_6:                               ;   in Loop: Header=BB27_2 Depth=1
	s_or_b64 exec, exec, s[28:29]
	v_sub_u32_e32 v67, v40, v69
	v_lshl_add_u32 v72, v69, 2, v55
	v_lshlrev_b32_e32 v73, 2, v67
	ds_read_b32 v68, v72
	ds_read_b32 v70, v73
	v_add_u32_e32 v69, v69, v1
	v_cmp_le_i32_e64 s[28:29], v2, v69
	v_cmp_gt_i32_e64 s[26:27], v3, v67
                                        ; implicit-def: $vgpr71
	s_waitcnt lgkmcnt(0)
	v_cmp_lt_i32_e64 s[30:31], v70, v68
	s_or_b64 s[28:29], s[28:29], s[30:31]
	s_and_b64 s[26:27], s[26:27], s[28:29]
	s_xor_b64 s[28:29], s[26:27], -1
	s_and_saveexec_b64 s[30:31], s[28:29]
	s_xor_b64 s[28:29], exec, s[30:31]
; %bb.7:                                ;   in Loop: Header=BB27_2 Depth=1
	ds_read_b32 v71, v72 offset:4
                                        ; implicit-def: $vgpr73
; %bb.8:                                ;   in Loop: Header=BB27_2 Depth=1
	s_or_saveexec_b64 s[28:29], s[28:29]
	v_mov_b32_e32 v72, v70
	s_xor_b64 exec, exec, s[28:29]
	s_cbranch_execz .LBB27_10
; %bb.9:                                ;   in Loop: Header=BB27_2 Depth=1
	ds_read_b32 v72, v73 offset:4
	s_waitcnt lgkmcnt(1)
	v_mov_b32_e32 v71, v68
.LBB27_10:                              ;   in Loop: Header=BB27_2 Depth=1
	s_or_b64 exec, exec, s[28:29]
	v_add_u32_e32 v74, 1, v69
	v_add_u32_e32 v73, 1, v67
	v_cndmask_b32_e64 v74, v74, v69, s[26:27]
	v_cndmask_b32_e64 v73, v67, v73, s[26:27]
	v_cmp_ge_i32_e64 s[30:31], v74, v2
	s_waitcnt lgkmcnt(0)
	v_cmp_lt_i32_e64 s[34:35], v72, v71
	v_cmp_lt_i32_e64 s[28:29], v73, v3
	s_or_b64 s[30:31], s[30:31], s[34:35]
	s_and_b64 s[28:29], s[28:29], s[30:31]
	s_xor_b64 s[30:31], s[28:29], -1
                                        ; implicit-def: $vgpr75
	s_and_saveexec_b64 s[34:35], s[30:31]
	s_xor_b64 s[30:31], exec, s[34:35]
; %bb.11:                               ;   in Loop: Header=BB27_2 Depth=1
	v_lshlrev_b32_e32 v75, 2, v74
	ds_read_b32 v75, v75 offset:4
; %bb.12:                               ;   in Loop: Header=BB27_2 Depth=1
	s_or_saveexec_b64 s[30:31], s[30:31]
	v_mov_b32_e32 v77, v72
	s_xor_b64 exec, exec, s[30:31]
	s_cbranch_execz .LBB27_14
; %bb.13:                               ;   in Loop: Header=BB27_2 Depth=1
	s_waitcnt lgkmcnt(0)
	v_lshlrev_b32_e32 v75, 2, v73
	ds_read_b32 v77, v75 offset:4
	v_mov_b32_e32 v75, v71
.LBB27_14:                              ;   in Loop: Header=BB27_2 Depth=1
	s_or_b64 exec, exec, s[30:31]
	v_add_u32_e32 v79, 1, v74
	v_add_u32_e32 v76, 1, v73
	v_cndmask_b32_e64 v79, v79, v74, s[28:29]
	v_cndmask_b32_e64 v78, v73, v76, s[28:29]
	v_cmp_ge_i32_e64 s[34:35], v79, v2
	s_waitcnt lgkmcnt(0)
	v_cmp_lt_i32_e64 s[36:37], v77, v75
	v_cmp_lt_i32_e64 s[30:31], v78, v3
	s_or_b64 s[34:35], s[34:35], s[36:37]
	s_and_b64 s[30:31], s[30:31], s[34:35]
	s_xor_b64 s[34:35], s[30:31], -1
                                        ; implicit-def: $vgpr76
	s_and_saveexec_b64 s[36:37], s[34:35]
	s_xor_b64 s[34:35], exec, s[36:37]
; %bb.15:                               ;   in Loop: Header=BB27_2 Depth=1
	v_lshlrev_b32_e32 v76, 2, v79
	ds_read_b32 v76, v76 offset:4
; %bb.16:                               ;   in Loop: Header=BB27_2 Depth=1
	s_or_saveexec_b64 s[34:35], s[34:35]
	v_mov_b32_e32 v80, v77
	s_xor_b64 exec, exec, s[34:35]
	s_cbranch_execz .LBB27_18
; %bb.17:                               ;   in Loop: Header=BB27_2 Depth=1
	s_waitcnt lgkmcnt(0)
	v_lshlrev_b32_e32 v76, 2, v78
	ds_read_b32 v80, v76 offset:4
	v_mov_b32_e32 v76, v75
.LBB27_18:                              ;   in Loop: Header=BB27_2 Depth=1
	s_or_b64 exec, exec, s[34:35]
	v_add_u32_e32 v81, 1, v79
	v_cndmask_b32_e64 v75, v75, v77, s[30:31]
	v_add_u32_e32 v77, 1, v78
	v_cndmask_b32_e64 v81, v81, v79, s[30:31]
	v_cndmask_b32_e64 v67, v69, v67, s[26:27]
	;; [unrolled: 1-line block ×9, first 2 shown]
	v_cmp_ge_i32_e64 s[16:17], v81, v2
	s_waitcnt lgkmcnt(0)
	v_cmp_lt_i32_e64 s[18:19], v80, v76
	v_cndmask_b32_e64 v64, v69, v63, s[20:21]
	v_cndmask_b32_e64 v63, v63, v69, s[20:21]
	;; [unrolled: 1-line block ×4, first 2 shown]
	v_cmp_lt_i32_e64 s[14:15], v77, v3
	s_or_b64 s[16:17], s[16:17], s[18:19]
	v_cndmask_b32_e64 v78, v79, v78, s[30:31]
	v_cndmask_b32_e64 v71, v71, v72, s[28:29]
	;; [unrolled: 1-line block ×5, first 2 shown]
	s_and_b64 s[14:15], s[14:15], s[16:17]
	v_cndmask_b32_e64 v65, v81, v77, s[14:15]
	s_barrier
	ds_write2_b32 v54, v64, v63 offset1:1
	ds_write2_b32 v54, v66, v69 offset0:2 offset1:3
	v_lshlrev_b32_e32 v63, 2, v67
	v_lshlrev_b32_e32 v64, 2, v72
	;; [unrolled: 1-line block ×3, first 2 shown]
	s_waitcnt lgkmcnt(0)
	s_barrier
	v_lshlrev_b32_e32 v67, 2, v65
	ds_read_b32 v63, v63
	ds_read_b32 v64, v64
	ds_read_b32 v65, v66
	ds_read_b32 v66, v67
	v_cndmask_b32_e64 v68, v68, v70, s[26:27]
	v_mov_b32_e32 v69, v24
	v_cndmask_b32_e64 v70, v76, v80, s[14:15]
	s_waitcnt lgkmcnt(0)
	s_barrier
	ds_write2_b32 v54, v68, v71 offset1:1
	ds_write2_b32 v54, v75, v70 offset0:2 offset1:3
	s_waitcnt lgkmcnt(0)
	s_barrier
	s_and_saveexec_b64 s[16:17], s[0:1]
	s_cbranch_execz .LBB27_22
; %bb.19:                               ;   in Loop: Header=BB27_2 Depth=1
	s_mov_b64 s[18:19], 0
	v_mov_b32_e32 v69, v24
	v_mov_b32_e32 v67, v25
.LBB27_20:                              ;   Parent Loop BB27_2 Depth=1
                                        ; =>  This Inner Loop Header: Depth=2
	v_sub_u32_e32 v68, v67, v69
	v_lshrrev_b32_e32 v68, 1, v68
	v_add_u32_e32 v68, v68, v69
	v_not_b32_e32 v71, v68
	v_lshl_add_u32 v70, v68, 2, v56
	v_lshl_add_u32 v71, v71, 2, v43
	ds_read_b32 v70, v70
	ds_read_b32 v71, v71
	v_add_u32_e32 v72, 1, v68
	s_waitcnt lgkmcnt(0)
	v_cmp_lt_i32_e64 s[14:15], v71, v70
	v_cndmask_b32_e64 v67, v67, v68, s[14:15]
	v_cndmask_b32_e64 v69, v72, v69, s[14:15]
	v_cmp_ge_i32_e64 s[14:15], v69, v67
	s_or_b64 s[18:19], s[14:15], s[18:19]
	s_andn2_b64 exec, exec, s[18:19]
	s_cbranch_execnz .LBB27_20
; %bb.21:                               ;   in Loop: Header=BB27_2 Depth=1
	s_or_b64 exec, exec, s[18:19]
.LBB27_22:                              ;   in Loop: Header=BB27_2 Depth=1
	s_or_b64 exec, exec, s[16:17]
	v_sub_u32_e32 v67, v42, v69
	v_lshl_add_u32 v72, v69, 2, v56
	v_lshlrev_b32_e32 v73, 2, v67
	ds_read_b32 v68, v72
	ds_read_b32 v70, v73
	v_add_u32_e32 v69, v69, v4
	v_cmp_le_i32_e64 s[16:17], v5, v69
	v_cmp_gt_i32_e64 s[14:15], v6, v67
                                        ; implicit-def: $vgpr71
	s_waitcnt lgkmcnt(0)
	v_cmp_lt_i32_e64 s[18:19], v70, v68
	s_or_b64 s[16:17], s[16:17], s[18:19]
	s_and_b64 s[14:15], s[14:15], s[16:17]
	s_xor_b64 s[16:17], s[14:15], -1
	s_and_saveexec_b64 s[18:19], s[16:17]
	s_xor_b64 s[16:17], exec, s[18:19]
; %bb.23:                               ;   in Loop: Header=BB27_2 Depth=1
	ds_read_b32 v71, v72 offset:4
                                        ; implicit-def: $vgpr73
; %bb.24:                               ;   in Loop: Header=BB27_2 Depth=1
	s_or_saveexec_b64 s[16:17], s[16:17]
	v_mov_b32_e32 v72, v70
	s_xor_b64 exec, exec, s[16:17]
	s_cbranch_execz .LBB27_26
; %bb.25:                               ;   in Loop: Header=BB27_2 Depth=1
	ds_read_b32 v72, v73 offset:4
	s_waitcnt lgkmcnt(1)
	v_mov_b32_e32 v71, v68
.LBB27_26:                              ;   in Loop: Header=BB27_2 Depth=1
	s_or_b64 exec, exec, s[16:17]
	v_add_u32_e32 v74, 1, v69
	v_add_u32_e32 v73, 1, v67
	v_cndmask_b32_e64 v74, v74, v69, s[14:15]
	v_cndmask_b32_e64 v73, v67, v73, s[14:15]
	v_cmp_ge_i32_e64 s[18:19], v74, v5
	s_waitcnt lgkmcnt(0)
	v_cmp_lt_i32_e64 s[20:21], v72, v71
	v_cmp_lt_i32_e64 s[16:17], v73, v6
	s_or_b64 s[18:19], s[18:19], s[20:21]
	s_and_b64 s[16:17], s[16:17], s[18:19]
	s_xor_b64 s[18:19], s[16:17], -1
                                        ; implicit-def: $vgpr75
	s_and_saveexec_b64 s[20:21], s[18:19]
	s_xor_b64 s[18:19], exec, s[20:21]
; %bb.27:                               ;   in Loop: Header=BB27_2 Depth=1
	v_lshlrev_b32_e32 v75, 2, v74
	ds_read_b32 v75, v75 offset:4
; %bb.28:                               ;   in Loop: Header=BB27_2 Depth=1
	s_or_saveexec_b64 s[18:19], s[18:19]
	v_mov_b32_e32 v76, v72
	s_xor_b64 exec, exec, s[18:19]
	s_cbranch_execz .LBB27_30
; %bb.29:                               ;   in Loop: Header=BB27_2 Depth=1
	s_waitcnt lgkmcnt(0)
	v_lshlrev_b32_e32 v75, 2, v73
	ds_read_b32 v76, v75 offset:4
	v_mov_b32_e32 v75, v71
.LBB27_30:                              ;   in Loop: Header=BB27_2 Depth=1
	s_or_b64 exec, exec, s[18:19]
	v_add_u32_e32 v78, 1, v74
	v_add_u32_e32 v77, 1, v73
	v_cndmask_b32_e64 v78, v78, v74, s[16:17]
	v_cndmask_b32_e64 v77, v73, v77, s[16:17]
	v_cmp_ge_i32_e64 s[20:21], v78, v5
	s_waitcnt lgkmcnt(0)
	v_cmp_lt_i32_e64 s[22:23], v76, v75
	v_cmp_lt_i32_e64 s[18:19], v77, v6
	s_or_b64 s[20:21], s[20:21], s[22:23]
	s_and_b64 s[18:19], s[18:19], s[20:21]
	s_xor_b64 s[20:21], s[18:19], -1
                                        ; implicit-def: $vgpr79
	s_and_saveexec_b64 s[22:23], s[20:21]
	s_xor_b64 s[20:21], exec, s[22:23]
; %bb.31:                               ;   in Loop: Header=BB27_2 Depth=1
	v_lshlrev_b32_e32 v79, 2, v78
	ds_read_b32 v79, v79 offset:4
; %bb.32:                               ;   in Loop: Header=BB27_2 Depth=1
	s_or_saveexec_b64 s[20:21], s[20:21]
	v_mov_b32_e32 v80, v76
	s_xor_b64 exec, exec, s[20:21]
	s_cbranch_execz .LBB27_34
; %bb.33:                               ;   in Loop: Header=BB27_2 Depth=1
	s_waitcnt lgkmcnt(0)
	v_lshlrev_b32_e32 v79, 2, v77
	ds_read_b32 v80, v79 offset:4
	v_mov_b32_e32 v79, v75
.LBB27_34:                              ;   in Loop: Header=BB27_2 Depth=1
	s_or_b64 exec, exec, s[20:21]
	v_add_u32_e32 v81, 1, v78
	v_cndmask_b32_e64 v75, v75, v76, s[18:19]
	v_add_u32_e32 v76, 1, v77
	v_cndmask_b32_e64 v81, v81, v78, s[18:19]
	v_cndmask_b32_e64 v76, v77, v76, s[18:19]
	;; [unrolled: 1-line block ×5, first 2 shown]
	v_cmp_ge_i32_e64 s[16:17], v81, v5
	s_waitcnt lgkmcnt(0)
	v_cmp_lt_i32_e64 s[18:19], v80, v79
	v_cndmask_b32_e64 v68, v68, v70, s[14:15]
	v_cndmask_b32_e64 v67, v69, v67, s[14:15]
	v_cmp_lt_i32_e64 s[14:15], v76, v6
	s_or_b64 s[16:17], s[16:17], s[18:19]
	s_and_b64 s[14:15], s[14:15], s[16:17]
	v_cndmask_b32_e64 v70, v81, v76, s[14:15]
	s_barrier
	ds_write2_b32 v54, v63, v64 offset1:1
	ds_write2_b32 v54, v65, v66 offset0:2 offset1:3
	v_lshlrev_b32_e32 v63, 2, v67
	v_lshlrev_b32_e32 v64, 2, v72
	;; [unrolled: 1-line block ×4, first 2 shown]
	s_waitcnt lgkmcnt(0)
	s_barrier
	ds_read_b32 v63, v63
	ds_read_b32 v64, v64
	;; [unrolled: 1-line block ×4, first 2 shown]
	v_cndmask_b32_e64 v69, v79, v80, s[14:15]
	s_waitcnt lgkmcnt(0)
	s_barrier
	ds_write2_b32 v54, v68, v71 offset1:1
	ds_write2_b32 v54, v75, v69 offset0:2 offset1:3
	v_mov_b32_e32 v69, v26
	s_waitcnt lgkmcnt(0)
	s_barrier
	s_and_saveexec_b64 s[16:17], s[2:3]
	s_cbranch_execz .LBB27_38
; %bb.35:                               ;   in Loop: Header=BB27_2 Depth=1
	s_mov_b64 s[18:19], 0
	v_mov_b32_e32 v69, v26
	v_mov_b32_e32 v67, v27
.LBB27_36:                              ;   Parent Loop BB27_2 Depth=1
                                        ; =>  This Inner Loop Header: Depth=2
	v_sub_u32_e32 v68, v67, v69
	v_lshrrev_b32_e32 v68, 1, v68
	v_add_u32_e32 v68, v68, v69
	v_not_b32_e32 v71, v68
	v_lshl_add_u32 v70, v68, 2, v57
	v_lshl_add_u32 v71, v71, 2, v45
	ds_read_b32 v70, v70
	ds_read_b32 v71, v71
	v_add_u32_e32 v72, 1, v68
	s_waitcnt lgkmcnt(0)
	v_cmp_lt_i32_e64 s[14:15], v71, v70
	v_cndmask_b32_e64 v67, v67, v68, s[14:15]
	v_cndmask_b32_e64 v69, v72, v69, s[14:15]
	v_cmp_ge_i32_e64 s[14:15], v69, v67
	s_or_b64 s[18:19], s[14:15], s[18:19]
	s_andn2_b64 exec, exec, s[18:19]
	s_cbranch_execnz .LBB27_36
; %bb.37:                               ;   in Loop: Header=BB27_2 Depth=1
	s_or_b64 exec, exec, s[18:19]
.LBB27_38:                              ;   in Loop: Header=BB27_2 Depth=1
	s_or_b64 exec, exec, s[16:17]
	v_sub_u32_e32 v67, v44, v69
	v_lshl_add_u32 v72, v69, 2, v57
	v_lshlrev_b32_e32 v73, 2, v67
	ds_read_b32 v68, v72
	ds_read_b32 v70, v73
	v_add_u32_e32 v69, v69, v7
	v_cmp_le_i32_e64 s[16:17], v8, v69
	v_cmp_gt_i32_e64 s[14:15], v9, v67
                                        ; implicit-def: $vgpr71
	s_waitcnt lgkmcnt(0)
	v_cmp_lt_i32_e64 s[18:19], v70, v68
	s_or_b64 s[16:17], s[16:17], s[18:19]
	s_and_b64 s[14:15], s[14:15], s[16:17]
	s_xor_b64 s[16:17], s[14:15], -1
	s_and_saveexec_b64 s[18:19], s[16:17]
	s_xor_b64 s[16:17], exec, s[18:19]
; %bb.39:                               ;   in Loop: Header=BB27_2 Depth=1
	ds_read_b32 v71, v72 offset:4
                                        ; implicit-def: $vgpr73
; %bb.40:                               ;   in Loop: Header=BB27_2 Depth=1
	s_or_saveexec_b64 s[16:17], s[16:17]
	v_mov_b32_e32 v72, v70
	s_xor_b64 exec, exec, s[16:17]
	s_cbranch_execz .LBB27_42
; %bb.41:                               ;   in Loop: Header=BB27_2 Depth=1
	ds_read_b32 v72, v73 offset:4
	s_waitcnt lgkmcnt(1)
	v_mov_b32_e32 v71, v68
.LBB27_42:                              ;   in Loop: Header=BB27_2 Depth=1
	s_or_b64 exec, exec, s[16:17]
	v_add_u32_e32 v74, 1, v69
	v_add_u32_e32 v73, 1, v67
	v_cndmask_b32_e64 v74, v74, v69, s[14:15]
	v_cndmask_b32_e64 v73, v67, v73, s[14:15]
	v_cmp_ge_i32_e64 s[18:19], v74, v8
	s_waitcnt lgkmcnt(0)
	v_cmp_lt_i32_e64 s[20:21], v72, v71
	v_cmp_lt_i32_e64 s[16:17], v73, v9
	s_or_b64 s[18:19], s[18:19], s[20:21]
	s_and_b64 s[16:17], s[16:17], s[18:19]
	s_xor_b64 s[18:19], s[16:17], -1
                                        ; implicit-def: $vgpr75
	s_and_saveexec_b64 s[20:21], s[18:19]
	s_xor_b64 s[18:19], exec, s[20:21]
; %bb.43:                               ;   in Loop: Header=BB27_2 Depth=1
	v_lshlrev_b32_e32 v75, 2, v74
	ds_read_b32 v75, v75 offset:4
; %bb.44:                               ;   in Loop: Header=BB27_2 Depth=1
	s_or_saveexec_b64 s[18:19], s[18:19]
	v_mov_b32_e32 v76, v72
	s_xor_b64 exec, exec, s[18:19]
	s_cbranch_execz .LBB27_46
; %bb.45:                               ;   in Loop: Header=BB27_2 Depth=1
	s_waitcnt lgkmcnt(0)
	v_lshlrev_b32_e32 v75, 2, v73
	ds_read_b32 v76, v75 offset:4
	v_mov_b32_e32 v75, v71
.LBB27_46:                              ;   in Loop: Header=BB27_2 Depth=1
	s_or_b64 exec, exec, s[18:19]
	v_add_u32_e32 v78, 1, v74
	v_add_u32_e32 v77, 1, v73
	v_cndmask_b32_e64 v78, v78, v74, s[16:17]
	v_cndmask_b32_e64 v77, v73, v77, s[16:17]
	v_cmp_ge_i32_e64 s[20:21], v78, v8
	s_waitcnt lgkmcnt(0)
	v_cmp_lt_i32_e64 s[22:23], v76, v75
	v_cmp_lt_i32_e64 s[18:19], v77, v9
	s_or_b64 s[20:21], s[20:21], s[22:23]
	s_and_b64 s[18:19], s[18:19], s[20:21]
	s_xor_b64 s[20:21], s[18:19], -1
                                        ; implicit-def: $vgpr79
	s_and_saveexec_b64 s[22:23], s[20:21]
	s_xor_b64 s[20:21], exec, s[22:23]
; %bb.47:                               ;   in Loop: Header=BB27_2 Depth=1
	v_lshlrev_b32_e32 v79, 2, v78
	ds_read_b32 v79, v79 offset:4
; %bb.48:                               ;   in Loop: Header=BB27_2 Depth=1
	s_or_saveexec_b64 s[20:21], s[20:21]
	v_mov_b32_e32 v80, v76
	s_xor_b64 exec, exec, s[20:21]
	s_cbranch_execz .LBB27_50
; %bb.49:                               ;   in Loop: Header=BB27_2 Depth=1
	s_waitcnt lgkmcnt(0)
	v_lshlrev_b32_e32 v79, 2, v77
	ds_read_b32 v80, v79 offset:4
	v_mov_b32_e32 v79, v75
.LBB27_50:                              ;   in Loop: Header=BB27_2 Depth=1
	s_or_b64 exec, exec, s[20:21]
	v_add_u32_e32 v81, 1, v78
	v_cndmask_b32_e64 v75, v75, v76, s[18:19]
	v_add_u32_e32 v76, 1, v77
	v_cndmask_b32_e64 v81, v81, v78, s[18:19]
	v_cndmask_b32_e64 v76, v77, v76, s[18:19]
	;; [unrolled: 1-line block ×5, first 2 shown]
	v_cmp_ge_i32_e64 s[16:17], v81, v8
	s_waitcnt lgkmcnt(0)
	v_cmp_lt_i32_e64 s[18:19], v80, v79
	v_cndmask_b32_e64 v68, v68, v70, s[14:15]
	v_cndmask_b32_e64 v67, v69, v67, s[14:15]
	v_cmp_lt_i32_e64 s[14:15], v76, v9
	s_or_b64 s[16:17], s[16:17], s[18:19]
	s_and_b64 s[14:15], s[14:15], s[16:17]
	v_cndmask_b32_e64 v70, v81, v76, s[14:15]
	s_barrier
	ds_write2_b32 v54, v63, v64 offset1:1
	ds_write2_b32 v54, v65, v66 offset0:2 offset1:3
	v_lshlrev_b32_e32 v63, 2, v67
	v_lshlrev_b32_e32 v64, 2, v72
	;; [unrolled: 1-line block ×4, first 2 shown]
	s_waitcnt lgkmcnt(0)
	s_barrier
	ds_read_b32 v63, v63
	ds_read_b32 v64, v64
	;; [unrolled: 1-line block ×4, first 2 shown]
	v_cndmask_b32_e64 v69, v79, v80, s[14:15]
	s_waitcnt lgkmcnt(0)
	s_barrier
	ds_write2_b32 v54, v68, v71 offset1:1
	ds_write2_b32 v54, v75, v69 offset0:2 offset1:3
	v_mov_b32_e32 v69, v28
	s_waitcnt lgkmcnt(0)
	s_barrier
	s_and_saveexec_b64 s[16:17], s[4:5]
	s_cbranch_execz .LBB27_54
; %bb.51:                               ;   in Loop: Header=BB27_2 Depth=1
	s_mov_b64 s[18:19], 0
	v_mov_b32_e32 v69, v28
	v_mov_b32_e32 v67, v29
.LBB27_52:                              ;   Parent Loop BB27_2 Depth=1
                                        ; =>  This Inner Loop Header: Depth=2
	v_sub_u32_e32 v68, v67, v69
	v_lshrrev_b32_e32 v68, 1, v68
	v_add_u32_e32 v68, v68, v69
	v_not_b32_e32 v71, v68
	v_lshl_add_u32 v70, v68, 2, v58
	v_lshl_add_u32 v71, v71, 2, v47
	ds_read_b32 v70, v70
	ds_read_b32 v71, v71
	v_add_u32_e32 v72, 1, v68
	s_waitcnt lgkmcnt(0)
	v_cmp_lt_i32_e64 s[14:15], v71, v70
	v_cndmask_b32_e64 v67, v67, v68, s[14:15]
	v_cndmask_b32_e64 v69, v72, v69, s[14:15]
	v_cmp_ge_i32_e64 s[14:15], v69, v67
	s_or_b64 s[18:19], s[14:15], s[18:19]
	s_andn2_b64 exec, exec, s[18:19]
	s_cbranch_execnz .LBB27_52
; %bb.53:                               ;   in Loop: Header=BB27_2 Depth=1
	s_or_b64 exec, exec, s[18:19]
.LBB27_54:                              ;   in Loop: Header=BB27_2 Depth=1
	s_or_b64 exec, exec, s[16:17]
	v_sub_u32_e32 v67, v46, v69
	v_lshl_add_u32 v72, v69, 2, v58
	v_lshlrev_b32_e32 v73, 2, v67
	ds_read_b32 v68, v72
	ds_read_b32 v70, v73
	v_add_u32_e32 v69, v69, v10
	v_cmp_le_i32_e64 s[16:17], v11, v69
	v_cmp_gt_i32_e64 s[14:15], v12, v67
                                        ; implicit-def: $vgpr71
	s_waitcnt lgkmcnt(0)
	v_cmp_lt_i32_e64 s[18:19], v70, v68
	s_or_b64 s[16:17], s[16:17], s[18:19]
	s_and_b64 s[14:15], s[14:15], s[16:17]
	s_xor_b64 s[16:17], s[14:15], -1
	s_and_saveexec_b64 s[18:19], s[16:17]
	s_xor_b64 s[16:17], exec, s[18:19]
; %bb.55:                               ;   in Loop: Header=BB27_2 Depth=1
	ds_read_b32 v71, v72 offset:4
                                        ; implicit-def: $vgpr73
; %bb.56:                               ;   in Loop: Header=BB27_2 Depth=1
	s_or_saveexec_b64 s[16:17], s[16:17]
	v_mov_b32_e32 v72, v70
	s_xor_b64 exec, exec, s[16:17]
	s_cbranch_execz .LBB27_58
; %bb.57:                               ;   in Loop: Header=BB27_2 Depth=1
	ds_read_b32 v72, v73 offset:4
	s_waitcnt lgkmcnt(1)
	v_mov_b32_e32 v71, v68
.LBB27_58:                              ;   in Loop: Header=BB27_2 Depth=1
	s_or_b64 exec, exec, s[16:17]
	v_add_u32_e32 v74, 1, v69
	v_add_u32_e32 v73, 1, v67
	v_cndmask_b32_e64 v74, v74, v69, s[14:15]
	v_cndmask_b32_e64 v73, v67, v73, s[14:15]
	v_cmp_ge_i32_e64 s[18:19], v74, v11
	s_waitcnt lgkmcnt(0)
	v_cmp_lt_i32_e64 s[20:21], v72, v71
	v_cmp_lt_i32_e64 s[16:17], v73, v12
	s_or_b64 s[18:19], s[18:19], s[20:21]
	s_and_b64 s[16:17], s[16:17], s[18:19]
	s_xor_b64 s[18:19], s[16:17], -1
                                        ; implicit-def: $vgpr75
	s_and_saveexec_b64 s[20:21], s[18:19]
	s_xor_b64 s[18:19], exec, s[20:21]
; %bb.59:                               ;   in Loop: Header=BB27_2 Depth=1
	v_lshlrev_b32_e32 v75, 2, v74
	ds_read_b32 v75, v75 offset:4
; %bb.60:                               ;   in Loop: Header=BB27_2 Depth=1
	s_or_saveexec_b64 s[18:19], s[18:19]
	v_mov_b32_e32 v76, v72
	s_xor_b64 exec, exec, s[18:19]
	s_cbranch_execz .LBB27_62
; %bb.61:                               ;   in Loop: Header=BB27_2 Depth=1
	s_waitcnt lgkmcnt(0)
	v_lshlrev_b32_e32 v75, 2, v73
	ds_read_b32 v76, v75 offset:4
	v_mov_b32_e32 v75, v71
.LBB27_62:                              ;   in Loop: Header=BB27_2 Depth=1
	s_or_b64 exec, exec, s[18:19]
	v_add_u32_e32 v78, 1, v74
	v_add_u32_e32 v77, 1, v73
	v_cndmask_b32_e64 v78, v78, v74, s[16:17]
	v_cndmask_b32_e64 v77, v73, v77, s[16:17]
	v_cmp_ge_i32_e64 s[20:21], v78, v11
	s_waitcnt lgkmcnt(0)
	v_cmp_lt_i32_e64 s[22:23], v76, v75
	v_cmp_lt_i32_e64 s[18:19], v77, v12
	s_or_b64 s[20:21], s[20:21], s[22:23]
	s_and_b64 s[18:19], s[18:19], s[20:21]
	s_xor_b64 s[20:21], s[18:19], -1
                                        ; implicit-def: $vgpr79
	s_and_saveexec_b64 s[22:23], s[20:21]
	s_xor_b64 s[20:21], exec, s[22:23]
; %bb.63:                               ;   in Loop: Header=BB27_2 Depth=1
	v_lshlrev_b32_e32 v79, 2, v78
	ds_read_b32 v79, v79 offset:4
; %bb.64:                               ;   in Loop: Header=BB27_2 Depth=1
	s_or_saveexec_b64 s[20:21], s[20:21]
	v_mov_b32_e32 v80, v76
	s_xor_b64 exec, exec, s[20:21]
	s_cbranch_execz .LBB27_66
; %bb.65:                               ;   in Loop: Header=BB27_2 Depth=1
	s_waitcnt lgkmcnt(0)
	v_lshlrev_b32_e32 v79, 2, v77
	ds_read_b32 v80, v79 offset:4
	v_mov_b32_e32 v79, v75
.LBB27_66:                              ;   in Loop: Header=BB27_2 Depth=1
	s_or_b64 exec, exec, s[20:21]
	v_add_u32_e32 v81, 1, v78
	v_cndmask_b32_e64 v75, v75, v76, s[18:19]
	v_add_u32_e32 v76, 1, v77
	v_cndmask_b32_e64 v81, v81, v78, s[18:19]
	v_cndmask_b32_e64 v76, v77, v76, s[18:19]
	;; [unrolled: 1-line block ×5, first 2 shown]
	v_cmp_ge_i32_e64 s[16:17], v81, v11
	s_waitcnt lgkmcnt(0)
	v_cmp_lt_i32_e64 s[18:19], v80, v79
	v_cndmask_b32_e64 v68, v68, v70, s[14:15]
	v_cndmask_b32_e64 v67, v69, v67, s[14:15]
	v_cmp_lt_i32_e64 s[14:15], v76, v12
	s_or_b64 s[16:17], s[16:17], s[18:19]
	s_and_b64 s[14:15], s[14:15], s[16:17]
	v_cndmask_b32_e64 v70, v81, v76, s[14:15]
	s_barrier
	ds_write2_b32 v54, v63, v64 offset1:1
	ds_write2_b32 v54, v65, v66 offset0:2 offset1:3
	v_lshlrev_b32_e32 v63, 2, v67
	v_lshlrev_b32_e32 v64, 2, v72
	;; [unrolled: 1-line block ×4, first 2 shown]
	s_waitcnt lgkmcnt(0)
	s_barrier
	ds_read_b32 v63, v63
	ds_read_b32 v64, v64
	;; [unrolled: 1-line block ×4, first 2 shown]
	v_cndmask_b32_e64 v69, v79, v80, s[14:15]
	s_waitcnt lgkmcnt(0)
	s_barrier
	ds_write2_b32 v54, v68, v71 offset1:1
	ds_write2_b32 v54, v75, v69 offset0:2 offset1:3
	v_mov_b32_e32 v69, v30
	s_waitcnt lgkmcnt(0)
	s_barrier
	s_and_saveexec_b64 s[16:17], s[6:7]
	s_cbranch_execz .LBB27_70
; %bb.67:                               ;   in Loop: Header=BB27_2 Depth=1
	s_mov_b64 s[18:19], 0
	v_mov_b32_e32 v69, v30
	v_mov_b32_e32 v67, v31
.LBB27_68:                              ;   Parent Loop BB27_2 Depth=1
                                        ; =>  This Inner Loop Header: Depth=2
	v_sub_u32_e32 v68, v67, v69
	v_lshrrev_b32_e32 v68, 1, v68
	v_add_u32_e32 v68, v68, v69
	v_not_b32_e32 v71, v68
	v_lshl_add_u32 v70, v68, 2, v59
	v_lshl_add_u32 v71, v71, 2, v49
	ds_read_b32 v70, v70
	ds_read_b32 v71, v71
	v_add_u32_e32 v72, 1, v68
	s_waitcnt lgkmcnt(0)
	v_cmp_lt_i32_e64 s[14:15], v71, v70
	v_cndmask_b32_e64 v67, v67, v68, s[14:15]
	v_cndmask_b32_e64 v69, v72, v69, s[14:15]
	v_cmp_ge_i32_e64 s[14:15], v69, v67
	s_or_b64 s[18:19], s[14:15], s[18:19]
	s_andn2_b64 exec, exec, s[18:19]
	s_cbranch_execnz .LBB27_68
; %bb.69:                               ;   in Loop: Header=BB27_2 Depth=1
	s_or_b64 exec, exec, s[18:19]
.LBB27_70:                              ;   in Loop: Header=BB27_2 Depth=1
	s_or_b64 exec, exec, s[16:17]
	v_sub_u32_e32 v67, v48, v69
	v_lshl_add_u32 v72, v69, 2, v59
	v_lshlrev_b32_e32 v73, 2, v67
	ds_read_b32 v68, v72
	ds_read_b32 v70, v73
	v_add_u32_e32 v69, v69, v13
	v_cmp_le_i32_e64 s[16:17], v14, v69
	v_cmp_gt_i32_e64 s[14:15], v15, v67
                                        ; implicit-def: $vgpr71
	s_waitcnt lgkmcnt(0)
	v_cmp_lt_i32_e64 s[18:19], v70, v68
	s_or_b64 s[16:17], s[16:17], s[18:19]
	s_and_b64 s[14:15], s[14:15], s[16:17]
	s_xor_b64 s[16:17], s[14:15], -1
	s_and_saveexec_b64 s[18:19], s[16:17]
	s_xor_b64 s[16:17], exec, s[18:19]
; %bb.71:                               ;   in Loop: Header=BB27_2 Depth=1
	ds_read_b32 v71, v72 offset:4
                                        ; implicit-def: $vgpr73
; %bb.72:                               ;   in Loop: Header=BB27_2 Depth=1
	s_or_saveexec_b64 s[16:17], s[16:17]
	v_mov_b32_e32 v72, v70
	s_xor_b64 exec, exec, s[16:17]
	s_cbranch_execz .LBB27_74
; %bb.73:                               ;   in Loop: Header=BB27_2 Depth=1
	ds_read_b32 v72, v73 offset:4
	s_waitcnt lgkmcnt(1)
	v_mov_b32_e32 v71, v68
.LBB27_74:                              ;   in Loop: Header=BB27_2 Depth=1
	s_or_b64 exec, exec, s[16:17]
	v_add_u32_e32 v74, 1, v69
	v_add_u32_e32 v73, 1, v67
	v_cndmask_b32_e64 v74, v74, v69, s[14:15]
	v_cndmask_b32_e64 v73, v67, v73, s[14:15]
	v_cmp_ge_i32_e64 s[18:19], v74, v14
	s_waitcnt lgkmcnt(0)
	v_cmp_lt_i32_e64 s[20:21], v72, v71
	v_cmp_lt_i32_e64 s[16:17], v73, v15
	s_or_b64 s[18:19], s[18:19], s[20:21]
	s_and_b64 s[16:17], s[16:17], s[18:19]
	s_xor_b64 s[18:19], s[16:17], -1
                                        ; implicit-def: $vgpr75
	s_and_saveexec_b64 s[20:21], s[18:19]
	s_xor_b64 s[18:19], exec, s[20:21]
; %bb.75:                               ;   in Loop: Header=BB27_2 Depth=1
	v_lshlrev_b32_e32 v75, 2, v74
	ds_read_b32 v75, v75 offset:4
; %bb.76:                               ;   in Loop: Header=BB27_2 Depth=1
	s_or_saveexec_b64 s[18:19], s[18:19]
	v_mov_b32_e32 v76, v72
	s_xor_b64 exec, exec, s[18:19]
	s_cbranch_execz .LBB27_78
; %bb.77:                               ;   in Loop: Header=BB27_2 Depth=1
	s_waitcnt lgkmcnt(0)
	v_lshlrev_b32_e32 v75, 2, v73
	ds_read_b32 v76, v75 offset:4
	v_mov_b32_e32 v75, v71
.LBB27_78:                              ;   in Loop: Header=BB27_2 Depth=1
	s_or_b64 exec, exec, s[18:19]
	v_add_u32_e32 v78, 1, v74
	v_add_u32_e32 v77, 1, v73
	v_cndmask_b32_e64 v78, v78, v74, s[16:17]
	v_cndmask_b32_e64 v77, v73, v77, s[16:17]
	v_cmp_ge_i32_e64 s[20:21], v78, v14
	s_waitcnt lgkmcnt(0)
	v_cmp_lt_i32_e64 s[22:23], v76, v75
	v_cmp_lt_i32_e64 s[18:19], v77, v15
	s_or_b64 s[20:21], s[20:21], s[22:23]
	s_and_b64 s[18:19], s[18:19], s[20:21]
	s_xor_b64 s[20:21], s[18:19], -1
                                        ; implicit-def: $vgpr79
	s_and_saveexec_b64 s[22:23], s[20:21]
	s_xor_b64 s[20:21], exec, s[22:23]
; %bb.79:                               ;   in Loop: Header=BB27_2 Depth=1
	v_lshlrev_b32_e32 v79, 2, v78
	ds_read_b32 v79, v79 offset:4
; %bb.80:                               ;   in Loop: Header=BB27_2 Depth=1
	s_or_saveexec_b64 s[20:21], s[20:21]
	v_mov_b32_e32 v80, v76
	s_xor_b64 exec, exec, s[20:21]
	s_cbranch_execz .LBB27_82
; %bb.81:                               ;   in Loop: Header=BB27_2 Depth=1
	s_waitcnt lgkmcnt(0)
	v_lshlrev_b32_e32 v79, 2, v77
	ds_read_b32 v80, v79 offset:4
	v_mov_b32_e32 v79, v75
.LBB27_82:                              ;   in Loop: Header=BB27_2 Depth=1
	s_or_b64 exec, exec, s[20:21]
	v_add_u32_e32 v81, 1, v78
	v_cndmask_b32_e64 v75, v75, v76, s[18:19]
	v_add_u32_e32 v76, 1, v77
	v_cndmask_b32_e64 v81, v81, v78, s[18:19]
	v_cndmask_b32_e64 v76, v77, v76, s[18:19]
	;; [unrolled: 1-line block ×5, first 2 shown]
	v_cmp_ge_i32_e64 s[16:17], v81, v14
	s_waitcnt lgkmcnt(0)
	v_cmp_lt_i32_e64 s[18:19], v80, v79
	v_cndmask_b32_e64 v68, v68, v70, s[14:15]
	v_cndmask_b32_e64 v67, v69, v67, s[14:15]
	v_cmp_lt_i32_e64 s[14:15], v76, v15
	s_or_b64 s[16:17], s[16:17], s[18:19]
	s_and_b64 s[14:15], s[14:15], s[16:17]
	v_cndmask_b32_e64 v70, v81, v76, s[14:15]
	s_barrier
	ds_write2_b32 v54, v63, v64 offset1:1
	ds_write2_b32 v54, v65, v66 offset0:2 offset1:3
	v_lshlrev_b32_e32 v63, 2, v67
	v_lshlrev_b32_e32 v64, 2, v72
	;; [unrolled: 1-line block ×4, first 2 shown]
	s_waitcnt lgkmcnt(0)
	s_barrier
	ds_read_b32 v63, v63
	ds_read_b32 v64, v64
	;; [unrolled: 1-line block ×4, first 2 shown]
	v_cndmask_b32_e64 v69, v79, v80, s[14:15]
	s_waitcnt lgkmcnt(0)
	s_barrier
	ds_write2_b32 v54, v68, v71 offset1:1
	ds_write2_b32 v54, v75, v69 offset0:2 offset1:3
	v_mov_b32_e32 v69, v32
	s_waitcnt lgkmcnt(0)
	s_barrier
	s_and_saveexec_b64 s[16:17], s[8:9]
	s_cbranch_execz .LBB27_86
; %bb.83:                               ;   in Loop: Header=BB27_2 Depth=1
	s_mov_b64 s[18:19], 0
	v_mov_b32_e32 v69, v32
	v_mov_b32_e32 v67, v33
.LBB27_84:                              ;   Parent Loop BB27_2 Depth=1
                                        ; =>  This Inner Loop Header: Depth=2
	v_sub_u32_e32 v68, v67, v69
	v_lshrrev_b32_e32 v68, 1, v68
	v_add_u32_e32 v68, v68, v69
	v_not_b32_e32 v71, v68
	v_lshl_add_u32 v70, v68, 2, v60
	v_lshl_add_u32 v71, v71, 2, v51
	ds_read_b32 v70, v70
	ds_read_b32 v71, v71
	v_add_u32_e32 v72, 1, v68
	s_waitcnt lgkmcnt(0)
	v_cmp_lt_i32_e64 s[14:15], v71, v70
	v_cndmask_b32_e64 v67, v67, v68, s[14:15]
	v_cndmask_b32_e64 v69, v72, v69, s[14:15]
	v_cmp_ge_i32_e64 s[14:15], v69, v67
	s_or_b64 s[18:19], s[14:15], s[18:19]
	s_andn2_b64 exec, exec, s[18:19]
	s_cbranch_execnz .LBB27_84
; %bb.85:                               ;   in Loop: Header=BB27_2 Depth=1
	s_or_b64 exec, exec, s[18:19]
.LBB27_86:                              ;   in Loop: Header=BB27_2 Depth=1
	s_or_b64 exec, exec, s[16:17]
	v_sub_u32_e32 v67, v50, v69
	v_lshl_add_u32 v72, v69, 2, v60
	v_lshlrev_b32_e32 v73, 2, v67
	ds_read_b32 v68, v72
	ds_read_b32 v70, v73
	v_add_u32_e32 v69, v69, v16
	v_cmp_le_i32_e64 s[16:17], v17, v69
	v_cmp_gt_i32_e64 s[14:15], v18, v67
                                        ; implicit-def: $vgpr71
	s_waitcnt lgkmcnt(0)
	v_cmp_lt_i32_e64 s[18:19], v70, v68
	s_or_b64 s[16:17], s[16:17], s[18:19]
	s_and_b64 s[14:15], s[14:15], s[16:17]
	s_xor_b64 s[16:17], s[14:15], -1
	s_and_saveexec_b64 s[18:19], s[16:17]
	s_xor_b64 s[16:17], exec, s[18:19]
; %bb.87:                               ;   in Loop: Header=BB27_2 Depth=1
	ds_read_b32 v71, v72 offset:4
                                        ; implicit-def: $vgpr73
; %bb.88:                               ;   in Loop: Header=BB27_2 Depth=1
	s_or_saveexec_b64 s[16:17], s[16:17]
	v_mov_b32_e32 v72, v70
	s_xor_b64 exec, exec, s[16:17]
	s_cbranch_execz .LBB27_90
; %bb.89:                               ;   in Loop: Header=BB27_2 Depth=1
	ds_read_b32 v72, v73 offset:4
	s_waitcnt lgkmcnt(1)
	v_mov_b32_e32 v71, v68
.LBB27_90:                              ;   in Loop: Header=BB27_2 Depth=1
	s_or_b64 exec, exec, s[16:17]
	v_add_u32_e32 v74, 1, v69
	v_add_u32_e32 v73, 1, v67
	v_cndmask_b32_e64 v74, v74, v69, s[14:15]
	v_cndmask_b32_e64 v73, v67, v73, s[14:15]
	v_cmp_ge_i32_e64 s[18:19], v74, v17
	s_waitcnt lgkmcnt(0)
	v_cmp_lt_i32_e64 s[20:21], v72, v71
	v_cmp_lt_i32_e64 s[16:17], v73, v18
	s_or_b64 s[18:19], s[18:19], s[20:21]
	s_and_b64 s[16:17], s[16:17], s[18:19]
	s_xor_b64 s[18:19], s[16:17], -1
                                        ; implicit-def: $vgpr75
	s_and_saveexec_b64 s[20:21], s[18:19]
	s_xor_b64 s[18:19], exec, s[20:21]
; %bb.91:                               ;   in Loop: Header=BB27_2 Depth=1
	v_lshlrev_b32_e32 v75, 2, v74
	ds_read_b32 v75, v75 offset:4
; %bb.92:                               ;   in Loop: Header=BB27_2 Depth=1
	s_or_saveexec_b64 s[18:19], s[18:19]
	v_mov_b32_e32 v76, v72
	s_xor_b64 exec, exec, s[18:19]
	s_cbranch_execz .LBB27_94
; %bb.93:                               ;   in Loop: Header=BB27_2 Depth=1
	s_waitcnt lgkmcnt(0)
	v_lshlrev_b32_e32 v75, 2, v73
	ds_read_b32 v76, v75 offset:4
	v_mov_b32_e32 v75, v71
.LBB27_94:                              ;   in Loop: Header=BB27_2 Depth=1
	s_or_b64 exec, exec, s[18:19]
	v_add_u32_e32 v78, 1, v74
	v_add_u32_e32 v77, 1, v73
	v_cndmask_b32_e64 v78, v78, v74, s[16:17]
	v_cndmask_b32_e64 v77, v73, v77, s[16:17]
	v_cmp_ge_i32_e64 s[20:21], v78, v17
	s_waitcnt lgkmcnt(0)
	v_cmp_lt_i32_e64 s[22:23], v76, v75
	v_cmp_lt_i32_e64 s[18:19], v77, v18
	s_or_b64 s[20:21], s[20:21], s[22:23]
	s_and_b64 s[18:19], s[18:19], s[20:21]
	s_xor_b64 s[20:21], s[18:19], -1
                                        ; implicit-def: $vgpr79
	s_and_saveexec_b64 s[22:23], s[20:21]
	s_xor_b64 s[20:21], exec, s[22:23]
; %bb.95:                               ;   in Loop: Header=BB27_2 Depth=1
	v_lshlrev_b32_e32 v79, 2, v78
	ds_read_b32 v79, v79 offset:4
; %bb.96:                               ;   in Loop: Header=BB27_2 Depth=1
	s_or_saveexec_b64 s[20:21], s[20:21]
	v_mov_b32_e32 v80, v76
	s_xor_b64 exec, exec, s[20:21]
	s_cbranch_execz .LBB27_98
; %bb.97:                               ;   in Loop: Header=BB27_2 Depth=1
	s_waitcnt lgkmcnt(0)
	v_lshlrev_b32_e32 v79, 2, v77
	ds_read_b32 v80, v79 offset:4
	v_mov_b32_e32 v79, v75
.LBB27_98:                              ;   in Loop: Header=BB27_2 Depth=1
	s_or_b64 exec, exec, s[20:21]
	v_add_u32_e32 v81, 1, v78
	v_cndmask_b32_e64 v75, v75, v76, s[18:19]
	v_add_u32_e32 v76, 1, v77
	v_cndmask_b32_e64 v81, v81, v78, s[18:19]
	v_cndmask_b32_e64 v76, v77, v76, s[18:19]
	;; [unrolled: 1-line block ×5, first 2 shown]
	v_cmp_ge_i32_e64 s[16:17], v81, v17
	s_waitcnt lgkmcnt(0)
	v_cmp_lt_i32_e64 s[18:19], v80, v79
	v_cndmask_b32_e64 v68, v68, v70, s[14:15]
	v_cndmask_b32_e64 v67, v69, v67, s[14:15]
	v_cmp_lt_i32_e64 s[14:15], v76, v18
	s_or_b64 s[16:17], s[16:17], s[18:19]
	s_and_b64 s[14:15], s[14:15], s[16:17]
	v_cndmask_b32_e64 v70, v81, v76, s[14:15]
	s_barrier
	ds_write2_b32 v54, v63, v64 offset1:1
	ds_write2_b32 v54, v65, v66 offset0:2 offset1:3
	v_lshlrev_b32_e32 v63, 2, v67
	v_lshlrev_b32_e32 v64, 2, v72
	;; [unrolled: 1-line block ×4, first 2 shown]
	s_waitcnt lgkmcnt(0)
	s_barrier
	ds_read_b32 v63, v63
	ds_read_b32 v64, v64
	;; [unrolled: 1-line block ×4, first 2 shown]
	v_cndmask_b32_e64 v69, v79, v80, s[14:15]
	s_waitcnt lgkmcnt(0)
	s_barrier
	ds_write2_b32 v54, v68, v71 offset1:1
	ds_write2_b32 v54, v75, v69 offset0:2 offset1:3
	v_mov_b32_e32 v69, v34
	s_waitcnt lgkmcnt(0)
	s_barrier
	s_and_saveexec_b64 s[16:17], s[10:11]
	s_cbranch_execz .LBB27_102
; %bb.99:                               ;   in Loop: Header=BB27_2 Depth=1
	s_mov_b64 s[18:19], 0
	v_mov_b32_e32 v69, v34
	v_mov_b32_e32 v67, v35
.LBB27_100:                             ;   Parent Loop BB27_2 Depth=1
                                        ; =>  This Inner Loop Header: Depth=2
	v_sub_u32_e32 v68, v67, v69
	v_lshrrev_b32_e32 v68, 1, v68
	v_add_u32_e32 v68, v68, v69
	v_not_b32_e32 v71, v68
	v_lshl_add_u32 v70, v68, 2, v61
	v_lshl_add_u32 v71, v71, 2, v53
	ds_read_b32 v70, v70
	ds_read_b32 v71, v71
	v_add_u32_e32 v72, 1, v68
	s_waitcnt lgkmcnt(0)
	v_cmp_lt_i32_e64 s[14:15], v71, v70
	v_cndmask_b32_e64 v67, v67, v68, s[14:15]
	v_cndmask_b32_e64 v69, v72, v69, s[14:15]
	v_cmp_ge_i32_e64 s[14:15], v69, v67
	s_or_b64 s[18:19], s[14:15], s[18:19]
	s_andn2_b64 exec, exec, s[18:19]
	s_cbranch_execnz .LBB27_100
; %bb.101:                              ;   in Loop: Header=BB27_2 Depth=1
	s_or_b64 exec, exec, s[18:19]
.LBB27_102:                             ;   in Loop: Header=BB27_2 Depth=1
	s_or_b64 exec, exec, s[16:17]
	v_sub_u32_e32 v67, v52, v69
	v_lshl_add_u32 v72, v69, 2, v61
	v_lshlrev_b32_e32 v73, 2, v67
	ds_read_b32 v68, v72
	ds_read_b32 v70, v73
	v_add_u32_e32 v69, v69, v19
	v_cmp_le_i32_e64 s[16:17], v20, v69
	v_cmp_gt_i32_e64 s[14:15], v21, v67
                                        ; implicit-def: $vgpr71
	s_waitcnt lgkmcnt(0)
	v_cmp_lt_i32_e64 s[18:19], v70, v68
	s_or_b64 s[16:17], s[16:17], s[18:19]
	s_and_b64 s[14:15], s[14:15], s[16:17]
	s_xor_b64 s[16:17], s[14:15], -1
	s_and_saveexec_b64 s[18:19], s[16:17]
	s_xor_b64 s[16:17], exec, s[18:19]
; %bb.103:                              ;   in Loop: Header=BB27_2 Depth=1
	ds_read_b32 v71, v72 offset:4
                                        ; implicit-def: $vgpr73
; %bb.104:                              ;   in Loop: Header=BB27_2 Depth=1
	s_or_saveexec_b64 s[16:17], s[16:17]
	v_mov_b32_e32 v72, v70
	s_xor_b64 exec, exec, s[16:17]
	s_cbranch_execz .LBB27_106
; %bb.105:                              ;   in Loop: Header=BB27_2 Depth=1
	ds_read_b32 v72, v73 offset:4
	s_waitcnt lgkmcnt(1)
	v_mov_b32_e32 v71, v68
.LBB27_106:                             ;   in Loop: Header=BB27_2 Depth=1
	s_or_b64 exec, exec, s[16:17]
	v_add_u32_e32 v74, 1, v69
	v_add_u32_e32 v73, 1, v67
	v_cndmask_b32_e64 v74, v74, v69, s[14:15]
	v_cndmask_b32_e64 v73, v67, v73, s[14:15]
	v_cmp_ge_i32_e64 s[18:19], v74, v20
	s_waitcnt lgkmcnt(0)
	v_cmp_lt_i32_e64 s[20:21], v72, v71
	v_cmp_lt_i32_e64 s[16:17], v73, v21
	s_or_b64 s[18:19], s[18:19], s[20:21]
	s_and_b64 s[16:17], s[16:17], s[18:19]
	s_xor_b64 s[18:19], s[16:17], -1
                                        ; implicit-def: $vgpr75
	s_and_saveexec_b64 s[20:21], s[18:19]
	s_xor_b64 s[18:19], exec, s[20:21]
; %bb.107:                              ;   in Loop: Header=BB27_2 Depth=1
	v_lshlrev_b32_e32 v75, 2, v74
	ds_read_b32 v75, v75 offset:4
; %bb.108:                              ;   in Loop: Header=BB27_2 Depth=1
	s_or_saveexec_b64 s[18:19], s[18:19]
	v_mov_b32_e32 v76, v72
	s_xor_b64 exec, exec, s[18:19]
	s_cbranch_execz .LBB27_110
; %bb.109:                              ;   in Loop: Header=BB27_2 Depth=1
	s_waitcnt lgkmcnt(0)
	v_lshlrev_b32_e32 v75, 2, v73
	ds_read_b32 v76, v75 offset:4
	v_mov_b32_e32 v75, v71
.LBB27_110:                             ;   in Loop: Header=BB27_2 Depth=1
	s_or_b64 exec, exec, s[18:19]
	v_add_u32_e32 v78, 1, v74
	v_add_u32_e32 v77, 1, v73
	v_cndmask_b32_e64 v78, v78, v74, s[16:17]
	v_cndmask_b32_e64 v77, v73, v77, s[16:17]
	v_cmp_ge_i32_e64 s[20:21], v78, v20
	s_waitcnt lgkmcnt(0)
	v_cmp_lt_i32_e64 s[22:23], v76, v75
	v_cmp_lt_i32_e64 s[18:19], v77, v21
	s_or_b64 s[20:21], s[20:21], s[22:23]
	s_and_b64 s[18:19], s[18:19], s[20:21]
	s_xor_b64 s[20:21], s[18:19], -1
                                        ; implicit-def: $vgpr79
	s_and_saveexec_b64 s[22:23], s[20:21]
	s_xor_b64 s[20:21], exec, s[22:23]
; %bb.111:                              ;   in Loop: Header=BB27_2 Depth=1
	v_lshlrev_b32_e32 v79, 2, v78
	ds_read_b32 v79, v79 offset:4
; %bb.112:                              ;   in Loop: Header=BB27_2 Depth=1
	s_or_saveexec_b64 s[20:21], s[20:21]
	v_mov_b32_e32 v80, v76
	s_xor_b64 exec, exec, s[20:21]
	s_cbranch_execz .LBB27_114
; %bb.113:                              ;   in Loop: Header=BB27_2 Depth=1
	s_waitcnt lgkmcnt(0)
	v_lshlrev_b32_e32 v79, 2, v77
	ds_read_b32 v80, v79 offset:4
	v_mov_b32_e32 v79, v75
.LBB27_114:                             ;   in Loop: Header=BB27_2 Depth=1
	s_or_b64 exec, exec, s[20:21]
	v_add_u32_e32 v81, 1, v78
	v_cndmask_b32_e64 v75, v75, v76, s[18:19]
	v_add_u32_e32 v76, 1, v77
	v_cndmask_b32_e64 v81, v81, v78, s[18:19]
	v_cndmask_b32_e64 v76, v77, v76, s[18:19]
	;; [unrolled: 1-line block ×5, first 2 shown]
	v_cmp_ge_i32_e64 s[16:17], v81, v20
	s_waitcnt lgkmcnt(0)
	v_cmp_lt_i32_e64 s[18:19], v80, v79
	v_cndmask_b32_e64 v68, v68, v70, s[14:15]
	v_cndmask_b32_e64 v67, v69, v67, s[14:15]
	v_cmp_lt_i32_e64 s[14:15], v76, v21
	s_or_b64 s[16:17], s[16:17], s[18:19]
	s_and_b64 s[14:15], s[14:15], s[16:17]
	v_cndmask_b32_e64 v70, v81, v76, s[14:15]
	s_barrier
	ds_write2_b32 v54, v63, v64 offset1:1
	ds_write2_b32 v54, v65, v66 offset0:2 offset1:3
	v_lshlrev_b32_e32 v63, 2, v67
	v_lshlrev_b32_e32 v64, 2, v72
	;; [unrolled: 1-line block ×4, first 2 shown]
	s_waitcnt lgkmcnt(0)
	s_barrier
	ds_read_b32 v63, v63
	ds_read_b32 v64, v64
	ds_read_b32 v65, v65
	ds_read_b32 v66, v66
	v_mov_b32_e32 v67, v37
	v_cndmask_b32_e64 v69, v79, v80, s[14:15]
	s_waitcnt lgkmcnt(0)
	s_barrier
	ds_write2_b32 v54, v68, v71 offset1:1
	ds_write2_b32 v54, v75, v69 offset0:2 offset1:3
	s_waitcnt lgkmcnt(0)
	s_barrier
	s_and_saveexec_b64 s[16:17], s[12:13]
	s_cbranch_execz .LBB27_118
; %bb.115:                              ;   in Loop: Header=BB27_2 Depth=1
	s_mov_b64 s[18:19], 0
	v_mov_b32_e32 v67, v37
	v_mov_b32_e32 v68, v38
.LBB27_116:                             ;   Parent Loop BB27_2 Depth=1
                                        ; =>  This Inner Loop Header: Depth=2
	v_sub_u32_e32 v69, v68, v67
	v_lshrrev_b32_e32 v69, 1, v69
	v_add_u32_e32 v69, v69, v67
	v_not_b32_e32 v71, v69
	v_lshlrev_b32_e32 v70, 2, v69
	v_lshl_add_u32 v71, v71, 2, v62
	ds_read_b32 v70, v70
	ds_read_b32 v71, v71
	v_add_u32_e32 v72, 1, v69
	s_waitcnt lgkmcnt(0)
	v_cmp_lt_i32_e64 s[14:15], v71, v70
	v_cndmask_b32_e64 v68, v68, v69, s[14:15]
	v_cndmask_b32_e64 v67, v72, v67, s[14:15]
	v_cmp_ge_i32_e64 s[14:15], v67, v68
	s_or_b64 s[18:19], s[14:15], s[18:19]
	s_andn2_b64 exec, exec, s[18:19]
	s_cbranch_execnz .LBB27_116
; %bb.117:                              ;   in Loop: Header=BB27_2 Depth=1
	s_or_b64 exec, exec, s[18:19]
.LBB27_118:                             ;   in Loop: Header=BB27_2 Depth=1
	s_or_b64 exec, exec, s[16:17]
	v_sub_u32_e32 v70, v39, v67
	v_lshlrev_b32_e32 v71, 2, v67
	v_lshlrev_b32_e32 v73, 2, v70
	ds_read_b32 v68, v71
	ds_read_b32 v72, v73
	v_cmp_le_i32_e64 s[16:17], v36, v67
	v_cmp_gt_i32_e64 s[14:15], s33, v70
                                        ; implicit-def: $vgpr69
	s_waitcnt lgkmcnt(0)
	v_cmp_lt_i32_e64 s[18:19], v72, v68
	s_or_b64 s[16:17], s[16:17], s[18:19]
	s_and_b64 s[14:15], s[14:15], s[16:17]
	s_xor_b64 s[16:17], s[14:15], -1
	s_and_saveexec_b64 s[18:19], s[16:17]
	s_xor_b64 s[16:17], exec, s[18:19]
; %bb.119:                              ;   in Loop: Header=BB27_2 Depth=1
	ds_read_b32 v69, v71 offset:4
                                        ; implicit-def: $vgpr73
; %bb.120:                              ;   in Loop: Header=BB27_2 Depth=1
	s_or_saveexec_b64 s[16:17], s[16:17]
	v_mov_b32_e32 v71, v72
	s_xor_b64 exec, exec, s[16:17]
	s_cbranch_execz .LBB27_122
; %bb.121:                              ;   in Loop: Header=BB27_2 Depth=1
	ds_read_b32 v71, v73 offset:4
	s_waitcnt lgkmcnt(1)
	v_mov_b32_e32 v69, v68
.LBB27_122:                             ;   in Loop: Header=BB27_2 Depth=1
	s_or_b64 exec, exec, s[16:17]
	v_add_u32_e32 v74, 1, v67
	v_add_u32_e32 v73, 1, v70
	v_cndmask_b32_e64 v76, v74, v67, s[14:15]
	v_cndmask_b32_e64 v75, v70, v73, s[14:15]
	v_cmp_ge_i32_e64 s[18:19], v76, v36
	s_waitcnt lgkmcnt(0)
	v_cmp_lt_i32_e64 s[20:21], v71, v69
	v_cmp_gt_i32_e64 s[16:17], s33, v75
	s_or_b64 s[18:19], s[18:19], s[20:21]
	s_and_b64 s[16:17], s[16:17], s[18:19]
	s_xor_b64 s[18:19], s[16:17], -1
                                        ; implicit-def: $vgpr73
	s_and_saveexec_b64 s[20:21], s[18:19]
	s_xor_b64 s[18:19], exec, s[20:21]
; %bb.123:                              ;   in Loop: Header=BB27_2 Depth=1
	v_lshlrev_b32_e32 v73, 2, v76
	ds_read_b32 v73, v73 offset:4
; %bb.124:                              ;   in Loop: Header=BB27_2 Depth=1
	s_or_saveexec_b64 s[18:19], s[18:19]
	v_mov_b32_e32 v74, v71
	s_xor_b64 exec, exec, s[18:19]
	s_cbranch_execz .LBB27_126
; %bb.125:                              ;   in Loop: Header=BB27_2 Depth=1
	s_waitcnt lgkmcnt(0)
	v_lshlrev_b32_e32 v73, 2, v75
	ds_read_b32 v74, v73 offset:4
	v_mov_b32_e32 v73, v69
.LBB27_126:                             ;   in Loop: Header=BB27_2 Depth=1
	s_or_b64 exec, exec, s[18:19]
	v_add_u32_e32 v78, 1, v76
	v_add_u32_e32 v77, 1, v75
	v_cndmask_b32_e64 v81, v78, v76, s[16:17]
	v_cndmask_b32_e64 v77, v75, v77, s[16:17]
	v_cmp_ge_i32_e64 s[20:21], v81, v36
	s_waitcnt lgkmcnt(0)
	v_cmp_lt_i32_e64 s[22:23], v74, v73
	v_cmp_gt_i32_e64 s[18:19], s33, v77
	s_or_b64 s[20:21], s[20:21], s[22:23]
	s_and_b64 s[18:19], s[18:19], s[20:21]
	s_xor_b64 s[20:21], s[18:19], -1
                                        ; implicit-def: $vgpr80
                                        ; implicit-def: $vgpr79
	s_and_saveexec_b64 s[22:23], s[20:21]
	s_xor_b64 s[20:21], exec, s[22:23]
; %bb.127:                              ;   in Loop: Header=BB27_2 Depth=1
	v_lshlrev_b32_e32 v78, 2, v81
	ds_read_b32 v80, v78 offset:4
	v_add_u32_e32 v79, 1, v81
; %bb.128:                              ;   in Loop: Header=BB27_2 Depth=1
	s_or_saveexec_b64 s[20:21], s[20:21]
	v_mov_b32_e32 v78, v81
	v_mov_b32_e32 v82, v74
	s_xor_b64 exec, exec, s[20:21]
	s_cbranch_execz .LBB27_1
; %bb.129:                              ;   in Loop: Header=BB27_2 Depth=1
	v_lshlrev_b32_e32 v78, 2, v77
	ds_read_b32 v82, v78 offset:4
	s_waitcnt lgkmcnt(1)
	v_add_u32_e32 v80, 1, v77
	v_mov_b32_e32 v78, v77
	v_mov_b32_e32 v79, v81
	;; [unrolled: 1-line block ×4, first 2 shown]
	s_branch .LBB27_1
.LBB27_130:
	s_add_u32 s0, s38, s40
	s_waitcnt lgkmcnt(3)
	v_add_u32_e32 v1, v68, v63
	s_addc_u32 s1, s39, s41
	v_lshlrev_b32_e32 v0, 2, v0
	s_waitcnt lgkmcnt(2)
	v_add_u32_e32 v2, v70, v65
	s_waitcnt lgkmcnt(1)
	v_add_u32_e32 v3, v69, v64
	;; [unrolled: 2-line block ×3, first 2 shown]
	global_store_dword v0, v1, s[0:1]
	global_store_dword v0, v2, s[0:1] offset:1024
	global_store_dword v0, v3, s[0:1] offset:2048
	;; [unrolled: 1-line block ×3, first 2 shown]
	s_endpgm
	.section	.rodata,"a",@progbits
	.p2align	6, 0x0
	.amdhsa_kernel _Z17sort_pairs_kernelIiLj256ELj4EN10test_utils4lessELj10EEvPKT_PS2_T2_
		.amdhsa_group_segment_fixed_size 4100
		.amdhsa_private_segment_fixed_size 0
		.amdhsa_kernarg_size 20
		.amdhsa_user_sgpr_count 6
		.amdhsa_user_sgpr_private_segment_buffer 1
		.amdhsa_user_sgpr_dispatch_ptr 0
		.amdhsa_user_sgpr_queue_ptr 0
		.amdhsa_user_sgpr_kernarg_segment_ptr 1
		.amdhsa_user_sgpr_dispatch_id 0
		.amdhsa_user_sgpr_flat_scratch_init 0
		.amdhsa_user_sgpr_private_segment_size 0
		.amdhsa_uses_dynamic_stack 0
		.amdhsa_system_sgpr_private_segment_wavefront_offset 0
		.amdhsa_system_sgpr_workgroup_id_x 1
		.amdhsa_system_sgpr_workgroup_id_y 0
		.amdhsa_system_sgpr_workgroup_id_z 0
		.amdhsa_system_sgpr_workgroup_info 0
		.amdhsa_system_vgpr_workitem_id 0
		.amdhsa_next_free_vgpr 83
		.amdhsa_next_free_sgpr 44
		.amdhsa_reserve_vcc 1
		.amdhsa_reserve_flat_scratch 0
		.amdhsa_float_round_mode_32 0
		.amdhsa_float_round_mode_16_64 0
		.amdhsa_float_denorm_mode_32 3
		.amdhsa_float_denorm_mode_16_64 3
		.amdhsa_dx10_clamp 1
		.amdhsa_ieee_mode 1
		.amdhsa_fp16_overflow 0
		.amdhsa_exception_fp_ieee_invalid_op 0
		.amdhsa_exception_fp_denorm_src 0
		.amdhsa_exception_fp_ieee_div_zero 0
		.amdhsa_exception_fp_ieee_overflow 0
		.amdhsa_exception_fp_ieee_underflow 0
		.amdhsa_exception_fp_ieee_inexact 0
		.amdhsa_exception_int_div_zero 0
	.end_amdhsa_kernel
	.section	.text._Z17sort_pairs_kernelIiLj256ELj4EN10test_utils4lessELj10EEvPKT_PS2_T2_,"axG",@progbits,_Z17sort_pairs_kernelIiLj256ELj4EN10test_utils4lessELj10EEvPKT_PS2_T2_,comdat
.Lfunc_end27:
	.size	_Z17sort_pairs_kernelIiLj256ELj4EN10test_utils4lessELj10EEvPKT_PS2_T2_, .Lfunc_end27-_Z17sort_pairs_kernelIiLj256ELj4EN10test_utils4lessELj10EEvPKT_PS2_T2_
                                        ; -- End function
	.set _Z17sort_pairs_kernelIiLj256ELj4EN10test_utils4lessELj10EEvPKT_PS2_T2_.num_vgpr, 83
	.set _Z17sort_pairs_kernelIiLj256ELj4EN10test_utils4lessELj10EEvPKT_PS2_T2_.num_agpr, 0
	.set _Z17sort_pairs_kernelIiLj256ELj4EN10test_utils4lessELj10EEvPKT_PS2_T2_.numbered_sgpr, 44
	.set _Z17sort_pairs_kernelIiLj256ELj4EN10test_utils4lessELj10EEvPKT_PS2_T2_.num_named_barrier, 0
	.set _Z17sort_pairs_kernelIiLj256ELj4EN10test_utils4lessELj10EEvPKT_PS2_T2_.private_seg_size, 0
	.set _Z17sort_pairs_kernelIiLj256ELj4EN10test_utils4lessELj10EEvPKT_PS2_T2_.uses_vcc, 1
	.set _Z17sort_pairs_kernelIiLj256ELj4EN10test_utils4lessELj10EEvPKT_PS2_T2_.uses_flat_scratch, 0
	.set _Z17sort_pairs_kernelIiLj256ELj4EN10test_utils4lessELj10EEvPKT_PS2_T2_.has_dyn_sized_stack, 0
	.set _Z17sort_pairs_kernelIiLj256ELj4EN10test_utils4lessELj10EEvPKT_PS2_T2_.has_recursion, 0
	.set _Z17sort_pairs_kernelIiLj256ELj4EN10test_utils4lessELj10EEvPKT_PS2_T2_.has_indirect_call, 0
	.section	.AMDGPU.csdata,"",@progbits
; Kernel info:
; codeLenInByte = 6988
; TotalNumSgprs: 48
; NumVgprs: 83
; ScratchSize: 0
; MemoryBound: 0
; FloatMode: 240
; IeeeMode: 1
; LDSByteSize: 4100 bytes/workgroup (compile time only)
; SGPRBlocks: 5
; VGPRBlocks: 20
; NumSGPRsForWavesPerEU: 48
; NumVGPRsForWavesPerEU: 83
; Occupancy: 3
; WaveLimiterHint : 1
; COMPUTE_PGM_RSRC2:SCRATCH_EN: 0
; COMPUTE_PGM_RSRC2:USER_SGPR: 6
; COMPUTE_PGM_RSRC2:TRAP_HANDLER: 0
; COMPUTE_PGM_RSRC2:TGID_X_EN: 1
; COMPUTE_PGM_RSRC2:TGID_Y_EN: 0
; COMPUTE_PGM_RSRC2:TGID_Z_EN: 0
; COMPUTE_PGM_RSRC2:TIDIG_COMP_CNT: 0
	.section	.text._Z16sort_keys_kernelIiLj256ELj8EN10test_utils4lessELj10EEvPKT_PS2_T2_,"axG",@progbits,_Z16sort_keys_kernelIiLj256ELj8EN10test_utils4lessELj10EEvPKT_PS2_T2_,comdat
	.protected	_Z16sort_keys_kernelIiLj256ELj8EN10test_utils4lessELj10EEvPKT_PS2_T2_ ; -- Begin function _Z16sort_keys_kernelIiLj256ELj8EN10test_utils4lessELj10EEvPKT_PS2_T2_
	.globl	_Z16sort_keys_kernelIiLj256ELj8EN10test_utils4lessELj10EEvPKT_PS2_T2_
	.p2align	8
	.type	_Z16sort_keys_kernelIiLj256ELj8EN10test_utils4lessELj10EEvPKT_PS2_T2_,@function
_Z16sort_keys_kernelIiLj256ELj8EN10test_utils4lessELj10EEvPKT_PS2_T2_: ; @_Z16sort_keys_kernelIiLj256ELj8EN10test_utils4lessELj10EEvPKT_PS2_T2_
; %bb.0:
	s_load_dwordx4 s[36:39], s[4:5], 0x0
	s_lshl_b32 s34, s6, 11
	s_mov_b32 s35, 0
	s_lshl_b64 s[40:41], s[34:35], 2
	v_lshlrev_b32_e32 v18, 2, v0
	s_waitcnt lgkmcnt(0)
	s_add_u32 s0, s36, s40
	s_addc_u32 s1, s37, s41
	v_mov_b32_e32 v1, s1
	v_add_co_u32_e32 v2, vcc, s0, v18
	v_addc_co_u32_e32 v1, vcc, 0, v1, vcc
	s_movk_i32 s2, 0x1000
	v_add_co_u32_e32 v16, vcc, s2, v2
	v_addc_co_u32_e32 v17, vcc, 0, v1, vcc
	global_load_dword v64, v[16:17], off
	global_load_dword v65, v[16:17], off offset:1024
	global_load_dword v63, v[16:17], off offset:2048
	;; [unrolled: 1-line block ×3, first 2 shown]
	global_load_dword v72, v18, s[0:1]
	global_load_dword v73, v18, s[0:1] offset:1024
	global_load_dword v67, v18, s[0:1] offset:2048
	;; [unrolled: 1-line block ×3, first 2 shown]
	v_lshlrev_b32_e32 v39, 3, v0
	v_and_b32_e32 v1, 0x7f0, v39
	v_and_b32_e32 v4, 0x7e0, v39
	;; [unrolled: 1-line block ×7, first 2 shown]
	v_or_b32_e32 v2, 8, v1
	v_add_u32_e32 v3, 16, v1
	v_or_b32_e32 v5, 16, v4
	v_add_u32_e32 v6, 32, v4
	;; [unrolled: 2-line block ×7, first 2 shown]
	v_and_b32_e32 v41, 8, v39
	v_sub_u32_e32 v22, v3, v2
	v_and_b32_e32 v43, 24, v39
	v_sub_u32_e32 v24, v6, v5
	;; [unrolled: 2-line block ×7, first 2 shown]
	v_sub_u32_e32 v23, v41, v22
	v_sub_u32_e32 v25, v43, v24
	;; [unrolled: 1-line block ×7, first 2 shown]
	v_cmp_ge_i32_e32 vcc, v41, v22
	v_cmp_ge_i32_e64 s[0:1], v43, v24
	v_cmp_ge_i32_e64 s[2:3], v45, v26
	;; [unrolled: 1-line block ×6, first 2 shown]
	v_cndmask_b32_e32 v22, 0, v23, vcc
	v_sub_u32_e32 v23, v2, v1
	v_cndmask_b32_e64 v24, 0, v25, s[0:1]
	v_sub_u32_e32 v25, v5, v4
	v_cndmask_b32_e64 v26, 0, v27, s[2:3]
	;; [unrolled: 2-line block ×6, first 2 shown]
	v_sub_u32_e32 v35, v20, v19
	v_mov_b32_e32 v36, 0x400
	v_min_i32_e32 v23, v41, v23
	v_min_i32_e32 v25, v43, v25
	;; [unrolled: 1-line block ×7, first 2 shown]
	v_sub_u32_e64 v37, v39, v36 clamp
	v_min_i32_e32 v38, 0x400, v39
	v_add_u32_e32 v40, v2, v41
	v_lshlrev_b32_e32 v41, 2, v41
	v_add_u32_e32 v42, v5, v43
	v_lshlrev_b32_e32 v43, 2, v43
	;; [unrolled: 2-line block ×7, first 2 shown]
	v_lshlrev_b32_e32 v54, 5, v0
	v_cmp_lt_i32_e32 vcc, v22, v23
	v_cmp_lt_i32_e64 s[0:1], v24, v25
	v_cmp_lt_i32_e64 s[2:3], v26, v27
	;; [unrolled: 1-line block ×7, first 2 shown]
	v_add_u32_e32 v39, 0x400, v39
	v_lshl_add_u32 v41, v2, 2, v41
	v_lshl_add_u32 v43, v5, 2, v43
	;; [unrolled: 1-line block ×7, first 2 shown]
	s_movk_i32 s33, 0x800
	v_lshlrev_b32_e32 v55, 2, v1
	v_lshlrev_b32_e32 v56, 2, v4
	;; [unrolled: 1-line block ×7, first 2 shown]
	v_add_u32_e32 v62, 0x1000, v54
	s_branch .LBB28_2
.LBB28_1:                               ;   in Loop: Header=BB28_2 Depth=1
	s_or_b64 exec, exec, s[28:29]
	v_cndmask_b32_e64 v73, v65, v66, s[16:17]
	v_cndmask_b32_e64 v67, v67, v68, s[18:19]
	v_cmp_ge_i32_e64 s[16:17], v81, v36
	s_waitcnt lgkmcnt(0)
	v_cmp_lt_i32_e64 s[18:19], v82, v80
	v_cndmask_b32_e64 v72, v63, v64, s[14:15]
	v_cmp_gt_i32_e64 s[14:15], s33, v79
	s_or_b64 s[16:17], s[16:17], s[18:19]
	s_and_b64 s[14:15], s[14:15], s[16:17]
	s_add_i32 s35, s35, 1
	v_cndmask_b32_e64 v68, v69, v70, s[20:21]
	v_cndmask_b32_e64 v64, v71, v74, s[22:23]
	;; [unrolled: 1-line block ×4, first 2 shown]
	s_cmp_eq_u32 s35, 10
	v_cndmask_b32_e64 v66, v80, v82, s[14:15]
	s_cbranch_scc1 .LBB28_258
.LBB28_2:                               ; =>This Loop Header: Depth=1
                                        ;     Child Loop BB28_4 Depth 2
                                        ;     Child Loop BB28_36 Depth 2
	;; [unrolled: 1-line block ×8, first 2 shown]
	s_waitcnt vmcnt(2)
	v_cmp_lt_i32_e64 s[14:15], v73, v72
	v_cndmask_b32_e64 v69, v72, v73, s[14:15]
	v_cndmask_b32_e64 v70, v73, v72, s[14:15]
	s_waitcnt vmcnt(0)
	v_cmp_lt_i32_e64 s[14:15], v68, v67
	v_min_i32_e32 v71, v73, v72
	v_max_i32_e32 v72, v73, v72
	v_cndmask_b32_e64 v73, v68, v67, s[14:15]
	v_cndmask_b32_e64 v74, v67, v68, s[14:15]
	v_cmp_lt_i32_e64 s[14:15], v65, v64
	v_max_i32_e32 v75, v68, v67
	v_min_i32_e32 v67, v68, v67
	v_cndmask_b32_e64 v68, v65, v64, s[14:15]
	v_cndmask_b32_e64 v76, v64, v65, s[14:15]
	v_cmp_lt_i32_e64 s[14:15], v66, v63
	v_max_i32_e32 v77, v65, v64
	v_min_i32_e32 v64, v65, v64
	;; [unrolled: 5-line block ×3, first 2 shown]
	v_cndmask_b32_e64 v66, v74, v72, s[14:15]
	v_cndmask_b32_e64 v70, v70, v67, s[14:15]
	v_cmp_lt_i32_e64 s[14:15], v64, v75
	v_cndmask_b32_e64 v76, v76, v75, s[14:15]
	v_cndmask_b32_e64 v73, v73, v64, s[14:15]
	v_cmp_lt_i32_e64 s[14:15], v63, v77
	v_max_i32_e32 v74, v67, v72
	v_min_i32_e32 v72, v67, v72
	v_max_i32_e32 v80, v64, v75
	v_min_i32_e32 v64, v64, v75
	v_cndmask_b32_e64 v75, v78, v77, s[14:15]
	v_cndmask_b32_e64 v68, v68, v63, s[14:15]
	v_cmp_lt_i32_e64 s[14:15], v67, v71
	v_max_i32_e32 v78, v63, v77
	v_min_i32_e32 v63, v63, v77
	v_cndmask_b32_e64 v67, v69, v72, s[14:15]
	v_cndmask_b32_e64 v69, v70, v71, s[14:15]
	;; [unrolled: 1-line block ×4, first 2 shown]
	v_cmp_lt_i32_e64 s[14:15], v64, v74
	v_cndmask_b32_e64 v72, v73, v74, s[14:15]
	v_cndmask_b32_e64 v66, v66, v64, s[14:15]
	v_cmp_lt_i32_e64 s[14:15], v63, v80
	v_max_i32_e32 v73, v64, v74
	v_min_i32_e32 v64, v64, v74
	v_cndmask_b32_e64 v68, v68, v80, s[14:15]
	v_cndmask_b32_e64 v74, v76, v63, s[14:15]
	v_cmp_gt_i32_e64 s[14:15], v77, v79
	v_max_i32_e32 v76, v63, v80
	v_min_i32_e32 v63, v63, v80
	v_cndmask_b32_e64 v65, v65, v78, s[14:15]
	v_cndmask_b32_e64 v75, v75, v79, s[14:15]
	;; [unrolled: 1-line block ×4, first 2 shown]
	v_cmp_lt_i32_e64 s[14:15], v64, v71
	v_cndmask_b32_e64 v66, v66, v71, s[14:15]
	v_cndmask_b32_e64 v69, v69, v64, s[14:15]
	v_cmp_lt_i32_e64 s[14:15], v63, v73
	v_max_i32_e32 v79, v64, v71
	v_min_i32_e32 v64, v64, v71
	v_cndmask_b32_e64 v71, v74, v73, s[14:15]
	v_cndmask_b32_e64 v72, v72, v63, s[14:15]
	v_cmp_lt_i32_e64 s[14:15], v78, v76
	v_max_i32_e32 v74, v63, v73
	v_min_i32_e32 v63, v63, v73
	v_cndmask_b32_e64 v73, v75, v76, s[14:15]
	v_cndmask_b32_e64 v68, v68, v78, s[14:15]
	v_cmp_lt_i32_e64 s[14:15], v64, v70
	v_max_i32_e32 v75, v78, v76
	v_min_i32_e32 v76, v78, v76
	v_cndmask_b32_e64 v67, v67, v64, s[14:15]
	v_cndmask_b32_e64 v69, v69, v70, s[14:15]
	v_cmp_lt_i32_e64 s[14:15], v63, v79
	v_min_i32_e32 v78, v64, v70
	v_max_i32_e32 v64, v64, v70
	v_cndmask_b32_e64 v70, v72, v79, s[14:15]
	v_cndmask_b32_e64 v66, v66, v63, s[14:15]
	v_cmp_lt_i32_e64 s[14:15], v76, v74
	v_max_i32_e32 v72, v63, v79
	v_min_i32_e32 v63, v63, v79
	v_cndmask_b32_e64 v68, v68, v74, s[14:15]
	v_cndmask_b32_e64 v71, v71, v76, s[14:15]
	v_cmp_lt_i32_e64 s[14:15], v77, v75
	v_max_i32_e32 v79, v76, v74
	v_min_i32_e32 v74, v76, v74
	;; [unrolled: 5-line block ×3, first 2 shown]
	v_cndmask_b32_e64 v69, v69, v63, s[14:15]
	v_cndmask_b32_e64 v66, v66, v64, s[14:15]
	v_cmp_lt_i32_e64 s[14:15], v74, v72
	v_cndmask_b32_e64 v71, v71, v72, s[14:15]
	v_cndmask_b32_e64 v70, v70, v74, s[14:15]
	v_cmp_lt_i32_e64 s[14:15], v75, v79
	v_max_i32_e32 v77, v63, v64
	v_min_i32_e32 v64, v63, v64
	v_max_i32_e32 v80, v74, v72
	v_min_i32_e32 v72, v74, v72
	v_cndmask_b32_e64 v73, v73, v79, s[14:15]
	v_cndmask_b32_e64 v68, v68, v75, s[14:15]
	v_cmp_lt_i32_e64 s[14:15], v63, v78
	v_max_i32_e32 v74, v75, v79
	v_min_i32_e32 v75, v75, v79
	v_cndmask_b32_e64 v63, v67, v64, s[14:15]
	v_cndmask_b32_e64 v67, v69, v78, s[14:15]
	;; [unrolled: 1-line block ×3, first 2 shown]
	v_cmp_lt_i32_e64 s[14:15], v72, v77
	v_cndmask_b32_e64 v66, v66, v72, s[14:15]
	v_cndmask_b32_e64 v69, v70, v77, s[14:15]
	v_cmp_lt_i32_e64 s[14:15], v75, v80
	v_max_i32_e32 v70, v72, v77
	v_min_i32_e32 v72, v72, v77
	v_cndmask_b32_e64 v68, v68, v80, s[14:15]
	v_cndmask_b32_e64 v71, v71, v75, s[14:15]
	v_cmp_gt_i32_e64 s[14:15], v79, v76
	v_max_i32_e32 v77, v75, v80
	v_min_i32_e32 v75, v75, v80
	v_cndmask_b32_e64 v65, v65, v74, s[14:15]
	v_cndmask_b32_e64 v73, v73, v76, s[14:15]
	v_cndmask_b32_e64 v74, v74, v76, s[14:15]
	v_cmp_lt_i32_e64 s[14:15], v72, v64
	v_cndmask_b32_e64 v64, v66, v64, s[14:15]
	v_cndmask_b32_e64 v66, v67, v72, s[14:15]
	v_cmp_lt_i32_e64 s[14:15], v75, v70
	v_cndmask_b32_e64 v67, v71, v70, s[14:15]
	v_cndmask_b32_e64 v69, v69, v75, s[14:15]
	;; [unrolled: 3-line block ×3, first 2 shown]
	s_barrier
	ds_write2_b32 v54, v63, v66 offset1:1
	ds_write2_b32 v54, v64, v69 offset0:2 offset1:3
	ds_write2_b32 v54, v67, v68 offset0:4 offset1:5
	;; [unrolled: 1-line block ×3, first 2 shown]
	v_mov_b32_e32 v65, v22
	s_waitcnt lgkmcnt(0)
	s_barrier
	s_and_saveexec_b64 s[16:17], vcc
	s_cbranch_execz .LBB28_6
; %bb.3:                                ;   in Loop: Header=BB28_2 Depth=1
	s_mov_b64 s[18:19], 0
	v_mov_b32_e32 v65, v22
	v_mov_b32_e32 v63, v23
.LBB28_4:                               ;   Parent Loop BB28_2 Depth=1
                                        ; =>  This Inner Loop Header: Depth=2
	v_sub_u32_e32 v64, v63, v65
	v_lshrrev_b32_e32 v64, 1, v64
	v_add_u32_e32 v64, v64, v65
	v_not_b32_e32 v67, v64
	v_lshl_add_u32 v66, v64, 2, v55
	v_lshl_add_u32 v67, v67, 2, v41
	ds_read_b32 v66, v66
	ds_read_b32 v67, v67
	v_add_u32_e32 v68, 1, v64
	s_waitcnt lgkmcnt(0)
	v_cmp_lt_i32_e64 s[14:15], v67, v66
	v_cndmask_b32_e64 v63, v63, v64, s[14:15]
	v_cndmask_b32_e64 v65, v68, v65, s[14:15]
	v_cmp_ge_i32_e64 s[14:15], v65, v63
	s_or_b64 s[18:19], s[14:15], s[18:19]
	s_andn2_b64 exec, exec, s[18:19]
	s_cbranch_execnz .LBB28_4
; %bb.5:                                ;   in Loop: Header=BB28_2 Depth=1
	s_or_b64 exec, exec, s[18:19]
.LBB28_6:                               ;   in Loop: Header=BB28_2 Depth=1
	s_or_b64 exec, exec, s[16:17]
	v_sub_u32_e32 v67, v40, v65
	v_lshl_add_u32 v66, v65, 2, v55
	v_lshlrev_b32_e32 v69, 2, v67
	ds_read_b32 v63, v66
	ds_read_b32 v64, v69
	v_add_u32_e32 v68, v65, v1
	v_cmp_le_i32_e64 s[16:17], v2, v68
	v_cmp_gt_i32_e64 s[14:15], v3, v67
                                        ; implicit-def: $vgpr65
	s_waitcnt lgkmcnt(0)
	v_cmp_lt_i32_e64 s[18:19], v64, v63
	s_or_b64 s[16:17], s[16:17], s[18:19]
	s_and_b64 s[14:15], s[14:15], s[16:17]
	s_xor_b64 s[16:17], s[14:15], -1
	s_and_saveexec_b64 s[18:19], s[16:17]
	s_xor_b64 s[16:17], exec, s[18:19]
; %bb.7:                                ;   in Loop: Header=BB28_2 Depth=1
	ds_read_b32 v65, v66 offset:4
                                        ; implicit-def: $vgpr69
; %bb.8:                                ;   in Loop: Header=BB28_2 Depth=1
	s_or_saveexec_b64 s[16:17], s[16:17]
	v_mov_b32_e32 v66, v64
	s_xor_b64 exec, exec, s[16:17]
	s_cbranch_execz .LBB28_10
; %bb.9:                                ;   in Loop: Header=BB28_2 Depth=1
	ds_read_b32 v66, v69 offset:4
	s_waitcnt lgkmcnt(1)
	v_mov_b32_e32 v65, v63
.LBB28_10:                              ;   in Loop: Header=BB28_2 Depth=1
	s_or_b64 exec, exec, s[16:17]
	v_add_u32_e32 v70, 1, v68
	v_add_u32_e32 v69, 1, v67
	v_cndmask_b32_e64 v70, v70, v68, s[14:15]
	v_cndmask_b32_e64 v69, v67, v69, s[14:15]
	v_cmp_ge_i32_e64 s[18:19], v70, v2
	s_waitcnt lgkmcnt(0)
	v_cmp_lt_i32_e64 s[20:21], v66, v65
	v_cmp_lt_i32_e64 s[16:17], v69, v3
	s_or_b64 s[18:19], s[18:19], s[20:21]
	s_and_b64 s[16:17], s[16:17], s[18:19]
	s_xor_b64 s[18:19], s[16:17], -1
                                        ; implicit-def: $vgpr67
	s_and_saveexec_b64 s[20:21], s[18:19]
	s_xor_b64 s[18:19], exec, s[20:21]
; %bb.11:                               ;   in Loop: Header=BB28_2 Depth=1
	v_lshlrev_b32_e32 v67, 2, v70
	ds_read_b32 v67, v67 offset:4
; %bb.12:                               ;   in Loop: Header=BB28_2 Depth=1
	s_or_saveexec_b64 s[18:19], s[18:19]
	v_mov_b32_e32 v68, v66
	s_xor_b64 exec, exec, s[18:19]
	s_cbranch_execz .LBB28_14
; %bb.13:                               ;   in Loop: Header=BB28_2 Depth=1
	s_waitcnt lgkmcnt(0)
	v_lshlrev_b32_e32 v67, 2, v69
	ds_read_b32 v68, v67 offset:4
	v_mov_b32_e32 v67, v65
.LBB28_14:                              ;   in Loop: Header=BB28_2 Depth=1
	s_or_b64 exec, exec, s[18:19]
	v_add_u32_e32 v72, 1, v70
	v_add_u32_e32 v71, 1, v69
	v_cndmask_b32_e64 v72, v72, v70, s[16:17]
	v_cndmask_b32_e64 v71, v69, v71, s[16:17]
	v_cmp_ge_i32_e64 s[20:21], v72, v2
	s_waitcnt lgkmcnt(0)
	v_cmp_lt_i32_e64 s[22:23], v68, v67
	v_cmp_lt_i32_e64 s[18:19], v71, v3
	s_or_b64 s[20:21], s[20:21], s[22:23]
	s_and_b64 s[18:19], s[18:19], s[20:21]
	s_xor_b64 s[20:21], s[18:19], -1
                                        ; implicit-def: $vgpr69
	s_and_saveexec_b64 s[22:23], s[20:21]
	s_xor_b64 s[20:21], exec, s[22:23]
; %bb.15:                               ;   in Loop: Header=BB28_2 Depth=1
	v_lshlrev_b32_e32 v69, 2, v72
	ds_read_b32 v69, v69 offset:4
; %bb.16:                               ;   in Loop: Header=BB28_2 Depth=1
	s_or_saveexec_b64 s[20:21], s[20:21]
	v_mov_b32_e32 v70, v68
	s_xor_b64 exec, exec, s[20:21]
	s_cbranch_execz .LBB28_18
; %bb.17:                               ;   in Loop: Header=BB28_2 Depth=1
	s_waitcnt lgkmcnt(0)
	v_lshlrev_b32_e32 v69, 2, v71
	ds_read_b32 v70, v69 offset:4
	v_mov_b32_e32 v69, v67
.LBB28_18:                              ;   in Loop: Header=BB28_2 Depth=1
	s_or_b64 exec, exec, s[20:21]
	v_add_u32_e32 v74, 1, v72
	v_add_u32_e32 v73, 1, v71
	v_cndmask_b32_e64 v74, v74, v72, s[18:19]
	v_cndmask_b32_e64 v73, v71, v73, s[18:19]
	v_cmp_ge_i32_e64 s[22:23], v74, v2
	s_waitcnt lgkmcnt(0)
	v_cmp_lt_i32_e64 s[24:25], v70, v69
	v_cmp_lt_i32_e64 s[20:21], v73, v3
	s_or_b64 s[22:23], s[22:23], s[24:25]
	s_and_b64 s[20:21], s[20:21], s[22:23]
	s_xor_b64 s[22:23], s[20:21], -1
                                        ; implicit-def: $vgpr71
	s_and_saveexec_b64 s[24:25], s[22:23]
	s_xor_b64 s[22:23], exec, s[24:25]
; %bb.19:                               ;   in Loop: Header=BB28_2 Depth=1
	v_lshlrev_b32_e32 v71, 2, v74
	ds_read_b32 v71, v71 offset:4
; %bb.20:                               ;   in Loop: Header=BB28_2 Depth=1
	s_or_saveexec_b64 s[22:23], s[22:23]
	v_mov_b32_e32 v72, v70
	s_xor_b64 exec, exec, s[22:23]
	s_cbranch_execz .LBB28_22
; %bb.21:                               ;   in Loop: Header=BB28_2 Depth=1
	s_waitcnt lgkmcnt(0)
	v_lshlrev_b32_e32 v71, 2, v73
	ds_read_b32 v72, v71 offset:4
	v_mov_b32_e32 v71, v69
.LBB28_22:                              ;   in Loop: Header=BB28_2 Depth=1
	s_or_b64 exec, exec, s[22:23]
	v_add_u32_e32 v76, 1, v74
	v_add_u32_e32 v75, 1, v73
	v_cndmask_b32_e64 v76, v76, v74, s[20:21]
	v_cndmask_b32_e64 v75, v73, v75, s[20:21]
	v_cmp_ge_i32_e64 s[24:25], v76, v2
	s_waitcnt lgkmcnt(0)
	v_cmp_lt_i32_e64 s[26:27], v72, v71
	v_cmp_lt_i32_e64 s[22:23], v75, v3
	s_or_b64 s[24:25], s[24:25], s[26:27]
	s_and_b64 s[22:23], s[22:23], s[24:25]
	s_xor_b64 s[24:25], s[22:23], -1
                                        ; implicit-def: $vgpr73
	s_and_saveexec_b64 s[26:27], s[24:25]
	s_xor_b64 s[24:25], exec, s[26:27]
; %bb.23:                               ;   in Loop: Header=BB28_2 Depth=1
	v_lshlrev_b32_e32 v73, 2, v76
	ds_read_b32 v73, v73 offset:4
; %bb.24:                               ;   in Loop: Header=BB28_2 Depth=1
	s_or_saveexec_b64 s[24:25], s[24:25]
	v_mov_b32_e32 v74, v72
	s_xor_b64 exec, exec, s[24:25]
	s_cbranch_execz .LBB28_26
; %bb.25:                               ;   in Loop: Header=BB28_2 Depth=1
	s_waitcnt lgkmcnt(0)
	v_lshlrev_b32_e32 v73, 2, v75
	ds_read_b32 v74, v73 offset:4
	v_mov_b32_e32 v73, v71
.LBB28_26:                              ;   in Loop: Header=BB28_2 Depth=1
	s_or_b64 exec, exec, s[24:25]
	v_add_u32_e32 v78, 1, v76
	v_add_u32_e32 v77, 1, v75
	v_cndmask_b32_e64 v78, v78, v76, s[22:23]
	v_cndmask_b32_e64 v77, v75, v77, s[22:23]
	v_cmp_ge_i32_e64 s[26:27], v78, v2
	s_waitcnt lgkmcnt(0)
	v_cmp_lt_i32_e64 s[28:29], v74, v73
	v_cmp_lt_i32_e64 s[24:25], v77, v3
	s_or_b64 s[26:27], s[26:27], s[28:29]
	s_and_b64 s[24:25], s[24:25], s[26:27]
	s_xor_b64 s[26:27], s[24:25], -1
                                        ; implicit-def: $vgpr75
	s_and_saveexec_b64 s[28:29], s[26:27]
	s_xor_b64 s[26:27], exec, s[28:29]
; %bb.27:                               ;   in Loop: Header=BB28_2 Depth=1
	v_lshlrev_b32_e32 v75, 2, v78
	ds_read_b32 v75, v75 offset:4
; %bb.28:                               ;   in Loop: Header=BB28_2 Depth=1
	s_or_saveexec_b64 s[26:27], s[26:27]
	v_mov_b32_e32 v76, v74
	s_xor_b64 exec, exec, s[26:27]
	s_cbranch_execz .LBB28_30
; %bb.29:                               ;   in Loop: Header=BB28_2 Depth=1
	s_waitcnt lgkmcnt(0)
	v_lshlrev_b32_e32 v75, 2, v77
	ds_read_b32 v76, v75 offset:4
	v_mov_b32_e32 v75, v73
.LBB28_30:                              ;   in Loop: Header=BB28_2 Depth=1
	s_or_b64 exec, exec, s[26:27]
	v_add_u32_e32 v80, 1, v78
	v_add_u32_e32 v79, 1, v77
	v_cndmask_b32_e64 v78, v80, v78, s[24:25]
	v_cndmask_b32_e64 v77, v77, v79, s[24:25]
	v_cmp_ge_i32_e64 s[28:29], v78, v2
	s_waitcnt lgkmcnt(0)
	v_cmp_lt_i32_e64 s[30:31], v76, v75
	v_cmp_lt_i32_e64 s[26:27], v77, v3
	s_or_b64 s[28:29], s[28:29], s[30:31]
	s_and_b64 s[26:27], s[26:27], s[28:29]
	s_xor_b64 s[28:29], s[26:27], -1
                                        ; implicit-def: $vgpr79
	s_and_saveexec_b64 s[30:31], s[28:29]
	s_xor_b64 s[28:29], exec, s[30:31]
; %bb.31:                               ;   in Loop: Header=BB28_2 Depth=1
	v_lshlrev_b32_e32 v79, 2, v78
	ds_read_b32 v79, v79 offset:4
; %bb.32:                               ;   in Loop: Header=BB28_2 Depth=1
	s_or_saveexec_b64 s[28:29], s[28:29]
	v_mov_b32_e32 v80, v76
	s_xor_b64 exec, exec, s[28:29]
	s_cbranch_execz .LBB28_34
; %bb.33:                               ;   in Loop: Header=BB28_2 Depth=1
	s_waitcnt lgkmcnt(0)
	v_lshlrev_b32_e32 v79, 2, v77
	ds_read_b32 v80, v79 offset:4
	v_mov_b32_e32 v79, v75
.LBB28_34:                              ;   in Loop: Header=BB28_2 Depth=1
	s_or_b64 exec, exec, s[28:29]
	v_cndmask_b32_e64 v75, v75, v76, s[26:27]
	v_add_u32_e32 v76, 1, v77
	v_add_u32_e32 v81, 1, v78
	v_cndmask_b32_e64 v76, v77, v76, s[26:27]
	v_cndmask_b32_e64 v77, v81, v78, s[26:27]
	v_cndmask_b32_e64 v67, v67, v68, s[18:19]
	v_cndmask_b32_e64 v65, v65, v66, s[16:17]
	v_cmp_ge_i32_e64 s[16:17], v77, v2
	s_waitcnt lgkmcnt(0)
	v_cmp_lt_i32_e64 s[18:19], v80, v79
	v_cndmask_b32_e64 v63, v63, v64, s[14:15]
	v_cmp_lt_i32_e64 s[14:15], v76, v3
	s_or_b64 s[16:17], s[16:17], s[18:19]
	s_and_b64 s[14:15], s[14:15], s[16:17]
	v_cndmask_b32_e64 v73, v73, v74, s[24:25]
	v_cndmask_b32_e64 v71, v71, v72, s[22:23]
	;; [unrolled: 1-line block ×4, first 2 shown]
	s_barrier
	ds_write2_b32 v54, v63, v65 offset1:1
	ds_write2_b32 v54, v67, v69 offset0:2 offset1:3
	ds_write2_b32 v54, v71, v73 offset0:4 offset1:5
	;; [unrolled: 1-line block ×3, first 2 shown]
	v_mov_b32_e32 v65, v24
	s_waitcnt lgkmcnt(0)
	s_barrier
	s_and_saveexec_b64 s[16:17], s[0:1]
	s_cbranch_execz .LBB28_38
; %bb.35:                               ;   in Loop: Header=BB28_2 Depth=1
	s_mov_b64 s[18:19], 0
	v_mov_b32_e32 v65, v24
	v_mov_b32_e32 v63, v25
.LBB28_36:                              ;   Parent Loop BB28_2 Depth=1
                                        ; =>  This Inner Loop Header: Depth=2
	v_sub_u32_e32 v64, v63, v65
	v_lshrrev_b32_e32 v64, 1, v64
	v_add_u32_e32 v64, v64, v65
	v_not_b32_e32 v67, v64
	v_lshl_add_u32 v66, v64, 2, v56
	v_lshl_add_u32 v67, v67, 2, v43
	ds_read_b32 v66, v66
	ds_read_b32 v67, v67
	v_add_u32_e32 v68, 1, v64
	s_waitcnt lgkmcnt(0)
	v_cmp_lt_i32_e64 s[14:15], v67, v66
	v_cndmask_b32_e64 v63, v63, v64, s[14:15]
	v_cndmask_b32_e64 v65, v68, v65, s[14:15]
	v_cmp_ge_i32_e64 s[14:15], v65, v63
	s_or_b64 s[18:19], s[14:15], s[18:19]
	s_andn2_b64 exec, exec, s[18:19]
	s_cbranch_execnz .LBB28_36
; %bb.37:                               ;   in Loop: Header=BB28_2 Depth=1
	s_or_b64 exec, exec, s[18:19]
.LBB28_38:                              ;   in Loop: Header=BB28_2 Depth=1
	s_or_b64 exec, exec, s[16:17]
	v_sub_u32_e32 v67, v42, v65
	v_lshl_add_u32 v66, v65, 2, v56
	v_lshlrev_b32_e32 v69, 2, v67
	ds_read_b32 v63, v66
	ds_read_b32 v64, v69
	v_add_u32_e32 v68, v65, v4
	v_cmp_le_i32_e64 s[16:17], v5, v68
	v_cmp_gt_i32_e64 s[14:15], v6, v67
                                        ; implicit-def: $vgpr65
	s_waitcnt lgkmcnt(0)
	v_cmp_lt_i32_e64 s[18:19], v64, v63
	s_or_b64 s[16:17], s[16:17], s[18:19]
	s_and_b64 s[14:15], s[14:15], s[16:17]
	s_xor_b64 s[16:17], s[14:15], -1
	s_and_saveexec_b64 s[18:19], s[16:17]
	s_xor_b64 s[16:17], exec, s[18:19]
; %bb.39:                               ;   in Loop: Header=BB28_2 Depth=1
	ds_read_b32 v65, v66 offset:4
                                        ; implicit-def: $vgpr69
; %bb.40:                               ;   in Loop: Header=BB28_2 Depth=1
	s_or_saveexec_b64 s[16:17], s[16:17]
	v_mov_b32_e32 v66, v64
	s_xor_b64 exec, exec, s[16:17]
	s_cbranch_execz .LBB28_42
; %bb.41:                               ;   in Loop: Header=BB28_2 Depth=1
	ds_read_b32 v66, v69 offset:4
	s_waitcnt lgkmcnt(1)
	v_mov_b32_e32 v65, v63
.LBB28_42:                              ;   in Loop: Header=BB28_2 Depth=1
	s_or_b64 exec, exec, s[16:17]
	v_add_u32_e32 v70, 1, v68
	v_add_u32_e32 v69, 1, v67
	v_cndmask_b32_e64 v70, v70, v68, s[14:15]
	v_cndmask_b32_e64 v69, v67, v69, s[14:15]
	v_cmp_ge_i32_e64 s[18:19], v70, v5
	s_waitcnt lgkmcnt(0)
	v_cmp_lt_i32_e64 s[20:21], v66, v65
	v_cmp_lt_i32_e64 s[16:17], v69, v6
	s_or_b64 s[18:19], s[18:19], s[20:21]
	s_and_b64 s[16:17], s[16:17], s[18:19]
	s_xor_b64 s[18:19], s[16:17], -1
                                        ; implicit-def: $vgpr67
	s_and_saveexec_b64 s[20:21], s[18:19]
	s_xor_b64 s[18:19], exec, s[20:21]
; %bb.43:                               ;   in Loop: Header=BB28_2 Depth=1
	v_lshlrev_b32_e32 v67, 2, v70
	ds_read_b32 v67, v67 offset:4
; %bb.44:                               ;   in Loop: Header=BB28_2 Depth=1
	s_or_saveexec_b64 s[18:19], s[18:19]
	v_mov_b32_e32 v68, v66
	s_xor_b64 exec, exec, s[18:19]
	s_cbranch_execz .LBB28_46
; %bb.45:                               ;   in Loop: Header=BB28_2 Depth=1
	s_waitcnt lgkmcnt(0)
	v_lshlrev_b32_e32 v67, 2, v69
	ds_read_b32 v68, v67 offset:4
	v_mov_b32_e32 v67, v65
.LBB28_46:                              ;   in Loop: Header=BB28_2 Depth=1
	s_or_b64 exec, exec, s[18:19]
	v_add_u32_e32 v72, 1, v70
	v_add_u32_e32 v71, 1, v69
	v_cndmask_b32_e64 v72, v72, v70, s[16:17]
	v_cndmask_b32_e64 v71, v69, v71, s[16:17]
	v_cmp_ge_i32_e64 s[20:21], v72, v5
	s_waitcnt lgkmcnt(0)
	v_cmp_lt_i32_e64 s[22:23], v68, v67
	v_cmp_lt_i32_e64 s[18:19], v71, v6
	s_or_b64 s[20:21], s[20:21], s[22:23]
	s_and_b64 s[18:19], s[18:19], s[20:21]
	s_xor_b64 s[20:21], s[18:19], -1
                                        ; implicit-def: $vgpr69
	s_and_saveexec_b64 s[22:23], s[20:21]
	s_xor_b64 s[20:21], exec, s[22:23]
; %bb.47:                               ;   in Loop: Header=BB28_2 Depth=1
	v_lshlrev_b32_e32 v69, 2, v72
	ds_read_b32 v69, v69 offset:4
; %bb.48:                               ;   in Loop: Header=BB28_2 Depth=1
	s_or_saveexec_b64 s[20:21], s[20:21]
	v_mov_b32_e32 v70, v68
	s_xor_b64 exec, exec, s[20:21]
	s_cbranch_execz .LBB28_50
; %bb.49:                               ;   in Loop: Header=BB28_2 Depth=1
	s_waitcnt lgkmcnt(0)
	v_lshlrev_b32_e32 v69, 2, v71
	ds_read_b32 v70, v69 offset:4
	v_mov_b32_e32 v69, v67
.LBB28_50:                              ;   in Loop: Header=BB28_2 Depth=1
	s_or_b64 exec, exec, s[20:21]
	v_add_u32_e32 v74, 1, v72
	v_add_u32_e32 v73, 1, v71
	v_cndmask_b32_e64 v74, v74, v72, s[18:19]
	v_cndmask_b32_e64 v73, v71, v73, s[18:19]
	v_cmp_ge_i32_e64 s[22:23], v74, v5
	s_waitcnt lgkmcnt(0)
	v_cmp_lt_i32_e64 s[24:25], v70, v69
	v_cmp_lt_i32_e64 s[20:21], v73, v6
	s_or_b64 s[22:23], s[22:23], s[24:25]
	s_and_b64 s[20:21], s[20:21], s[22:23]
	s_xor_b64 s[22:23], s[20:21], -1
                                        ; implicit-def: $vgpr71
	s_and_saveexec_b64 s[24:25], s[22:23]
	s_xor_b64 s[22:23], exec, s[24:25]
; %bb.51:                               ;   in Loop: Header=BB28_2 Depth=1
	v_lshlrev_b32_e32 v71, 2, v74
	ds_read_b32 v71, v71 offset:4
; %bb.52:                               ;   in Loop: Header=BB28_2 Depth=1
	s_or_saveexec_b64 s[22:23], s[22:23]
	v_mov_b32_e32 v72, v70
	s_xor_b64 exec, exec, s[22:23]
	s_cbranch_execz .LBB28_54
; %bb.53:                               ;   in Loop: Header=BB28_2 Depth=1
	s_waitcnt lgkmcnt(0)
	v_lshlrev_b32_e32 v71, 2, v73
	ds_read_b32 v72, v71 offset:4
	v_mov_b32_e32 v71, v69
.LBB28_54:                              ;   in Loop: Header=BB28_2 Depth=1
	s_or_b64 exec, exec, s[22:23]
	v_add_u32_e32 v76, 1, v74
	v_add_u32_e32 v75, 1, v73
	v_cndmask_b32_e64 v76, v76, v74, s[20:21]
	v_cndmask_b32_e64 v75, v73, v75, s[20:21]
	v_cmp_ge_i32_e64 s[24:25], v76, v5
	s_waitcnt lgkmcnt(0)
	v_cmp_lt_i32_e64 s[26:27], v72, v71
	v_cmp_lt_i32_e64 s[22:23], v75, v6
	s_or_b64 s[24:25], s[24:25], s[26:27]
	s_and_b64 s[22:23], s[22:23], s[24:25]
	s_xor_b64 s[24:25], s[22:23], -1
                                        ; implicit-def: $vgpr73
	s_and_saveexec_b64 s[26:27], s[24:25]
	s_xor_b64 s[24:25], exec, s[26:27]
; %bb.55:                               ;   in Loop: Header=BB28_2 Depth=1
	v_lshlrev_b32_e32 v73, 2, v76
	ds_read_b32 v73, v73 offset:4
; %bb.56:                               ;   in Loop: Header=BB28_2 Depth=1
	s_or_saveexec_b64 s[24:25], s[24:25]
	v_mov_b32_e32 v74, v72
	s_xor_b64 exec, exec, s[24:25]
	s_cbranch_execz .LBB28_58
; %bb.57:                               ;   in Loop: Header=BB28_2 Depth=1
	s_waitcnt lgkmcnt(0)
	v_lshlrev_b32_e32 v73, 2, v75
	ds_read_b32 v74, v73 offset:4
	v_mov_b32_e32 v73, v71
.LBB28_58:                              ;   in Loop: Header=BB28_2 Depth=1
	s_or_b64 exec, exec, s[24:25]
	v_add_u32_e32 v78, 1, v76
	v_add_u32_e32 v77, 1, v75
	v_cndmask_b32_e64 v78, v78, v76, s[22:23]
	v_cndmask_b32_e64 v77, v75, v77, s[22:23]
	v_cmp_ge_i32_e64 s[26:27], v78, v5
	s_waitcnt lgkmcnt(0)
	v_cmp_lt_i32_e64 s[28:29], v74, v73
	v_cmp_lt_i32_e64 s[24:25], v77, v6
	s_or_b64 s[26:27], s[26:27], s[28:29]
	s_and_b64 s[24:25], s[24:25], s[26:27]
	s_xor_b64 s[26:27], s[24:25], -1
                                        ; implicit-def: $vgpr75
	s_and_saveexec_b64 s[28:29], s[26:27]
	s_xor_b64 s[26:27], exec, s[28:29]
; %bb.59:                               ;   in Loop: Header=BB28_2 Depth=1
	v_lshlrev_b32_e32 v75, 2, v78
	ds_read_b32 v75, v75 offset:4
; %bb.60:                               ;   in Loop: Header=BB28_2 Depth=1
	s_or_saveexec_b64 s[26:27], s[26:27]
	v_mov_b32_e32 v76, v74
	s_xor_b64 exec, exec, s[26:27]
	s_cbranch_execz .LBB28_62
; %bb.61:                               ;   in Loop: Header=BB28_2 Depth=1
	s_waitcnt lgkmcnt(0)
	v_lshlrev_b32_e32 v75, 2, v77
	ds_read_b32 v76, v75 offset:4
	v_mov_b32_e32 v75, v73
.LBB28_62:                              ;   in Loop: Header=BB28_2 Depth=1
	s_or_b64 exec, exec, s[26:27]
	v_add_u32_e32 v80, 1, v78
	v_add_u32_e32 v79, 1, v77
	v_cndmask_b32_e64 v78, v80, v78, s[24:25]
	v_cndmask_b32_e64 v77, v77, v79, s[24:25]
	v_cmp_ge_i32_e64 s[28:29], v78, v5
	s_waitcnt lgkmcnt(0)
	v_cmp_lt_i32_e64 s[30:31], v76, v75
	v_cmp_lt_i32_e64 s[26:27], v77, v6
	s_or_b64 s[28:29], s[28:29], s[30:31]
	s_and_b64 s[26:27], s[26:27], s[28:29]
	s_xor_b64 s[28:29], s[26:27], -1
                                        ; implicit-def: $vgpr79
	s_and_saveexec_b64 s[30:31], s[28:29]
	s_xor_b64 s[28:29], exec, s[30:31]
; %bb.63:                               ;   in Loop: Header=BB28_2 Depth=1
	v_lshlrev_b32_e32 v79, 2, v78
	ds_read_b32 v79, v79 offset:4
; %bb.64:                               ;   in Loop: Header=BB28_2 Depth=1
	s_or_saveexec_b64 s[28:29], s[28:29]
	v_mov_b32_e32 v80, v76
	s_xor_b64 exec, exec, s[28:29]
	s_cbranch_execz .LBB28_66
; %bb.65:                               ;   in Loop: Header=BB28_2 Depth=1
	s_waitcnt lgkmcnt(0)
	v_lshlrev_b32_e32 v79, 2, v77
	ds_read_b32 v80, v79 offset:4
	v_mov_b32_e32 v79, v75
.LBB28_66:                              ;   in Loop: Header=BB28_2 Depth=1
	s_or_b64 exec, exec, s[28:29]
	v_cndmask_b32_e64 v75, v75, v76, s[26:27]
	v_add_u32_e32 v76, 1, v77
	v_add_u32_e32 v81, 1, v78
	v_cndmask_b32_e64 v76, v77, v76, s[26:27]
	v_cndmask_b32_e64 v77, v81, v78, s[26:27]
	;; [unrolled: 1-line block ×4, first 2 shown]
	v_cmp_ge_i32_e64 s[16:17], v77, v5
	s_waitcnt lgkmcnt(0)
	v_cmp_lt_i32_e64 s[18:19], v80, v79
	v_cndmask_b32_e64 v63, v63, v64, s[14:15]
	v_cmp_lt_i32_e64 s[14:15], v76, v6
	s_or_b64 s[16:17], s[16:17], s[18:19]
	s_and_b64 s[14:15], s[14:15], s[16:17]
	v_cndmask_b32_e64 v73, v73, v74, s[24:25]
	v_cndmask_b32_e64 v71, v71, v72, s[22:23]
	;; [unrolled: 1-line block ×4, first 2 shown]
	s_barrier
	ds_write2_b32 v54, v63, v65 offset1:1
	ds_write2_b32 v54, v67, v69 offset0:2 offset1:3
	ds_write2_b32 v54, v71, v73 offset0:4 offset1:5
	;; [unrolled: 1-line block ×3, first 2 shown]
	v_mov_b32_e32 v65, v26
	s_waitcnt lgkmcnt(0)
	s_barrier
	s_and_saveexec_b64 s[16:17], s[2:3]
	s_cbranch_execz .LBB28_70
; %bb.67:                               ;   in Loop: Header=BB28_2 Depth=1
	s_mov_b64 s[18:19], 0
	v_mov_b32_e32 v65, v26
	v_mov_b32_e32 v63, v27
.LBB28_68:                              ;   Parent Loop BB28_2 Depth=1
                                        ; =>  This Inner Loop Header: Depth=2
	v_sub_u32_e32 v64, v63, v65
	v_lshrrev_b32_e32 v64, 1, v64
	v_add_u32_e32 v64, v64, v65
	v_not_b32_e32 v67, v64
	v_lshl_add_u32 v66, v64, 2, v57
	v_lshl_add_u32 v67, v67, 2, v45
	ds_read_b32 v66, v66
	ds_read_b32 v67, v67
	v_add_u32_e32 v68, 1, v64
	s_waitcnt lgkmcnt(0)
	v_cmp_lt_i32_e64 s[14:15], v67, v66
	v_cndmask_b32_e64 v63, v63, v64, s[14:15]
	v_cndmask_b32_e64 v65, v68, v65, s[14:15]
	v_cmp_ge_i32_e64 s[14:15], v65, v63
	s_or_b64 s[18:19], s[14:15], s[18:19]
	s_andn2_b64 exec, exec, s[18:19]
	s_cbranch_execnz .LBB28_68
; %bb.69:                               ;   in Loop: Header=BB28_2 Depth=1
	s_or_b64 exec, exec, s[18:19]
.LBB28_70:                              ;   in Loop: Header=BB28_2 Depth=1
	s_or_b64 exec, exec, s[16:17]
	v_sub_u32_e32 v67, v44, v65
	v_lshl_add_u32 v66, v65, 2, v57
	v_lshlrev_b32_e32 v69, 2, v67
	ds_read_b32 v63, v66
	ds_read_b32 v64, v69
	v_add_u32_e32 v68, v65, v7
	v_cmp_le_i32_e64 s[16:17], v8, v68
	v_cmp_gt_i32_e64 s[14:15], v9, v67
                                        ; implicit-def: $vgpr65
	s_waitcnt lgkmcnt(0)
	v_cmp_lt_i32_e64 s[18:19], v64, v63
	s_or_b64 s[16:17], s[16:17], s[18:19]
	s_and_b64 s[14:15], s[14:15], s[16:17]
	s_xor_b64 s[16:17], s[14:15], -1
	s_and_saveexec_b64 s[18:19], s[16:17]
	s_xor_b64 s[16:17], exec, s[18:19]
; %bb.71:                               ;   in Loop: Header=BB28_2 Depth=1
	ds_read_b32 v65, v66 offset:4
                                        ; implicit-def: $vgpr69
; %bb.72:                               ;   in Loop: Header=BB28_2 Depth=1
	s_or_saveexec_b64 s[16:17], s[16:17]
	v_mov_b32_e32 v66, v64
	s_xor_b64 exec, exec, s[16:17]
	s_cbranch_execz .LBB28_74
; %bb.73:                               ;   in Loop: Header=BB28_2 Depth=1
	ds_read_b32 v66, v69 offset:4
	s_waitcnt lgkmcnt(1)
	v_mov_b32_e32 v65, v63
.LBB28_74:                              ;   in Loop: Header=BB28_2 Depth=1
	s_or_b64 exec, exec, s[16:17]
	v_add_u32_e32 v70, 1, v68
	v_add_u32_e32 v69, 1, v67
	v_cndmask_b32_e64 v70, v70, v68, s[14:15]
	v_cndmask_b32_e64 v69, v67, v69, s[14:15]
	v_cmp_ge_i32_e64 s[18:19], v70, v8
	s_waitcnt lgkmcnt(0)
	v_cmp_lt_i32_e64 s[20:21], v66, v65
	v_cmp_lt_i32_e64 s[16:17], v69, v9
	s_or_b64 s[18:19], s[18:19], s[20:21]
	s_and_b64 s[16:17], s[16:17], s[18:19]
	s_xor_b64 s[18:19], s[16:17], -1
                                        ; implicit-def: $vgpr67
	s_and_saveexec_b64 s[20:21], s[18:19]
	s_xor_b64 s[18:19], exec, s[20:21]
; %bb.75:                               ;   in Loop: Header=BB28_2 Depth=1
	v_lshlrev_b32_e32 v67, 2, v70
	ds_read_b32 v67, v67 offset:4
; %bb.76:                               ;   in Loop: Header=BB28_2 Depth=1
	s_or_saveexec_b64 s[18:19], s[18:19]
	v_mov_b32_e32 v68, v66
	s_xor_b64 exec, exec, s[18:19]
	s_cbranch_execz .LBB28_78
; %bb.77:                               ;   in Loop: Header=BB28_2 Depth=1
	s_waitcnt lgkmcnt(0)
	v_lshlrev_b32_e32 v67, 2, v69
	ds_read_b32 v68, v67 offset:4
	v_mov_b32_e32 v67, v65
.LBB28_78:                              ;   in Loop: Header=BB28_2 Depth=1
	s_or_b64 exec, exec, s[18:19]
	v_add_u32_e32 v72, 1, v70
	v_add_u32_e32 v71, 1, v69
	v_cndmask_b32_e64 v72, v72, v70, s[16:17]
	v_cndmask_b32_e64 v71, v69, v71, s[16:17]
	v_cmp_ge_i32_e64 s[20:21], v72, v8
	s_waitcnt lgkmcnt(0)
	v_cmp_lt_i32_e64 s[22:23], v68, v67
	v_cmp_lt_i32_e64 s[18:19], v71, v9
	s_or_b64 s[20:21], s[20:21], s[22:23]
	s_and_b64 s[18:19], s[18:19], s[20:21]
	s_xor_b64 s[20:21], s[18:19], -1
                                        ; implicit-def: $vgpr69
	s_and_saveexec_b64 s[22:23], s[20:21]
	s_xor_b64 s[20:21], exec, s[22:23]
; %bb.79:                               ;   in Loop: Header=BB28_2 Depth=1
	v_lshlrev_b32_e32 v69, 2, v72
	ds_read_b32 v69, v69 offset:4
; %bb.80:                               ;   in Loop: Header=BB28_2 Depth=1
	s_or_saveexec_b64 s[20:21], s[20:21]
	v_mov_b32_e32 v70, v68
	s_xor_b64 exec, exec, s[20:21]
	s_cbranch_execz .LBB28_82
; %bb.81:                               ;   in Loop: Header=BB28_2 Depth=1
	s_waitcnt lgkmcnt(0)
	v_lshlrev_b32_e32 v69, 2, v71
	ds_read_b32 v70, v69 offset:4
	v_mov_b32_e32 v69, v67
.LBB28_82:                              ;   in Loop: Header=BB28_2 Depth=1
	s_or_b64 exec, exec, s[20:21]
	v_add_u32_e32 v74, 1, v72
	v_add_u32_e32 v73, 1, v71
	v_cndmask_b32_e64 v74, v74, v72, s[18:19]
	v_cndmask_b32_e64 v73, v71, v73, s[18:19]
	v_cmp_ge_i32_e64 s[22:23], v74, v8
	s_waitcnt lgkmcnt(0)
	v_cmp_lt_i32_e64 s[24:25], v70, v69
	v_cmp_lt_i32_e64 s[20:21], v73, v9
	s_or_b64 s[22:23], s[22:23], s[24:25]
	s_and_b64 s[20:21], s[20:21], s[22:23]
	s_xor_b64 s[22:23], s[20:21], -1
                                        ; implicit-def: $vgpr71
	s_and_saveexec_b64 s[24:25], s[22:23]
	s_xor_b64 s[22:23], exec, s[24:25]
; %bb.83:                               ;   in Loop: Header=BB28_2 Depth=1
	v_lshlrev_b32_e32 v71, 2, v74
	ds_read_b32 v71, v71 offset:4
; %bb.84:                               ;   in Loop: Header=BB28_2 Depth=1
	s_or_saveexec_b64 s[22:23], s[22:23]
	v_mov_b32_e32 v72, v70
	s_xor_b64 exec, exec, s[22:23]
	s_cbranch_execz .LBB28_86
; %bb.85:                               ;   in Loop: Header=BB28_2 Depth=1
	s_waitcnt lgkmcnt(0)
	v_lshlrev_b32_e32 v71, 2, v73
	ds_read_b32 v72, v71 offset:4
	v_mov_b32_e32 v71, v69
.LBB28_86:                              ;   in Loop: Header=BB28_2 Depth=1
	s_or_b64 exec, exec, s[22:23]
	v_add_u32_e32 v76, 1, v74
	v_add_u32_e32 v75, 1, v73
	v_cndmask_b32_e64 v76, v76, v74, s[20:21]
	v_cndmask_b32_e64 v75, v73, v75, s[20:21]
	v_cmp_ge_i32_e64 s[24:25], v76, v8
	s_waitcnt lgkmcnt(0)
	v_cmp_lt_i32_e64 s[26:27], v72, v71
	v_cmp_lt_i32_e64 s[22:23], v75, v9
	s_or_b64 s[24:25], s[24:25], s[26:27]
	s_and_b64 s[22:23], s[22:23], s[24:25]
	s_xor_b64 s[24:25], s[22:23], -1
                                        ; implicit-def: $vgpr73
	s_and_saveexec_b64 s[26:27], s[24:25]
	s_xor_b64 s[24:25], exec, s[26:27]
; %bb.87:                               ;   in Loop: Header=BB28_2 Depth=1
	v_lshlrev_b32_e32 v73, 2, v76
	ds_read_b32 v73, v73 offset:4
; %bb.88:                               ;   in Loop: Header=BB28_2 Depth=1
	s_or_saveexec_b64 s[24:25], s[24:25]
	v_mov_b32_e32 v74, v72
	s_xor_b64 exec, exec, s[24:25]
	s_cbranch_execz .LBB28_90
; %bb.89:                               ;   in Loop: Header=BB28_2 Depth=1
	s_waitcnt lgkmcnt(0)
	v_lshlrev_b32_e32 v73, 2, v75
	ds_read_b32 v74, v73 offset:4
	v_mov_b32_e32 v73, v71
.LBB28_90:                              ;   in Loop: Header=BB28_2 Depth=1
	s_or_b64 exec, exec, s[24:25]
	v_add_u32_e32 v78, 1, v76
	v_add_u32_e32 v77, 1, v75
	v_cndmask_b32_e64 v78, v78, v76, s[22:23]
	v_cndmask_b32_e64 v77, v75, v77, s[22:23]
	v_cmp_ge_i32_e64 s[26:27], v78, v8
	s_waitcnt lgkmcnt(0)
	v_cmp_lt_i32_e64 s[28:29], v74, v73
	v_cmp_lt_i32_e64 s[24:25], v77, v9
	s_or_b64 s[26:27], s[26:27], s[28:29]
	s_and_b64 s[24:25], s[24:25], s[26:27]
	s_xor_b64 s[26:27], s[24:25], -1
                                        ; implicit-def: $vgpr75
	s_and_saveexec_b64 s[28:29], s[26:27]
	s_xor_b64 s[26:27], exec, s[28:29]
; %bb.91:                               ;   in Loop: Header=BB28_2 Depth=1
	v_lshlrev_b32_e32 v75, 2, v78
	ds_read_b32 v75, v75 offset:4
; %bb.92:                               ;   in Loop: Header=BB28_2 Depth=1
	s_or_saveexec_b64 s[26:27], s[26:27]
	v_mov_b32_e32 v76, v74
	s_xor_b64 exec, exec, s[26:27]
	s_cbranch_execz .LBB28_94
; %bb.93:                               ;   in Loop: Header=BB28_2 Depth=1
	s_waitcnt lgkmcnt(0)
	v_lshlrev_b32_e32 v75, 2, v77
	ds_read_b32 v76, v75 offset:4
	v_mov_b32_e32 v75, v73
.LBB28_94:                              ;   in Loop: Header=BB28_2 Depth=1
	s_or_b64 exec, exec, s[26:27]
	v_add_u32_e32 v80, 1, v78
	v_add_u32_e32 v79, 1, v77
	v_cndmask_b32_e64 v78, v80, v78, s[24:25]
	v_cndmask_b32_e64 v77, v77, v79, s[24:25]
	v_cmp_ge_i32_e64 s[28:29], v78, v8
	s_waitcnt lgkmcnt(0)
	v_cmp_lt_i32_e64 s[30:31], v76, v75
	v_cmp_lt_i32_e64 s[26:27], v77, v9
	s_or_b64 s[28:29], s[28:29], s[30:31]
	s_and_b64 s[26:27], s[26:27], s[28:29]
	s_xor_b64 s[28:29], s[26:27], -1
                                        ; implicit-def: $vgpr79
	s_and_saveexec_b64 s[30:31], s[28:29]
	s_xor_b64 s[28:29], exec, s[30:31]
; %bb.95:                               ;   in Loop: Header=BB28_2 Depth=1
	v_lshlrev_b32_e32 v79, 2, v78
	ds_read_b32 v79, v79 offset:4
; %bb.96:                               ;   in Loop: Header=BB28_2 Depth=1
	s_or_saveexec_b64 s[28:29], s[28:29]
	v_mov_b32_e32 v80, v76
	s_xor_b64 exec, exec, s[28:29]
	s_cbranch_execz .LBB28_98
; %bb.97:                               ;   in Loop: Header=BB28_2 Depth=1
	s_waitcnt lgkmcnt(0)
	v_lshlrev_b32_e32 v79, 2, v77
	ds_read_b32 v80, v79 offset:4
	v_mov_b32_e32 v79, v75
.LBB28_98:                              ;   in Loop: Header=BB28_2 Depth=1
	s_or_b64 exec, exec, s[28:29]
	v_cndmask_b32_e64 v75, v75, v76, s[26:27]
	v_add_u32_e32 v76, 1, v77
	v_add_u32_e32 v81, 1, v78
	v_cndmask_b32_e64 v76, v77, v76, s[26:27]
	v_cndmask_b32_e64 v77, v81, v78, s[26:27]
	;; [unrolled: 1-line block ×4, first 2 shown]
	v_cmp_ge_i32_e64 s[16:17], v77, v8
	s_waitcnt lgkmcnt(0)
	v_cmp_lt_i32_e64 s[18:19], v80, v79
	v_cndmask_b32_e64 v63, v63, v64, s[14:15]
	v_cmp_lt_i32_e64 s[14:15], v76, v9
	s_or_b64 s[16:17], s[16:17], s[18:19]
	s_and_b64 s[14:15], s[14:15], s[16:17]
	v_cndmask_b32_e64 v73, v73, v74, s[24:25]
	v_cndmask_b32_e64 v71, v71, v72, s[22:23]
	;; [unrolled: 1-line block ×4, first 2 shown]
	s_barrier
	ds_write2_b32 v54, v63, v65 offset1:1
	ds_write2_b32 v54, v67, v69 offset0:2 offset1:3
	ds_write2_b32 v54, v71, v73 offset0:4 offset1:5
	;; [unrolled: 1-line block ×3, first 2 shown]
	v_mov_b32_e32 v65, v28
	s_waitcnt lgkmcnt(0)
	s_barrier
	s_and_saveexec_b64 s[16:17], s[4:5]
	s_cbranch_execz .LBB28_102
; %bb.99:                               ;   in Loop: Header=BB28_2 Depth=1
	s_mov_b64 s[18:19], 0
	v_mov_b32_e32 v65, v28
	v_mov_b32_e32 v63, v29
.LBB28_100:                             ;   Parent Loop BB28_2 Depth=1
                                        ; =>  This Inner Loop Header: Depth=2
	v_sub_u32_e32 v64, v63, v65
	v_lshrrev_b32_e32 v64, 1, v64
	v_add_u32_e32 v64, v64, v65
	v_not_b32_e32 v67, v64
	v_lshl_add_u32 v66, v64, 2, v58
	v_lshl_add_u32 v67, v67, 2, v47
	ds_read_b32 v66, v66
	ds_read_b32 v67, v67
	v_add_u32_e32 v68, 1, v64
	s_waitcnt lgkmcnt(0)
	v_cmp_lt_i32_e64 s[14:15], v67, v66
	v_cndmask_b32_e64 v63, v63, v64, s[14:15]
	v_cndmask_b32_e64 v65, v68, v65, s[14:15]
	v_cmp_ge_i32_e64 s[14:15], v65, v63
	s_or_b64 s[18:19], s[14:15], s[18:19]
	s_andn2_b64 exec, exec, s[18:19]
	s_cbranch_execnz .LBB28_100
; %bb.101:                              ;   in Loop: Header=BB28_2 Depth=1
	s_or_b64 exec, exec, s[18:19]
.LBB28_102:                             ;   in Loop: Header=BB28_2 Depth=1
	s_or_b64 exec, exec, s[16:17]
	v_sub_u32_e32 v67, v46, v65
	v_lshl_add_u32 v66, v65, 2, v58
	v_lshlrev_b32_e32 v69, 2, v67
	ds_read_b32 v63, v66
	ds_read_b32 v64, v69
	v_add_u32_e32 v68, v65, v10
	v_cmp_le_i32_e64 s[16:17], v11, v68
	v_cmp_gt_i32_e64 s[14:15], v12, v67
                                        ; implicit-def: $vgpr65
	s_waitcnt lgkmcnt(0)
	v_cmp_lt_i32_e64 s[18:19], v64, v63
	s_or_b64 s[16:17], s[16:17], s[18:19]
	s_and_b64 s[14:15], s[14:15], s[16:17]
	s_xor_b64 s[16:17], s[14:15], -1
	s_and_saveexec_b64 s[18:19], s[16:17]
	s_xor_b64 s[16:17], exec, s[18:19]
; %bb.103:                              ;   in Loop: Header=BB28_2 Depth=1
	ds_read_b32 v65, v66 offset:4
                                        ; implicit-def: $vgpr69
; %bb.104:                              ;   in Loop: Header=BB28_2 Depth=1
	s_or_saveexec_b64 s[16:17], s[16:17]
	v_mov_b32_e32 v66, v64
	s_xor_b64 exec, exec, s[16:17]
	s_cbranch_execz .LBB28_106
; %bb.105:                              ;   in Loop: Header=BB28_2 Depth=1
	ds_read_b32 v66, v69 offset:4
	s_waitcnt lgkmcnt(1)
	v_mov_b32_e32 v65, v63
.LBB28_106:                             ;   in Loop: Header=BB28_2 Depth=1
	s_or_b64 exec, exec, s[16:17]
	v_add_u32_e32 v70, 1, v68
	v_add_u32_e32 v69, 1, v67
	v_cndmask_b32_e64 v70, v70, v68, s[14:15]
	v_cndmask_b32_e64 v69, v67, v69, s[14:15]
	v_cmp_ge_i32_e64 s[18:19], v70, v11
	s_waitcnt lgkmcnt(0)
	v_cmp_lt_i32_e64 s[20:21], v66, v65
	v_cmp_lt_i32_e64 s[16:17], v69, v12
	s_or_b64 s[18:19], s[18:19], s[20:21]
	s_and_b64 s[16:17], s[16:17], s[18:19]
	s_xor_b64 s[18:19], s[16:17], -1
                                        ; implicit-def: $vgpr67
	s_and_saveexec_b64 s[20:21], s[18:19]
	s_xor_b64 s[18:19], exec, s[20:21]
; %bb.107:                              ;   in Loop: Header=BB28_2 Depth=1
	v_lshlrev_b32_e32 v67, 2, v70
	ds_read_b32 v67, v67 offset:4
; %bb.108:                              ;   in Loop: Header=BB28_2 Depth=1
	s_or_saveexec_b64 s[18:19], s[18:19]
	v_mov_b32_e32 v68, v66
	s_xor_b64 exec, exec, s[18:19]
	s_cbranch_execz .LBB28_110
; %bb.109:                              ;   in Loop: Header=BB28_2 Depth=1
	s_waitcnt lgkmcnt(0)
	v_lshlrev_b32_e32 v67, 2, v69
	ds_read_b32 v68, v67 offset:4
	v_mov_b32_e32 v67, v65
.LBB28_110:                             ;   in Loop: Header=BB28_2 Depth=1
	s_or_b64 exec, exec, s[18:19]
	v_add_u32_e32 v72, 1, v70
	v_add_u32_e32 v71, 1, v69
	v_cndmask_b32_e64 v72, v72, v70, s[16:17]
	v_cndmask_b32_e64 v71, v69, v71, s[16:17]
	v_cmp_ge_i32_e64 s[20:21], v72, v11
	s_waitcnt lgkmcnt(0)
	v_cmp_lt_i32_e64 s[22:23], v68, v67
	v_cmp_lt_i32_e64 s[18:19], v71, v12
	s_or_b64 s[20:21], s[20:21], s[22:23]
	s_and_b64 s[18:19], s[18:19], s[20:21]
	s_xor_b64 s[20:21], s[18:19], -1
                                        ; implicit-def: $vgpr69
	s_and_saveexec_b64 s[22:23], s[20:21]
	s_xor_b64 s[20:21], exec, s[22:23]
; %bb.111:                              ;   in Loop: Header=BB28_2 Depth=1
	v_lshlrev_b32_e32 v69, 2, v72
	ds_read_b32 v69, v69 offset:4
; %bb.112:                              ;   in Loop: Header=BB28_2 Depth=1
	s_or_saveexec_b64 s[20:21], s[20:21]
	v_mov_b32_e32 v70, v68
	s_xor_b64 exec, exec, s[20:21]
	s_cbranch_execz .LBB28_114
; %bb.113:                              ;   in Loop: Header=BB28_2 Depth=1
	s_waitcnt lgkmcnt(0)
	v_lshlrev_b32_e32 v69, 2, v71
	ds_read_b32 v70, v69 offset:4
	v_mov_b32_e32 v69, v67
.LBB28_114:                             ;   in Loop: Header=BB28_2 Depth=1
	s_or_b64 exec, exec, s[20:21]
	v_add_u32_e32 v74, 1, v72
	v_add_u32_e32 v73, 1, v71
	v_cndmask_b32_e64 v74, v74, v72, s[18:19]
	v_cndmask_b32_e64 v73, v71, v73, s[18:19]
	v_cmp_ge_i32_e64 s[22:23], v74, v11
	s_waitcnt lgkmcnt(0)
	v_cmp_lt_i32_e64 s[24:25], v70, v69
	v_cmp_lt_i32_e64 s[20:21], v73, v12
	s_or_b64 s[22:23], s[22:23], s[24:25]
	s_and_b64 s[20:21], s[20:21], s[22:23]
	s_xor_b64 s[22:23], s[20:21], -1
                                        ; implicit-def: $vgpr71
	s_and_saveexec_b64 s[24:25], s[22:23]
	s_xor_b64 s[22:23], exec, s[24:25]
; %bb.115:                              ;   in Loop: Header=BB28_2 Depth=1
	v_lshlrev_b32_e32 v71, 2, v74
	ds_read_b32 v71, v71 offset:4
; %bb.116:                              ;   in Loop: Header=BB28_2 Depth=1
	s_or_saveexec_b64 s[22:23], s[22:23]
	v_mov_b32_e32 v72, v70
	s_xor_b64 exec, exec, s[22:23]
	s_cbranch_execz .LBB28_118
; %bb.117:                              ;   in Loop: Header=BB28_2 Depth=1
	s_waitcnt lgkmcnt(0)
	v_lshlrev_b32_e32 v71, 2, v73
	ds_read_b32 v72, v71 offset:4
	v_mov_b32_e32 v71, v69
.LBB28_118:                             ;   in Loop: Header=BB28_2 Depth=1
	s_or_b64 exec, exec, s[22:23]
	v_add_u32_e32 v76, 1, v74
	v_add_u32_e32 v75, 1, v73
	v_cndmask_b32_e64 v76, v76, v74, s[20:21]
	v_cndmask_b32_e64 v75, v73, v75, s[20:21]
	v_cmp_ge_i32_e64 s[24:25], v76, v11
	s_waitcnt lgkmcnt(0)
	v_cmp_lt_i32_e64 s[26:27], v72, v71
	v_cmp_lt_i32_e64 s[22:23], v75, v12
	s_or_b64 s[24:25], s[24:25], s[26:27]
	s_and_b64 s[22:23], s[22:23], s[24:25]
	s_xor_b64 s[24:25], s[22:23], -1
                                        ; implicit-def: $vgpr73
	s_and_saveexec_b64 s[26:27], s[24:25]
	s_xor_b64 s[24:25], exec, s[26:27]
; %bb.119:                              ;   in Loop: Header=BB28_2 Depth=1
	v_lshlrev_b32_e32 v73, 2, v76
	ds_read_b32 v73, v73 offset:4
; %bb.120:                              ;   in Loop: Header=BB28_2 Depth=1
	s_or_saveexec_b64 s[24:25], s[24:25]
	v_mov_b32_e32 v74, v72
	s_xor_b64 exec, exec, s[24:25]
	s_cbranch_execz .LBB28_122
; %bb.121:                              ;   in Loop: Header=BB28_2 Depth=1
	s_waitcnt lgkmcnt(0)
	v_lshlrev_b32_e32 v73, 2, v75
	ds_read_b32 v74, v73 offset:4
	v_mov_b32_e32 v73, v71
.LBB28_122:                             ;   in Loop: Header=BB28_2 Depth=1
	s_or_b64 exec, exec, s[24:25]
	v_add_u32_e32 v78, 1, v76
	v_add_u32_e32 v77, 1, v75
	v_cndmask_b32_e64 v78, v78, v76, s[22:23]
	v_cndmask_b32_e64 v77, v75, v77, s[22:23]
	v_cmp_ge_i32_e64 s[26:27], v78, v11
	s_waitcnt lgkmcnt(0)
	v_cmp_lt_i32_e64 s[28:29], v74, v73
	v_cmp_lt_i32_e64 s[24:25], v77, v12
	s_or_b64 s[26:27], s[26:27], s[28:29]
	s_and_b64 s[24:25], s[24:25], s[26:27]
	s_xor_b64 s[26:27], s[24:25], -1
                                        ; implicit-def: $vgpr75
	s_and_saveexec_b64 s[28:29], s[26:27]
	s_xor_b64 s[26:27], exec, s[28:29]
; %bb.123:                              ;   in Loop: Header=BB28_2 Depth=1
	v_lshlrev_b32_e32 v75, 2, v78
	ds_read_b32 v75, v75 offset:4
; %bb.124:                              ;   in Loop: Header=BB28_2 Depth=1
	s_or_saveexec_b64 s[26:27], s[26:27]
	v_mov_b32_e32 v76, v74
	s_xor_b64 exec, exec, s[26:27]
	s_cbranch_execz .LBB28_126
; %bb.125:                              ;   in Loop: Header=BB28_2 Depth=1
	s_waitcnt lgkmcnt(0)
	v_lshlrev_b32_e32 v75, 2, v77
	ds_read_b32 v76, v75 offset:4
	v_mov_b32_e32 v75, v73
.LBB28_126:                             ;   in Loop: Header=BB28_2 Depth=1
	s_or_b64 exec, exec, s[26:27]
	v_add_u32_e32 v80, 1, v78
	v_add_u32_e32 v79, 1, v77
	v_cndmask_b32_e64 v78, v80, v78, s[24:25]
	v_cndmask_b32_e64 v77, v77, v79, s[24:25]
	v_cmp_ge_i32_e64 s[28:29], v78, v11
	s_waitcnt lgkmcnt(0)
	v_cmp_lt_i32_e64 s[30:31], v76, v75
	v_cmp_lt_i32_e64 s[26:27], v77, v12
	s_or_b64 s[28:29], s[28:29], s[30:31]
	s_and_b64 s[26:27], s[26:27], s[28:29]
	s_xor_b64 s[28:29], s[26:27], -1
                                        ; implicit-def: $vgpr79
	s_and_saveexec_b64 s[30:31], s[28:29]
	s_xor_b64 s[28:29], exec, s[30:31]
; %bb.127:                              ;   in Loop: Header=BB28_2 Depth=1
	v_lshlrev_b32_e32 v79, 2, v78
	ds_read_b32 v79, v79 offset:4
; %bb.128:                              ;   in Loop: Header=BB28_2 Depth=1
	s_or_saveexec_b64 s[28:29], s[28:29]
	v_mov_b32_e32 v80, v76
	s_xor_b64 exec, exec, s[28:29]
	s_cbranch_execz .LBB28_130
; %bb.129:                              ;   in Loop: Header=BB28_2 Depth=1
	s_waitcnt lgkmcnt(0)
	v_lshlrev_b32_e32 v79, 2, v77
	ds_read_b32 v80, v79 offset:4
	v_mov_b32_e32 v79, v75
.LBB28_130:                             ;   in Loop: Header=BB28_2 Depth=1
	s_or_b64 exec, exec, s[28:29]
	v_cndmask_b32_e64 v75, v75, v76, s[26:27]
	v_add_u32_e32 v76, 1, v77
	v_add_u32_e32 v81, 1, v78
	v_cndmask_b32_e64 v76, v77, v76, s[26:27]
	v_cndmask_b32_e64 v77, v81, v78, s[26:27]
	;; [unrolled: 1-line block ×4, first 2 shown]
	v_cmp_ge_i32_e64 s[16:17], v77, v11
	s_waitcnt lgkmcnt(0)
	v_cmp_lt_i32_e64 s[18:19], v80, v79
	v_cndmask_b32_e64 v63, v63, v64, s[14:15]
	v_cmp_lt_i32_e64 s[14:15], v76, v12
	s_or_b64 s[16:17], s[16:17], s[18:19]
	s_and_b64 s[14:15], s[14:15], s[16:17]
	v_cndmask_b32_e64 v73, v73, v74, s[24:25]
	v_cndmask_b32_e64 v71, v71, v72, s[22:23]
	;; [unrolled: 1-line block ×4, first 2 shown]
	s_barrier
	ds_write2_b32 v54, v63, v65 offset1:1
	ds_write2_b32 v54, v67, v69 offset0:2 offset1:3
	ds_write2_b32 v54, v71, v73 offset0:4 offset1:5
	;; [unrolled: 1-line block ×3, first 2 shown]
	v_mov_b32_e32 v65, v30
	s_waitcnt lgkmcnt(0)
	s_barrier
	s_and_saveexec_b64 s[16:17], s[6:7]
	s_cbranch_execz .LBB28_134
; %bb.131:                              ;   in Loop: Header=BB28_2 Depth=1
	s_mov_b64 s[18:19], 0
	v_mov_b32_e32 v65, v30
	v_mov_b32_e32 v63, v31
.LBB28_132:                             ;   Parent Loop BB28_2 Depth=1
                                        ; =>  This Inner Loop Header: Depth=2
	v_sub_u32_e32 v64, v63, v65
	v_lshrrev_b32_e32 v64, 1, v64
	v_add_u32_e32 v64, v64, v65
	v_not_b32_e32 v67, v64
	v_lshl_add_u32 v66, v64, 2, v59
	v_lshl_add_u32 v67, v67, 2, v49
	ds_read_b32 v66, v66
	ds_read_b32 v67, v67
	v_add_u32_e32 v68, 1, v64
	s_waitcnt lgkmcnt(0)
	v_cmp_lt_i32_e64 s[14:15], v67, v66
	v_cndmask_b32_e64 v63, v63, v64, s[14:15]
	v_cndmask_b32_e64 v65, v68, v65, s[14:15]
	v_cmp_ge_i32_e64 s[14:15], v65, v63
	s_or_b64 s[18:19], s[14:15], s[18:19]
	s_andn2_b64 exec, exec, s[18:19]
	s_cbranch_execnz .LBB28_132
; %bb.133:                              ;   in Loop: Header=BB28_2 Depth=1
	s_or_b64 exec, exec, s[18:19]
.LBB28_134:                             ;   in Loop: Header=BB28_2 Depth=1
	s_or_b64 exec, exec, s[16:17]
	v_sub_u32_e32 v67, v48, v65
	v_lshl_add_u32 v66, v65, 2, v59
	v_lshlrev_b32_e32 v69, 2, v67
	ds_read_b32 v63, v66
	ds_read_b32 v64, v69
	v_add_u32_e32 v68, v65, v13
	v_cmp_le_i32_e64 s[16:17], v14, v68
	v_cmp_gt_i32_e64 s[14:15], v15, v67
                                        ; implicit-def: $vgpr65
	s_waitcnt lgkmcnt(0)
	v_cmp_lt_i32_e64 s[18:19], v64, v63
	s_or_b64 s[16:17], s[16:17], s[18:19]
	s_and_b64 s[14:15], s[14:15], s[16:17]
	s_xor_b64 s[16:17], s[14:15], -1
	s_and_saveexec_b64 s[18:19], s[16:17]
	s_xor_b64 s[16:17], exec, s[18:19]
; %bb.135:                              ;   in Loop: Header=BB28_2 Depth=1
	ds_read_b32 v65, v66 offset:4
                                        ; implicit-def: $vgpr69
; %bb.136:                              ;   in Loop: Header=BB28_2 Depth=1
	s_or_saveexec_b64 s[16:17], s[16:17]
	v_mov_b32_e32 v66, v64
	s_xor_b64 exec, exec, s[16:17]
	s_cbranch_execz .LBB28_138
; %bb.137:                              ;   in Loop: Header=BB28_2 Depth=1
	ds_read_b32 v66, v69 offset:4
	s_waitcnt lgkmcnt(1)
	v_mov_b32_e32 v65, v63
.LBB28_138:                             ;   in Loop: Header=BB28_2 Depth=1
	s_or_b64 exec, exec, s[16:17]
	v_add_u32_e32 v70, 1, v68
	v_add_u32_e32 v69, 1, v67
	v_cndmask_b32_e64 v70, v70, v68, s[14:15]
	v_cndmask_b32_e64 v69, v67, v69, s[14:15]
	v_cmp_ge_i32_e64 s[18:19], v70, v14
	s_waitcnt lgkmcnt(0)
	v_cmp_lt_i32_e64 s[20:21], v66, v65
	v_cmp_lt_i32_e64 s[16:17], v69, v15
	s_or_b64 s[18:19], s[18:19], s[20:21]
	s_and_b64 s[16:17], s[16:17], s[18:19]
	s_xor_b64 s[18:19], s[16:17], -1
                                        ; implicit-def: $vgpr67
	s_and_saveexec_b64 s[20:21], s[18:19]
	s_xor_b64 s[18:19], exec, s[20:21]
; %bb.139:                              ;   in Loop: Header=BB28_2 Depth=1
	v_lshlrev_b32_e32 v67, 2, v70
	ds_read_b32 v67, v67 offset:4
; %bb.140:                              ;   in Loop: Header=BB28_2 Depth=1
	s_or_saveexec_b64 s[18:19], s[18:19]
	v_mov_b32_e32 v68, v66
	s_xor_b64 exec, exec, s[18:19]
	s_cbranch_execz .LBB28_142
; %bb.141:                              ;   in Loop: Header=BB28_2 Depth=1
	s_waitcnt lgkmcnt(0)
	v_lshlrev_b32_e32 v67, 2, v69
	ds_read_b32 v68, v67 offset:4
	v_mov_b32_e32 v67, v65
.LBB28_142:                             ;   in Loop: Header=BB28_2 Depth=1
	s_or_b64 exec, exec, s[18:19]
	v_add_u32_e32 v72, 1, v70
	v_add_u32_e32 v71, 1, v69
	v_cndmask_b32_e64 v72, v72, v70, s[16:17]
	v_cndmask_b32_e64 v71, v69, v71, s[16:17]
	v_cmp_ge_i32_e64 s[20:21], v72, v14
	s_waitcnt lgkmcnt(0)
	v_cmp_lt_i32_e64 s[22:23], v68, v67
	v_cmp_lt_i32_e64 s[18:19], v71, v15
	s_or_b64 s[20:21], s[20:21], s[22:23]
	s_and_b64 s[18:19], s[18:19], s[20:21]
	s_xor_b64 s[20:21], s[18:19], -1
                                        ; implicit-def: $vgpr69
	s_and_saveexec_b64 s[22:23], s[20:21]
	s_xor_b64 s[20:21], exec, s[22:23]
; %bb.143:                              ;   in Loop: Header=BB28_2 Depth=1
	v_lshlrev_b32_e32 v69, 2, v72
	ds_read_b32 v69, v69 offset:4
; %bb.144:                              ;   in Loop: Header=BB28_2 Depth=1
	s_or_saveexec_b64 s[20:21], s[20:21]
	v_mov_b32_e32 v70, v68
	s_xor_b64 exec, exec, s[20:21]
	s_cbranch_execz .LBB28_146
; %bb.145:                              ;   in Loop: Header=BB28_2 Depth=1
	s_waitcnt lgkmcnt(0)
	v_lshlrev_b32_e32 v69, 2, v71
	ds_read_b32 v70, v69 offset:4
	v_mov_b32_e32 v69, v67
.LBB28_146:                             ;   in Loop: Header=BB28_2 Depth=1
	s_or_b64 exec, exec, s[20:21]
	v_add_u32_e32 v74, 1, v72
	v_add_u32_e32 v73, 1, v71
	v_cndmask_b32_e64 v74, v74, v72, s[18:19]
	v_cndmask_b32_e64 v73, v71, v73, s[18:19]
	v_cmp_ge_i32_e64 s[22:23], v74, v14
	s_waitcnt lgkmcnt(0)
	v_cmp_lt_i32_e64 s[24:25], v70, v69
	v_cmp_lt_i32_e64 s[20:21], v73, v15
	s_or_b64 s[22:23], s[22:23], s[24:25]
	s_and_b64 s[20:21], s[20:21], s[22:23]
	s_xor_b64 s[22:23], s[20:21], -1
                                        ; implicit-def: $vgpr71
	s_and_saveexec_b64 s[24:25], s[22:23]
	s_xor_b64 s[22:23], exec, s[24:25]
; %bb.147:                              ;   in Loop: Header=BB28_2 Depth=1
	v_lshlrev_b32_e32 v71, 2, v74
	ds_read_b32 v71, v71 offset:4
; %bb.148:                              ;   in Loop: Header=BB28_2 Depth=1
	s_or_saveexec_b64 s[22:23], s[22:23]
	v_mov_b32_e32 v72, v70
	s_xor_b64 exec, exec, s[22:23]
	s_cbranch_execz .LBB28_150
; %bb.149:                              ;   in Loop: Header=BB28_2 Depth=1
	s_waitcnt lgkmcnt(0)
	v_lshlrev_b32_e32 v71, 2, v73
	ds_read_b32 v72, v71 offset:4
	v_mov_b32_e32 v71, v69
.LBB28_150:                             ;   in Loop: Header=BB28_2 Depth=1
	s_or_b64 exec, exec, s[22:23]
	v_add_u32_e32 v76, 1, v74
	v_add_u32_e32 v75, 1, v73
	v_cndmask_b32_e64 v76, v76, v74, s[20:21]
	v_cndmask_b32_e64 v75, v73, v75, s[20:21]
	v_cmp_ge_i32_e64 s[24:25], v76, v14
	s_waitcnt lgkmcnt(0)
	v_cmp_lt_i32_e64 s[26:27], v72, v71
	v_cmp_lt_i32_e64 s[22:23], v75, v15
	s_or_b64 s[24:25], s[24:25], s[26:27]
	s_and_b64 s[22:23], s[22:23], s[24:25]
	s_xor_b64 s[24:25], s[22:23], -1
                                        ; implicit-def: $vgpr73
	s_and_saveexec_b64 s[26:27], s[24:25]
	s_xor_b64 s[24:25], exec, s[26:27]
; %bb.151:                              ;   in Loop: Header=BB28_2 Depth=1
	v_lshlrev_b32_e32 v73, 2, v76
	ds_read_b32 v73, v73 offset:4
; %bb.152:                              ;   in Loop: Header=BB28_2 Depth=1
	s_or_saveexec_b64 s[24:25], s[24:25]
	v_mov_b32_e32 v74, v72
	s_xor_b64 exec, exec, s[24:25]
	s_cbranch_execz .LBB28_154
; %bb.153:                              ;   in Loop: Header=BB28_2 Depth=1
	s_waitcnt lgkmcnt(0)
	v_lshlrev_b32_e32 v73, 2, v75
	ds_read_b32 v74, v73 offset:4
	v_mov_b32_e32 v73, v71
.LBB28_154:                             ;   in Loop: Header=BB28_2 Depth=1
	s_or_b64 exec, exec, s[24:25]
	v_add_u32_e32 v78, 1, v76
	v_add_u32_e32 v77, 1, v75
	v_cndmask_b32_e64 v78, v78, v76, s[22:23]
	v_cndmask_b32_e64 v77, v75, v77, s[22:23]
	v_cmp_ge_i32_e64 s[26:27], v78, v14
	s_waitcnt lgkmcnt(0)
	v_cmp_lt_i32_e64 s[28:29], v74, v73
	v_cmp_lt_i32_e64 s[24:25], v77, v15
	s_or_b64 s[26:27], s[26:27], s[28:29]
	s_and_b64 s[24:25], s[24:25], s[26:27]
	s_xor_b64 s[26:27], s[24:25], -1
                                        ; implicit-def: $vgpr75
	s_and_saveexec_b64 s[28:29], s[26:27]
	s_xor_b64 s[26:27], exec, s[28:29]
; %bb.155:                              ;   in Loop: Header=BB28_2 Depth=1
	v_lshlrev_b32_e32 v75, 2, v78
	ds_read_b32 v75, v75 offset:4
; %bb.156:                              ;   in Loop: Header=BB28_2 Depth=1
	s_or_saveexec_b64 s[26:27], s[26:27]
	v_mov_b32_e32 v76, v74
	s_xor_b64 exec, exec, s[26:27]
	s_cbranch_execz .LBB28_158
; %bb.157:                              ;   in Loop: Header=BB28_2 Depth=1
	s_waitcnt lgkmcnt(0)
	v_lshlrev_b32_e32 v75, 2, v77
	ds_read_b32 v76, v75 offset:4
	v_mov_b32_e32 v75, v73
.LBB28_158:                             ;   in Loop: Header=BB28_2 Depth=1
	s_or_b64 exec, exec, s[26:27]
	v_add_u32_e32 v80, 1, v78
	v_add_u32_e32 v79, 1, v77
	v_cndmask_b32_e64 v78, v80, v78, s[24:25]
	v_cndmask_b32_e64 v77, v77, v79, s[24:25]
	v_cmp_ge_i32_e64 s[28:29], v78, v14
	s_waitcnt lgkmcnt(0)
	v_cmp_lt_i32_e64 s[30:31], v76, v75
	v_cmp_lt_i32_e64 s[26:27], v77, v15
	s_or_b64 s[28:29], s[28:29], s[30:31]
	s_and_b64 s[26:27], s[26:27], s[28:29]
	s_xor_b64 s[28:29], s[26:27], -1
                                        ; implicit-def: $vgpr79
	s_and_saveexec_b64 s[30:31], s[28:29]
	s_xor_b64 s[28:29], exec, s[30:31]
; %bb.159:                              ;   in Loop: Header=BB28_2 Depth=1
	v_lshlrev_b32_e32 v79, 2, v78
	ds_read_b32 v79, v79 offset:4
; %bb.160:                              ;   in Loop: Header=BB28_2 Depth=1
	s_or_saveexec_b64 s[28:29], s[28:29]
	v_mov_b32_e32 v80, v76
	s_xor_b64 exec, exec, s[28:29]
	s_cbranch_execz .LBB28_162
; %bb.161:                              ;   in Loop: Header=BB28_2 Depth=1
	s_waitcnt lgkmcnt(0)
	v_lshlrev_b32_e32 v79, 2, v77
	ds_read_b32 v80, v79 offset:4
	v_mov_b32_e32 v79, v75
.LBB28_162:                             ;   in Loop: Header=BB28_2 Depth=1
	s_or_b64 exec, exec, s[28:29]
	v_cndmask_b32_e64 v75, v75, v76, s[26:27]
	v_add_u32_e32 v76, 1, v77
	v_add_u32_e32 v81, 1, v78
	v_cndmask_b32_e64 v76, v77, v76, s[26:27]
	v_cndmask_b32_e64 v77, v81, v78, s[26:27]
	;; [unrolled: 1-line block ×4, first 2 shown]
	v_cmp_ge_i32_e64 s[16:17], v77, v14
	s_waitcnt lgkmcnt(0)
	v_cmp_lt_i32_e64 s[18:19], v80, v79
	v_cndmask_b32_e64 v63, v63, v64, s[14:15]
	v_cmp_lt_i32_e64 s[14:15], v76, v15
	s_or_b64 s[16:17], s[16:17], s[18:19]
	s_and_b64 s[14:15], s[14:15], s[16:17]
	v_cndmask_b32_e64 v73, v73, v74, s[24:25]
	v_cndmask_b32_e64 v71, v71, v72, s[22:23]
	;; [unrolled: 1-line block ×4, first 2 shown]
	s_barrier
	ds_write2_b32 v54, v63, v65 offset1:1
	ds_write2_b32 v54, v67, v69 offset0:2 offset1:3
	ds_write2_b32 v54, v71, v73 offset0:4 offset1:5
	ds_write2_b32 v54, v75, v64 offset0:6 offset1:7
	v_mov_b32_e32 v65, v32
	s_waitcnt lgkmcnt(0)
	s_barrier
	s_and_saveexec_b64 s[16:17], s[8:9]
	s_cbranch_execz .LBB28_166
; %bb.163:                              ;   in Loop: Header=BB28_2 Depth=1
	s_mov_b64 s[18:19], 0
	v_mov_b32_e32 v65, v32
	v_mov_b32_e32 v63, v33
.LBB28_164:                             ;   Parent Loop BB28_2 Depth=1
                                        ; =>  This Inner Loop Header: Depth=2
	v_sub_u32_e32 v64, v63, v65
	v_lshrrev_b32_e32 v64, 1, v64
	v_add_u32_e32 v64, v64, v65
	v_not_b32_e32 v67, v64
	v_lshl_add_u32 v66, v64, 2, v60
	v_lshl_add_u32 v67, v67, 2, v51
	ds_read_b32 v66, v66
	ds_read_b32 v67, v67
	v_add_u32_e32 v68, 1, v64
	s_waitcnt lgkmcnt(0)
	v_cmp_lt_i32_e64 s[14:15], v67, v66
	v_cndmask_b32_e64 v63, v63, v64, s[14:15]
	v_cndmask_b32_e64 v65, v68, v65, s[14:15]
	v_cmp_ge_i32_e64 s[14:15], v65, v63
	s_or_b64 s[18:19], s[14:15], s[18:19]
	s_andn2_b64 exec, exec, s[18:19]
	s_cbranch_execnz .LBB28_164
; %bb.165:                              ;   in Loop: Header=BB28_2 Depth=1
	s_or_b64 exec, exec, s[18:19]
.LBB28_166:                             ;   in Loop: Header=BB28_2 Depth=1
	s_or_b64 exec, exec, s[16:17]
	v_sub_u32_e32 v67, v50, v65
	v_lshl_add_u32 v66, v65, 2, v60
	v_lshlrev_b32_e32 v69, 2, v67
	ds_read_b32 v63, v66
	ds_read_b32 v64, v69
	v_add_u32_e32 v68, v65, v16
	v_cmp_le_i32_e64 s[16:17], v17, v68
	v_cmp_gt_i32_e64 s[14:15], v18, v67
                                        ; implicit-def: $vgpr65
	s_waitcnt lgkmcnt(0)
	v_cmp_lt_i32_e64 s[18:19], v64, v63
	s_or_b64 s[16:17], s[16:17], s[18:19]
	s_and_b64 s[14:15], s[14:15], s[16:17]
	s_xor_b64 s[16:17], s[14:15], -1
	s_and_saveexec_b64 s[18:19], s[16:17]
	s_xor_b64 s[16:17], exec, s[18:19]
; %bb.167:                              ;   in Loop: Header=BB28_2 Depth=1
	ds_read_b32 v65, v66 offset:4
                                        ; implicit-def: $vgpr69
; %bb.168:                              ;   in Loop: Header=BB28_2 Depth=1
	s_or_saveexec_b64 s[16:17], s[16:17]
	v_mov_b32_e32 v66, v64
	s_xor_b64 exec, exec, s[16:17]
	s_cbranch_execz .LBB28_170
; %bb.169:                              ;   in Loop: Header=BB28_2 Depth=1
	ds_read_b32 v66, v69 offset:4
	s_waitcnt lgkmcnt(1)
	v_mov_b32_e32 v65, v63
.LBB28_170:                             ;   in Loop: Header=BB28_2 Depth=1
	s_or_b64 exec, exec, s[16:17]
	v_add_u32_e32 v70, 1, v68
	v_add_u32_e32 v69, 1, v67
	v_cndmask_b32_e64 v70, v70, v68, s[14:15]
	v_cndmask_b32_e64 v69, v67, v69, s[14:15]
	v_cmp_ge_i32_e64 s[18:19], v70, v17
	s_waitcnt lgkmcnt(0)
	v_cmp_lt_i32_e64 s[20:21], v66, v65
	v_cmp_lt_i32_e64 s[16:17], v69, v18
	s_or_b64 s[18:19], s[18:19], s[20:21]
	s_and_b64 s[16:17], s[16:17], s[18:19]
	s_xor_b64 s[18:19], s[16:17], -1
                                        ; implicit-def: $vgpr67
	s_and_saveexec_b64 s[20:21], s[18:19]
	s_xor_b64 s[18:19], exec, s[20:21]
; %bb.171:                              ;   in Loop: Header=BB28_2 Depth=1
	v_lshlrev_b32_e32 v67, 2, v70
	ds_read_b32 v67, v67 offset:4
; %bb.172:                              ;   in Loop: Header=BB28_2 Depth=1
	s_or_saveexec_b64 s[18:19], s[18:19]
	v_mov_b32_e32 v68, v66
	s_xor_b64 exec, exec, s[18:19]
	s_cbranch_execz .LBB28_174
; %bb.173:                              ;   in Loop: Header=BB28_2 Depth=1
	s_waitcnt lgkmcnt(0)
	v_lshlrev_b32_e32 v67, 2, v69
	ds_read_b32 v68, v67 offset:4
	v_mov_b32_e32 v67, v65
.LBB28_174:                             ;   in Loop: Header=BB28_2 Depth=1
	s_or_b64 exec, exec, s[18:19]
	v_add_u32_e32 v72, 1, v70
	v_add_u32_e32 v71, 1, v69
	v_cndmask_b32_e64 v72, v72, v70, s[16:17]
	v_cndmask_b32_e64 v71, v69, v71, s[16:17]
	v_cmp_ge_i32_e64 s[20:21], v72, v17
	s_waitcnt lgkmcnt(0)
	v_cmp_lt_i32_e64 s[22:23], v68, v67
	v_cmp_lt_i32_e64 s[18:19], v71, v18
	s_or_b64 s[20:21], s[20:21], s[22:23]
	s_and_b64 s[18:19], s[18:19], s[20:21]
	s_xor_b64 s[20:21], s[18:19], -1
                                        ; implicit-def: $vgpr69
	s_and_saveexec_b64 s[22:23], s[20:21]
	s_xor_b64 s[20:21], exec, s[22:23]
; %bb.175:                              ;   in Loop: Header=BB28_2 Depth=1
	v_lshlrev_b32_e32 v69, 2, v72
	ds_read_b32 v69, v69 offset:4
; %bb.176:                              ;   in Loop: Header=BB28_2 Depth=1
	s_or_saveexec_b64 s[20:21], s[20:21]
	v_mov_b32_e32 v70, v68
	s_xor_b64 exec, exec, s[20:21]
	s_cbranch_execz .LBB28_178
; %bb.177:                              ;   in Loop: Header=BB28_2 Depth=1
	s_waitcnt lgkmcnt(0)
	v_lshlrev_b32_e32 v69, 2, v71
	ds_read_b32 v70, v69 offset:4
	v_mov_b32_e32 v69, v67
.LBB28_178:                             ;   in Loop: Header=BB28_2 Depth=1
	s_or_b64 exec, exec, s[20:21]
	v_add_u32_e32 v74, 1, v72
	v_add_u32_e32 v73, 1, v71
	v_cndmask_b32_e64 v74, v74, v72, s[18:19]
	v_cndmask_b32_e64 v73, v71, v73, s[18:19]
	v_cmp_ge_i32_e64 s[22:23], v74, v17
	s_waitcnt lgkmcnt(0)
	v_cmp_lt_i32_e64 s[24:25], v70, v69
	v_cmp_lt_i32_e64 s[20:21], v73, v18
	s_or_b64 s[22:23], s[22:23], s[24:25]
	s_and_b64 s[20:21], s[20:21], s[22:23]
	s_xor_b64 s[22:23], s[20:21], -1
                                        ; implicit-def: $vgpr71
	s_and_saveexec_b64 s[24:25], s[22:23]
	s_xor_b64 s[22:23], exec, s[24:25]
; %bb.179:                              ;   in Loop: Header=BB28_2 Depth=1
	v_lshlrev_b32_e32 v71, 2, v74
	ds_read_b32 v71, v71 offset:4
; %bb.180:                              ;   in Loop: Header=BB28_2 Depth=1
	s_or_saveexec_b64 s[22:23], s[22:23]
	v_mov_b32_e32 v72, v70
	s_xor_b64 exec, exec, s[22:23]
	s_cbranch_execz .LBB28_182
; %bb.181:                              ;   in Loop: Header=BB28_2 Depth=1
	s_waitcnt lgkmcnt(0)
	v_lshlrev_b32_e32 v71, 2, v73
	ds_read_b32 v72, v71 offset:4
	v_mov_b32_e32 v71, v69
.LBB28_182:                             ;   in Loop: Header=BB28_2 Depth=1
	s_or_b64 exec, exec, s[22:23]
	v_add_u32_e32 v76, 1, v74
	v_add_u32_e32 v75, 1, v73
	v_cndmask_b32_e64 v76, v76, v74, s[20:21]
	v_cndmask_b32_e64 v75, v73, v75, s[20:21]
	v_cmp_ge_i32_e64 s[24:25], v76, v17
	s_waitcnt lgkmcnt(0)
	v_cmp_lt_i32_e64 s[26:27], v72, v71
	v_cmp_lt_i32_e64 s[22:23], v75, v18
	s_or_b64 s[24:25], s[24:25], s[26:27]
	s_and_b64 s[22:23], s[22:23], s[24:25]
	s_xor_b64 s[24:25], s[22:23], -1
                                        ; implicit-def: $vgpr73
	s_and_saveexec_b64 s[26:27], s[24:25]
	s_xor_b64 s[24:25], exec, s[26:27]
; %bb.183:                              ;   in Loop: Header=BB28_2 Depth=1
	v_lshlrev_b32_e32 v73, 2, v76
	ds_read_b32 v73, v73 offset:4
; %bb.184:                              ;   in Loop: Header=BB28_2 Depth=1
	s_or_saveexec_b64 s[24:25], s[24:25]
	v_mov_b32_e32 v74, v72
	s_xor_b64 exec, exec, s[24:25]
	s_cbranch_execz .LBB28_186
; %bb.185:                              ;   in Loop: Header=BB28_2 Depth=1
	s_waitcnt lgkmcnt(0)
	v_lshlrev_b32_e32 v73, 2, v75
	ds_read_b32 v74, v73 offset:4
	v_mov_b32_e32 v73, v71
.LBB28_186:                             ;   in Loop: Header=BB28_2 Depth=1
	s_or_b64 exec, exec, s[24:25]
	v_add_u32_e32 v78, 1, v76
	v_add_u32_e32 v77, 1, v75
	v_cndmask_b32_e64 v78, v78, v76, s[22:23]
	v_cndmask_b32_e64 v77, v75, v77, s[22:23]
	v_cmp_ge_i32_e64 s[26:27], v78, v17
	s_waitcnt lgkmcnt(0)
	v_cmp_lt_i32_e64 s[28:29], v74, v73
	v_cmp_lt_i32_e64 s[24:25], v77, v18
	s_or_b64 s[26:27], s[26:27], s[28:29]
	s_and_b64 s[24:25], s[24:25], s[26:27]
	s_xor_b64 s[26:27], s[24:25], -1
                                        ; implicit-def: $vgpr75
	s_and_saveexec_b64 s[28:29], s[26:27]
	s_xor_b64 s[26:27], exec, s[28:29]
; %bb.187:                              ;   in Loop: Header=BB28_2 Depth=1
	v_lshlrev_b32_e32 v75, 2, v78
	ds_read_b32 v75, v75 offset:4
; %bb.188:                              ;   in Loop: Header=BB28_2 Depth=1
	s_or_saveexec_b64 s[26:27], s[26:27]
	v_mov_b32_e32 v76, v74
	s_xor_b64 exec, exec, s[26:27]
	s_cbranch_execz .LBB28_190
; %bb.189:                              ;   in Loop: Header=BB28_2 Depth=1
	s_waitcnt lgkmcnt(0)
	v_lshlrev_b32_e32 v75, 2, v77
	ds_read_b32 v76, v75 offset:4
	v_mov_b32_e32 v75, v73
.LBB28_190:                             ;   in Loop: Header=BB28_2 Depth=1
	s_or_b64 exec, exec, s[26:27]
	v_add_u32_e32 v80, 1, v78
	v_add_u32_e32 v79, 1, v77
	v_cndmask_b32_e64 v78, v80, v78, s[24:25]
	v_cndmask_b32_e64 v77, v77, v79, s[24:25]
	v_cmp_ge_i32_e64 s[28:29], v78, v17
	s_waitcnt lgkmcnt(0)
	v_cmp_lt_i32_e64 s[30:31], v76, v75
	v_cmp_lt_i32_e64 s[26:27], v77, v18
	s_or_b64 s[28:29], s[28:29], s[30:31]
	s_and_b64 s[26:27], s[26:27], s[28:29]
	s_xor_b64 s[28:29], s[26:27], -1
                                        ; implicit-def: $vgpr79
	s_and_saveexec_b64 s[30:31], s[28:29]
	s_xor_b64 s[28:29], exec, s[30:31]
; %bb.191:                              ;   in Loop: Header=BB28_2 Depth=1
	v_lshlrev_b32_e32 v79, 2, v78
	ds_read_b32 v79, v79 offset:4
; %bb.192:                              ;   in Loop: Header=BB28_2 Depth=1
	s_or_saveexec_b64 s[28:29], s[28:29]
	v_mov_b32_e32 v80, v76
	s_xor_b64 exec, exec, s[28:29]
	s_cbranch_execz .LBB28_194
; %bb.193:                              ;   in Loop: Header=BB28_2 Depth=1
	s_waitcnt lgkmcnt(0)
	v_lshlrev_b32_e32 v79, 2, v77
	ds_read_b32 v80, v79 offset:4
	v_mov_b32_e32 v79, v75
.LBB28_194:                             ;   in Loop: Header=BB28_2 Depth=1
	s_or_b64 exec, exec, s[28:29]
	v_cndmask_b32_e64 v75, v75, v76, s[26:27]
	v_add_u32_e32 v76, 1, v77
	v_add_u32_e32 v81, 1, v78
	v_cndmask_b32_e64 v76, v77, v76, s[26:27]
	v_cndmask_b32_e64 v77, v81, v78, s[26:27]
	;; [unrolled: 1-line block ×4, first 2 shown]
	v_cmp_ge_i32_e64 s[16:17], v77, v17
	s_waitcnt lgkmcnt(0)
	v_cmp_lt_i32_e64 s[18:19], v80, v79
	v_cndmask_b32_e64 v63, v63, v64, s[14:15]
	v_cmp_lt_i32_e64 s[14:15], v76, v18
	s_or_b64 s[16:17], s[16:17], s[18:19]
	s_and_b64 s[14:15], s[14:15], s[16:17]
	v_cndmask_b32_e64 v73, v73, v74, s[24:25]
	v_cndmask_b32_e64 v71, v71, v72, s[22:23]
	v_cndmask_b32_e64 v69, v69, v70, s[20:21]
	v_cndmask_b32_e64 v64, v79, v80, s[14:15]
	s_barrier
	ds_write2_b32 v54, v63, v65 offset1:1
	ds_write2_b32 v54, v67, v69 offset0:2 offset1:3
	ds_write2_b32 v54, v71, v73 offset0:4 offset1:5
	;; [unrolled: 1-line block ×3, first 2 shown]
	v_mov_b32_e32 v65, v34
	s_waitcnt lgkmcnt(0)
	s_barrier
	s_and_saveexec_b64 s[16:17], s[10:11]
	s_cbranch_execz .LBB28_198
; %bb.195:                              ;   in Loop: Header=BB28_2 Depth=1
	s_mov_b64 s[18:19], 0
	v_mov_b32_e32 v65, v34
	v_mov_b32_e32 v63, v35
.LBB28_196:                             ;   Parent Loop BB28_2 Depth=1
                                        ; =>  This Inner Loop Header: Depth=2
	v_sub_u32_e32 v64, v63, v65
	v_lshrrev_b32_e32 v64, 1, v64
	v_add_u32_e32 v64, v64, v65
	v_not_b32_e32 v67, v64
	v_lshl_add_u32 v66, v64, 2, v61
	v_lshl_add_u32 v67, v67, 2, v53
	ds_read_b32 v66, v66
	ds_read_b32 v67, v67
	v_add_u32_e32 v68, 1, v64
	s_waitcnt lgkmcnt(0)
	v_cmp_lt_i32_e64 s[14:15], v67, v66
	v_cndmask_b32_e64 v63, v63, v64, s[14:15]
	v_cndmask_b32_e64 v65, v68, v65, s[14:15]
	v_cmp_ge_i32_e64 s[14:15], v65, v63
	s_or_b64 s[18:19], s[14:15], s[18:19]
	s_andn2_b64 exec, exec, s[18:19]
	s_cbranch_execnz .LBB28_196
; %bb.197:                              ;   in Loop: Header=BB28_2 Depth=1
	s_or_b64 exec, exec, s[18:19]
.LBB28_198:                             ;   in Loop: Header=BB28_2 Depth=1
	s_or_b64 exec, exec, s[16:17]
	v_sub_u32_e32 v67, v52, v65
	v_lshl_add_u32 v66, v65, 2, v61
	v_lshlrev_b32_e32 v69, 2, v67
	ds_read_b32 v63, v66
	ds_read_b32 v64, v69
	v_add_u32_e32 v68, v65, v19
	v_cmp_le_i32_e64 s[16:17], v20, v68
	v_cmp_gt_i32_e64 s[14:15], v21, v67
                                        ; implicit-def: $vgpr65
	s_waitcnt lgkmcnt(0)
	v_cmp_lt_i32_e64 s[18:19], v64, v63
	s_or_b64 s[16:17], s[16:17], s[18:19]
	s_and_b64 s[14:15], s[14:15], s[16:17]
	s_xor_b64 s[16:17], s[14:15], -1
	s_and_saveexec_b64 s[18:19], s[16:17]
	s_xor_b64 s[16:17], exec, s[18:19]
; %bb.199:                              ;   in Loop: Header=BB28_2 Depth=1
	ds_read_b32 v65, v66 offset:4
                                        ; implicit-def: $vgpr69
; %bb.200:                              ;   in Loop: Header=BB28_2 Depth=1
	s_or_saveexec_b64 s[16:17], s[16:17]
	v_mov_b32_e32 v66, v64
	s_xor_b64 exec, exec, s[16:17]
	s_cbranch_execz .LBB28_202
; %bb.201:                              ;   in Loop: Header=BB28_2 Depth=1
	ds_read_b32 v66, v69 offset:4
	s_waitcnt lgkmcnt(1)
	v_mov_b32_e32 v65, v63
.LBB28_202:                             ;   in Loop: Header=BB28_2 Depth=1
	s_or_b64 exec, exec, s[16:17]
	v_add_u32_e32 v70, 1, v68
	v_add_u32_e32 v69, 1, v67
	v_cndmask_b32_e64 v70, v70, v68, s[14:15]
	v_cndmask_b32_e64 v69, v67, v69, s[14:15]
	v_cmp_ge_i32_e64 s[18:19], v70, v20
	s_waitcnt lgkmcnt(0)
	v_cmp_lt_i32_e64 s[20:21], v66, v65
	v_cmp_lt_i32_e64 s[16:17], v69, v21
	s_or_b64 s[18:19], s[18:19], s[20:21]
	s_and_b64 s[16:17], s[16:17], s[18:19]
	s_xor_b64 s[18:19], s[16:17], -1
                                        ; implicit-def: $vgpr67
	s_and_saveexec_b64 s[20:21], s[18:19]
	s_xor_b64 s[18:19], exec, s[20:21]
; %bb.203:                              ;   in Loop: Header=BB28_2 Depth=1
	v_lshlrev_b32_e32 v67, 2, v70
	ds_read_b32 v67, v67 offset:4
; %bb.204:                              ;   in Loop: Header=BB28_2 Depth=1
	s_or_saveexec_b64 s[18:19], s[18:19]
	v_mov_b32_e32 v68, v66
	s_xor_b64 exec, exec, s[18:19]
	s_cbranch_execz .LBB28_206
; %bb.205:                              ;   in Loop: Header=BB28_2 Depth=1
	s_waitcnt lgkmcnt(0)
	v_lshlrev_b32_e32 v67, 2, v69
	ds_read_b32 v68, v67 offset:4
	v_mov_b32_e32 v67, v65
.LBB28_206:                             ;   in Loop: Header=BB28_2 Depth=1
	s_or_b64 exec, exec, s[18:19]
	v_add_u32_e32 v72, 1, v70
	v_add_u32_e32 v71, 1, v69
	v_cndmask_b32_e64 v72, v72, v70, s[16:17]
	v_cndmask_b32_e64 v71, v69, v71, s[16:17]
	v_cmp_ge_i32_e64 s[20:21], v72, v20
	s_waitcnt lgkmcnt(0)
	v_cmp_lt_i32_e64 s[22:23], v68, v67
	v_cmp_lt_i32_e64 s[18:19], v71, v21
	s_or_b64 s[20:21], s[20:21], s[22:23]
	s_and_b64 s[18:19], s[18:19], s[20:21]
	s_xor_b64 s[20:21], s[18:19], -1
                                        ; implicit-def: $vgpr69
	s_and_saveexec_b64 s[22:23], s[20:21]
	s_xor_b64 s[20:21], exec, s[22:23]
; %bb.207:                              ;   in Loop: Header=BB28_2 Depth=1
	v_lshlrev_b32_e32 v69, 2, v72
	ds_read_b32 v69, v69 offset:4
; %bb.208:                              ;   in Loop: Header=BB28_2 Depth=1
	s_or_saveexec_b64 s[20:21], s[20:21]
	v_mov_b32_e32 v70, v68
	s_xor_b64 exec, exec, s[20:21]
	s_cbranch_execz .LBB28_210
; %bb.209:                              ;   in Loop: Header=BB28_2 Depth=1
	s_waitcnt lgkmcnt(0)
	v_lshlrev_b32_e32 v69, 2, v71
	ds_read_b32 v70, v69 offset:4
	v_mov_b32_e32 v69, v67
.LBB28_210:                             ;   in Loop: Header=BB28_2 Depth=1
	s_or_b64 exec, exec, s[20:21]
	v_add_u32_e32 v74, 1, v72
	v_add_u32_e32 v73, 1, v71
	v_cndmask_b32_e64 v74, v74, v72, s[18:19]
	v_cndmask_b32_e64 v73, v71, v73, s[18:19]
	v_cmp_ge_i32_e64 s[22:23], v74, v20
	s_waitcnt lgkmcnt(0)
	v_cmp_lt_i32_e64 s[24:25], v70, v69
	v_cmp_lt_i32_e64 s[20:21], v73, v21
	s_or_b64 s[22:23], s[22:23], s[24:25]
	s_and_b64 s[20:21], s[20:21], s[22:23]
	s_xor_b64 s[22:23], s[20:21], -1
                                        ; implicit-def: $vgpr71
	s_and_saveexec_b64 s[24:25], s[22:23]
	s_xor_b64 s[22:23], exec, s[24:25]
; %bb.211:                              ;   in Loop: Header=BB28_2 Depth=1
	v_lshlrev_b32_e32 v71, 2, v74
	ds_read_b32 v71, v71 offset:4
; %bb.212:                              ;   in Loop: Header=BB28_2 Depth=1
	s_or_saveexec_b64 s[22:23], s[22:23]
	v_mov_b32_e32 v72, v70
	s_xor_b64 exec, exec, s[22:23]
	s_cbranch_execz .LBB28_214
; %bb.213:                              ;   in Loop: Header=BB28_2 Depth=1
	s_waitcnt lgkmcnt(0)
	v_lshlrev_b32_e32 v71, 2, v73
	ds_read_b32 v72, v71 offset:4
	v_mov_b32_e32 v71, v69
.LBB28_214:                             ;   in Loop: Header=BB28_2 Depth=1
	s_or_b64 exec, exec, s[22:23]
	v_add_u32_e32 v76, 1, v74
	v_add_u32_e32 v75, 1, v73
	v_cndmask_b32_e64 v76, v76, v74, s[20:21]
	v_cndmask_b32_e64 v75, v73, v75, s[20:21]
	v_cmp_ge_i32_e64 s[24:25], v76, v20
	s_waitcnt lgkmcnt(0)
	v_cmp_lt_i32_e64 s[26:27], v72, v71
	v_cmp_lt_i32_e64 s[22:23], v75, v21
	s_or_b64 s[24:25], s[24:25], s[26:27]
	s_and_b64 s[22:23], s[22:23], s[24:25]
	s_xor_b64 s[24:25], s[22:23], -1
                                        ; implicit-def: $vgpr73
	s_and_saveexec_b64 s[26:27], s[24:25]
	s_xor_b64 s[24:25], exec, s[26:27]
; %bb.215:                              ;   in Loop: Header=BB28_2 Depth=1
	v_lshlrev_b32_e32 v73, 2, v76
	ds_read_b32 v73, v73 offset:4
; %bb.216:                              ;   in Loop: Header=BB28_2 Depth=1
	s_or_saveexec_b64 s[24:25], s[24:25]
	v_mov_b32_e32 v74, v72
	s_xor_b64 exec, exec, s[24:25]
	s_cbranch_execz .LBB28_218
; %bb.217:                              ;   in Loop: Header=BB28_2 Depth=1
	s_waitcnt lgkmcnt(0)
	v_lshlrev_b32_e32 v73, 2, v75
	ds_read_b32 v74, v73 offset:4
	v_mov_b32_e32 v73, v71
.LBB28_218:                             ;   in Loop: Header=BB28_2 Depth=1
	s_or_b64 exec, exec, s[24:25]
	v_add_u32_e32 v78, 1, v76
	v_add_u32_e32 v77, 1, v75
	v_cndmask_b32_e64 v78, v78, v76, s[22:23]
	v_cndmask_b32_e64 v77, v75, v77, s[22:23]
	v_cmp_ge_i32_e64 s[26:27], v78, v20
	s_waitcnt lgkmcnt(0)
	v_cmp_lt_i32_e64 s[28:29], v74, v73
	v_cmp_lt_i32_e64 s[24:25], v77, v21
	s_or_b64 s[26:27], s[26:27], s[28:29]
	s_and_b64 s[24:25], s[24:25], s[26:27]
	s_xor_b64 s[26:27], s[24:25], -1
                                        ; implicit-def: $vgpr75
	s_and_saveexec_b64 s[28:29], s[26:27]
	s_xor_b64 s[26:27], exec, s[28:29]
; %bb.219:                              ;   in Loop: Header=BB28_2 Depth=1
	v_lshlrev_b32_e32 v75, 2, v78
	ds_read_b32 v75, v75 offset:4
; %bb.220:                              ;   in Loop: Header=BB28_2 Depth=1
	s_or_saveexec_b64 s[26:27], s[26:27]
	v_mov_b32_e32 v76, v74
	s_xor_b64 exec, exec, s[26:27]
	s_cbranch_execz .LBB28_222
; %bb.221:                              ;   in Loop: Header=BB28_2 Depth=1
	s_waitcnt lgkmcnt(0)
	v_lshlrev_b32_e32 v75, 2, v77
	ds_read_b32 v76, v75 offset:4
	v_mov_b32_e32 v75, v73
.LBB28_222:                             ;   in Loop: Header=BB28_2 Depth=1
	s_or_b64 exec, exec, s[26:27]
	v_add_u32_e32 v80, 1, v78
	v_add_u32_e32 v79, 1, v77
	v_cndmask_b32_e64 v78, v80, v78, s[24:25]
	v_cndmask_b32_e64 v77, v77, v79, s[24:25]
	v_cmp_ge_i32_e64 s[28:29], v78, v20
	s_waitcnt lgkmcnt(0)
	v_cmp_lt_i32_e64 s[30:31], v76, v75
	v_cmp_lt_i32_e64 s[26:27], v77, v21
	s_or_b64 s[28:29], s[28:29], s[30:31]
	s_and_b64 s[26:27], s[26:27], s[28:29]
	s_xor_b64 s[28:29], s[26:27], -1
                                        ; implicit-def: $vgpr79
	s_and_saveexec_b64 s[30:31], s[28:29]
	s_xor_b64 s[28:29], exec, s[30:31]
; %bb.223:                              ;   in Loop: Header=BB28_2 Depth=1
	v_lshlrev_b32_e32 v79, 2, v78
	ds_read_b32 v79, v79 offset:4
; %bb.224:                              ;   in Loop: Header=BB28_2 Depth=1
	s_or_saveexec_b64 s[28:29], s[28:29]
	v_mov_b32_e32 v80, v76
	s_xor_b64 exec, exec, s[28:29]
	s_cbranch_execz .LBB28_226
; %bb.225:                              ;   in Loop: Header=BB28_2 Depth=1
	s_waitcnt lgkmcnt(0)
	v_lshlrev_b32_e32 v79, 2, v77
	ds_read_b32 v80, v79 offset:4
	v_mov_b32_e32 v79, v75
.LBB28_226:                             ;   in Loop: Header=BB28_2 Depth=1
	s_or_b64 exec, exec, s[28:29]
	v_cndmask_b32_e64 v75, v75, v76, s[26:27]
	v_add_u32_e32 v76, 1, v77
	v_add_u32_e32 v81, 1, v78
	v_cndmask_b32_e64 v76, v77, v76, s[26:27]
	v_cndmask_b32_e64 v77, v81, v78, s[26:27]
	;; [unrolled: 1-line block ×4, first 2 shown]
	v_cmp_ge_i32_e64 s[16:17], v77, v20
	s_waitcnt lgkmcnt(0)
	v_cmp_lt_i32_e64 s[18:19], v80, v79
	v_cndmask_b32_e64 v63, v63, v64, s[14:15]
	v_cmp_lt_i32_e64 s[14:15], v76, v21
	s_or_b64 s[16:17], s[16:17], s[18:19]
	s_and_b64 s[14:15], s[14:15], s[16:17]
	v_cndmask_b32_e64 v73, v73, v74, s[24:25]
	v_cndmask_b32_e64 v71, v71, v72, s[22:23]
	;; [unrolled: 1-line block ×4, first 2 shown]
	s_barrier
	ds_write2_b32 v54, v63, v65 offset1:1
	ds_write2_b32 v54, v67, v69 offset0:2 offset1:3
	ds_write2_b32 v54, v71, v73 offset0:4 offset1:5
	;; [unrolled: 1-line block ×3, first 2 shown]
	v_mov_b32_e32 v67, v37
	s_waitcnt lgkmcnt(0)
	s_barrier
	s_and_saveexec_b64 s[16:17], s[12:13]
	s_cbranch_execz .LBB28_230
; %bb.227:                              ;   in Loop: Header=BB28_2 Depth=1
	s_mov_b64 s[18:19], 0
	v_mov_b32_e32 v67, v37
	v_mov_b32_e32 v63, v38
.LBB28_228:                             ;   Parent Loop BB28_2 Depth=1
                                        ; =>  This Inner Loop Header: Depth=2
	v_sub_u32_e32 v64, v63, v67
	v_lshrrev_b32_e32 v64, 1, v64
	v_add_u32_e32 v64, v64, v67
	v_not_b32_e32 v66, v64
	v_lshlrev_b32_e32 v65, 2, v64
	v_lshl_add_u32 v66, v66, 2, v62
	ds_read_b32 v65, v65
	ds_read_b32 v66, v66
	v_add_u32_e32 v68, 1, v64
	s_waitcnt lgkmcnt(0)
	v_cmp_lt_i32_e64 s[14:15], v66, v65
	v_cndmask_b32_e64 v63, v63, v64, s[14:15]
	v_cndmask_b32_e64 v67, v68, v67, s[14:15]
	v_cmp_ge_i32_e64 s[14:15], v67, v63
	s_or_b64 s[18:19], s[14:15], s[18:19]
	s_andn2_b64 exec, exec, s[18:19]
	s_cbranch_execnz .LBB28_228
; %bb.229:                              ;   in Loop: Header=BB28_2 Depth=1
	s_or_b64 exec, exec, s[18:19]
.LBB28_230:                             ;   in Loop: Header=BB28_2 Depth=1
	s_or_b64 exec, exec, s[16:17]
	v_sub_u32_e32 v68, v39, v67
	v_lshlrev_b32_e32 v66, 2, v67
	v_lshlrev_b32_e32 v69, 2, v68
	ds_read_b32 v63, v66
	ds_read_b32 v64, v69
	v_cmp_le_i32_e64 s[16:17], v36, v67
	v_cmp_gt_i32_e64 s[14:15], s33, v68
                                        ; implicit-def: $vgpr65
	s_waitcnt lgkmcnt(0)
	v_cmp_lt_i32_e64 s[18:19], v64, v63
	s_or_b64 s[16:17], s[16:17], s[18:19]
	s_and_b64 s[14:15], s[14:15], s[16:17]
	s_xor_b64 s[16:17], s[14:15], -1
	s_and_saveexec_b64 s[18:19], s[16:17]
	s_xor_b64 s[16:17], exec, s[18:19]
; %bb.231:                              ;   in Loop: Header=BB28_2 Depth=1
	ds_read_b32 v65, v66 offset:4
                                        ; implicit-def: $vgpr69
; %bb.232:                              ;   in Loop: Header=BB28_2 Depth=1
	s_or_saveexec_b64 s[16:17], s[16:17]
	v_mov_b32_e32 v66, v64
	s_xor_b64 exec, exec, s[16:17]
	s_cbranch_execz .LBB28_234
; %bb.233:                              ;   in Loop: Header=BB28_2 Depth=1
	ds_read_b32 v66, v69 offset:4
	s_waitcnt lgkmcnt(1)
	v_mov_b32_e32 v65, v63
.LBB28_234:                             ;   in Loop: Header=BB28_2 Depth=1
	s_or_b64 exec, exec, s[16:17]
	v_add_u32_e32 v70, 1, v67
	v_add_u32_e32 v69, 1, v68
	v_cndmask_b32_e64 v70, v70, v67, s[14:15]
	v_cndmask_b32_e64 v69, v68, v69, s[14:15]
	v_cmp_ge_i32_e64 s[18:19], v70, v36
	s_waitcnt lgkmcnt(0)
	v_cmp_lt_i32_e64 s[20:21], v66, v65
	v_cmp_gt_i32_e64 s[16:17], s33, v69
	s_or_b64 s[18:19], s[18:19], s[20:21]
	s_and_b64 s[16:17], s[16:17], s[18:19]
	s_xor_b64 s[18:19], s[16:17], -1
                                        ; implicit-def: $vgpr67
	s_and_saveexec_b64 s[20:21], s[18:19]
	s_xor_b64 s[18:19], exec, s[20:21]
; %bb.235:                              ;   in Loop: Header=BB28_2 Depth=1
	v_lshlrev_b32_e32 v67, 2, v70
	ds_read_b32 v67, v67 offset:4
; %bb.236:                              ;   in Loop: Header=BB28_2 Depth=1
	s_or_saveexec_b64 s[18:19], s[18:19]
	v_mov_b32_e32 v68, v66
	s_xor_b64 exec, exec, s[18:19]
	s_cbranch_execz .LBB28_238
; %bb.237:                              ;   in Loop: Header=BB28_2 Depth=1
	s_waitcnt lgkmcnt(0)
	v_lshlrev_b32_e32 v67, 2, v69
	ds_read_b32 v68, v67 offset:4
	v_mov_b32_e32 v67, v65
.LBB28_238:                             ;   in Loop: Header=BB28_2 Depth=1
	s_or_b64 exec, exec, s[18:19]
	v_add_u32_e32 v72, 1, v70
	v_add_u32_e32 v71, 1, v69
	v_cndmask_b32_e64 v72, v72, v70, s[16:17]
	v_cndmask_b32_e64 v71, v69, v71, s[16:17]
	v_cmp_ge_i32_e64 s[20:21], v72, v36
	s_waitcnt lgkmcnt(0)
	v_cmp_lt_i32_e64 s[22:23], v68, v67
	v_cmp_gt_i32_e64 s[18:19], s33, v71
	s_or_b64 s[20:21], s[20:21], s[22:23]
	s_and_b64 s[18:19], s[18:19], s[20:21]
	s_xor_b64 s[20:21], s[18:19], -1
                                        ; implicit-def: $vgpr69
	s_and_saveexec_b64 s[22:23], s[20:21]
	s_xor_b64 s[20:21], exec, s[22:23]
; %bb.239:                              ;   in Loop: Header=BB28_2 Depth=1
	v_lshlrev_b32_e32 v69, 2, v72
	ds_read_b32 v69, v69 offset:4
; %bb.240:                              ;   in Loop: Header=BB28_2 Depth=1
	s_or_saveexec_b64 s[20:21], s[20:21]
	v_mov_b32_e32 v70, v68
	s_xor_b64 exec, exec, s[20:21]
	s_cbranch_execz .LBB28_242
; %bb.241:                              ;   in Loop: Header=BB28_2 Depth=1
	s_waitcnt lgkmcnt(0)
	v_lshlrev_b32_e32 v69, 2, v71
	ds_read_b32 v70, v69 offset:4
	v_mov_b32_e32 v69, v67
.LBB28_242:                             ;   in Loop: Header=BB28_2 Depth=1
	s_or_b64 exec, exec, s[20:21]
	v_add_u32_e32 v74, 1, v72
	v_add_u32_e32 v73, 1, v71
	v_cndmask_b32_e64 v72, v74, v72, s[18:19]
	v_cndmask_b32_e64 v73, v71, v73, s[18:19]
	v_cmp_ge_i32_e64 s[22:23], v72, v36
	s_waitcnt lgkmcnt(0)
	v_cmp_lt_i32_e64 s[24:25], v70, v69
	v_cmp_gt_i32_e64 s[20:21], s33, v73
	s_or_b64 s[22:23], s[22:23], s[24:25]
	s_and_b64 s[20:21], s[20:21], s[22:23]
	s_xor_b64 s[22:23], s[20:21], -1
                                        ; implicit-def: $vgpr71
	s_and_saveexec_b64 s[24:25], s[22:23]
	s_xor_b64 s[22:23], exec, s[24:25]
; %bb.243:                              ;   in Loop: Header=BB28_2 Depth=1
	v_lshlrev_b32_e32 v71, 2, v72
	ds_read_b32 v71, v71 offset:4
; %bb.244:                              ;   in Loop: Header=BB28_2 Depth=1
	s_or_saveexec_b64 s[22:23], s[22:23]
	v_mov_b32_e32 v74, v70
	s_xor_b64 exec, exec, s[22:23]
	s_cbranch_execz .LBB28_246
; %bb.245:                              ;   in Loop: Header=BB28_2 Depth=1
	s_waitcnt lgkmcnt(0)
	v_lshlrev_b32_e32 v71, 2, v73
	ds_read_b32 v74, v71 offset:4
	v_mov_b32_e32 v71, v69
.LBB28_246:                             ;   in Loop: Header=BB28_2 Depth=1
	s_or_b64 exec, exec, s[22:23]
	v_add_u32_e32 v76, 1, v72
	v_add_u32_e32 v75, 1, v73
	v_cndmask_b32_e64 v72, v76, v72, s[20:21]
	v_cndmask_b32_e64 v73, v73, v75, s[20:21]
	v_cmp_ge_i32_e64 s[24:25], v72, v36
	s_waitcnt lgkmcnt(0)
	v_cmp_lt_i32_e64 s[26:27], v74, v71
	v_cmp_gt_i32_e64 s[22:23], s33, v73
	s_or_b64 s[24:25], s[24:25], s[26:27]
	s_and_b64 s[22:23], s[22:23], s[24:25]
	s_xor_b64 s[24:25], s[22:23], -1
                                        ; implicit-def: $vgpr75
	s_and_saveexec_b64 s[26:27], s[24:25]
	s_xor_b64 s[24:25], exec, s[26:27]
; %bb.247:                              ;   in Loop: Header=BB28_2 Depth=1
	v_lshlrev_b32_e32 v75, 2, v72
	ds_read_b32 v75, v75 offset:4
; %bb.248:                              ;   in Loop: Header=BB28_2 Depth=1
	s_or_saveexec_b64 s[24:25], s[24:25]
	v_mov_b32_e32 v76, v74
	s_xor_b64 exec, exec, s[24:25]
	s_cbranch_execz .LBB28_250
; %bb.249:                              ;   in Loop: Header=BB28_2 Depth=1
	s_waitcnt lgkmcnt(0)
	v_lshlrev_b32_e32 v75, 2, v73
	ds_read_b32 v76, v75 offset:4
	v_mov_b32_e32 v75, v71
.LBB28_250:                             ;   in Loop: Header=BB28_2 Depth=1
	s_or_b64 exec, exec, s[24:25]
	v_add_u32_e32 v78, 1, v72
	v_add_u32_e32 v77, 1, v73
	v_cndmask_b32_e64 v72, v78, v72, s[22:23]
	v_cndmask_b32_e64 v73, v73, v77, s[22:23]
	v_cmp_ge_i32_e64 s[26:27], v72, v36
	s_waitcnt lgkmcnt(0)
	v_cmp_lt_i32_e64 s[28:29], v76, v75
	v_cmp_gt_i32_e64 s[24:25], s33, v73
	s_or_b64 s[26:27], s[26:27], s[28:29]
	s_and_b64 s[24:25], s[24:25], s[26:27]
	s_xor_b64 s[26:27], s[24:25], -1
                                        ; implicit-def: $vgpr77
	s_and_saveexec_b64 s[28:29], s[26:27]
	s_xor_b64 s[26:27], exec, s[28:29]
; %bb.251:                              ;   in Loop: Header=BB28_2 Depth=1
	v_lshlrev_b32_e32 v77, 2, v72
	ds_read_b32 v77, v77 offset:4
; %bb.252:                              ;   in Loop: Header=BB28_2 Depth=1
	s_or_saveexec_b64 s[26:27], s[26:27]
	v_mov_b32_e32 v78, v76
	s_xor_b64 exec, exec, s[26:27]
	s_cbranch_execz .LBB28_254
; %bb.253:                              ;   in Loop: Header=BB28_2 Depth=1
	s_waitcnt lgkmcnt(0)
	v_lshlrev_b32_e32 v77, 2, v73
	ds_read_b32 v78, v77 offset:4
	v_mov_b32_e32 v77, v75
.LBB28_254:                             ;   in Loop: Header=BB28_2 Depth=1
	s_or_b64 exec, exec, s[26:27]
	v_add_u32_e32 v80, 1, v72
	v_add_u32_e32 v79, 1, v73
	v_cndmask_b32_e64 v72, v80, v72, s[24:25]
	v_cndmask_b32_e64 v79, v73, v79, s[24:25]
	v_cmp_ge_i32_e64 s[28:29], v72, v36
	s_waitcnt lgkmcnt(0)
	v_cmp_lt_i32_e64 s[30:31], v78, v77
	v_cmp_gt_i32_e64 s[26:27], s33, v79
	s_or_b64 s[28:29], s[28:29], s[30:31]
	s_and_b64 s[26:27], s[26:27], s[28:29]
	s_xor_b64 s[28:29], s[26:27], -1
                                        ; implicit-def: $vgpr80
                                        ; implicit-def: $vgpr81
	s_and_saveexec_b64 s[30:31], s[28:29]
	s_xor_b64 s[28:29], exec, s[30:31]
; %bb.255:                              ;   in Loop: Header=BB28_2 Depth=1
	v_lshlrev_b32_e32 v73, 2, v72
	ds_read_b32 v80, v73 offset:4
	v_add_u32_e32 v81, 1, v72
                                        ; implicit-def: $vgpr72
; %bb.256:                              ;   in Loop: Header=BB28_2 Depth=1
	s_or_saveexec_b64 s[28:29], s[28:29]
	v_mov_b32_e32 v82, v78
	s_xor_b64 exec, exec, s[28:29]
	s_cbranch_execz .LBB28_1
; %bb.257:                              ;   in Loop: Header=BB28_2 Depth=1
	v_lshlrev_b32_e32 v73, 2, v79
	ds_read_b32 v82, v73 offset:4
	v_add_u32_e32 v79, 1, v79
	v_mov_b32_e32 v81, v72
	s_waitcnt lgkmcnt(1)
	v_mov_b32_e32 v80, v77
	s_branch .LBB28_1
.LBB28_258:
	s_add_u32 s0, s38, s40
	s_addc_u32 s1, s39, s41
	v_lshlrev_b32_e32 v0, 2, v0
	v_mov_b32_e32 v1, s1
	v_add_co_u32_e32 v2, vcc, s0, v0
	v_addc_co_u32_e32 v1, vcc, 0, v1, vcc
	global_store_dword v0, v72, s[0:1]
	global_store_dword v0, v73, s[0:1] offset:1024
	global_store_dword v0, v67, s[0:1] offset:2048
	;; [unrolled: 1-line block ×3, first 2 shown]
	v_add_co_u32_e32 v0, vcc, 0x1000, v2
	v_addc_co_u32_e32 v1, vcc, 0, v1, vcc
	global_store_dword v[0:1], v64, off
	global_store_dword v[0:1], v65, off offset:1024
	global_store_dword v[0:1], v63, off offset:2048
	;; [unrolled: 1-line block ×3, first 2 shown]
	s_endpgm
	.section	.rodata,"a",@progbits
	.p2align	6, 0x0
	.amdhsa_kernel _Z16sort_keys_kernelIiLj256ELj8EN10test_utils4lessELj10EEvPKT_PS2_T2_
		.amdhsa_group_segment_fixed_size 8196
		.amdhsa_private_segment_fixed_size 0
		.amdhsa_kernarg_size 20
		.amdhsa_user_sgpr_count 6
		.amdhsa_user_sgpr_private_segment_buffer 1
		.amdhsa_user_sgpr_dispatch_ptr 0
		.amdhsa_user_sgpr_queue_ptr 0
		.amdhsa_user_sgpr_kernarg_segment_ptr 1
		.amdhsa_user_sgpr_dispatch_id 0
		.amdhsa_user_sgpr_flat_scratch_init 0
		.amdhsa_user_sgpr_private_segment_size 0
		.amdhsa_uses_dynamic_stack 0
		.amdhsa_system_sgpr_private_segment_wavefront_offset 0
		.amdhsa_system_sgpr_workgroup_id_x 1
		.amdhsa_system_sgpr_workgroup_id_y 0
		.amdhsa_system_sgpr_workgroup_id_z 0
		.amdhsa_system_sgpr_workgroup_info 0
		.amdhsa_system_vgpr_workitem_id 0
		.amdhsa_next_free_vgpr 83
		.amdhsa_next_free_sgpr 77
		.amdhsa_reserve_vcc 1
		.amdhsa_reserve_flat_scratch 0
		.amdhsa_float_round_mode_32 0
		.amdhsa_float_round_mode_16_64 0
		.amdhsa_float_denorm_mode_32 3
		.amdhsa_float_denorm_mode_16_64 3
		.amdhsa_dx10_clamp 1
		.amdhsa_ieee_mode 1
		.amdhsa_fp16_overflow 0
		.amdhsa_exception_fp_ieee_invalid_op 0
		.amdhsa_exception_fp_denorm_src 0
		.amdhsa_exception_fp_ieee_div_zero 0
		.amdhsa_exception_fp_ieee_overflow 0
		.amdhsa_exception_fp_ieee_underflow 0
		.amdhsa_exception_fp_ieee_inexact 0
		.amdhsa_exception_int_div_zero 0
	.end_amdhsa_kernel
	.section	.text._Z16sort_keys_kernelIiLj256ELj8EN10test_utils4lessELj10EEvPKT_PS2_T2_,"axG",@progbits,_Z16sort_keys_kernelIiLj256ELj8EN10test_utils4lessELj10EEvPKT_PS2_T2_,comdat
.Lfunc_end28:
	.size	_Z16sort_keys_kernelIiLj256ELj8EN10test_utils4lessELj10EEvPKT_PS2_T2_, .Lfunc_end28-_Z16sort_keys_kernelIiLj256ELj8EN10test_utils4lessELj10EEvPKT_PS2_T2_
                                        ; -- End function
	.set _Z16sort_keys_kernelIiLj256ELj8EN10test_utils4lessELj10EEvPKT_PS2_T2_.num_vgpr, 83
	.set _Z16sort_keys_kernelIiLj256ELj8EN10test_utils4lessELj10EEvPKT_PS2_T2_.num_agpr, 0
	.set _Z16sort_keys_kernelIiLj256ELj8EN10test_utils4lessELj10EEvPKT_PS2_T2_.numbered_sgpr, 42
	.set _Z16sort_keys_kernelIiLj256ELj8EN10test_utils4lessELj10EEvPKT_PS2_T2_.num_named_barrier, 0
	.set _Z16sort_keys_kernelIiLj256ELj8EN10test_utils4lessELj10EEvPKT_PS2_T2_.private_seg_size, 0
	.set _Z16sort_keys_kernelIiLj256ELj8EN10test_utils4lessELj10EEvPKT_PS2_T2_.uses_vcc, 1
	.set _Z16sort_keys_kernelIiLj256ELj8EN10test_utils4lessELj10EEvPKT_PS2_T2_.uses_flat_scratch, 0
	.set _Z16sort_keys_kernelIiLj256ELj8EN10test_utils4lessELj10EEvPKT_PS2_T2_.has_dyn_sized_stack, 0
	.set _Z16sort_keys_kernelIiLj256ELj8EN10test_utils4lessELj10EEvPKT_PS2_T2_.has_recursion, 0
	.set _Z16sort_keys_kernelIiLj256ELj8EN10test_utils4lessELj10EEvPKT_PS2_T2_.has_indirect_call, 0
	.section	.AMDGPU.csdata,"",@progbits
; Kernel info:
; codeLenInByte = 11148
; TotalNumSgprs: 46
; NumVgprs: 83
; ScratchSize: 0
; MemoryBound: 0
; FloatMode: 240
; IeeeMode: 1
; LDSByteSize: 8196 bytes/workgroup (compile time only)
; SGPRBlocks: 10
; VGPRBlocks: 20
; NumSGPRsForWavesPerEU: 81
; NumVGPRsForWavesPerEU: 83
; Occupancy: 3
; WaveLimiterHint : 1
; COMPUTE_PGM_RSRC2:SCRATCH_EN: 0
; COMPUTE_PGM_RSRC2:USER_SGPR: 6
; COMPUTE_PGM_RSRC2:TRAP_HANDLER: 0
; COMPUTE_PGM_RSRC2:TGID_X_EN: 1
; COMPUTE_PGM_RSRC2:TGID_Y_EN: 0
; COMPUTE_PGM_RSRC2:TGID_Z_EN: 0
; COMPUTE_PGM_RSRC2:TIDIG_COMP_CNT: 0
	.section	.text._Z17sort_pairs_kernelIiLj256ELj8EN10test_utils4lessELj10EEvPKT_PS2_T2_,"axG",@progbits,_Z17sort_pairs_kernelIiLj256ELj8EN10test_utils4lessELj10EEvPKT_PS2_T2_,comdat
	.protected	_Z17sort_pairs_kernelIiLj256ELj8EN10test_utils4lessELj10EEvPKT_PS2_T2_ ; -- Begin function _Z17sort_pairs_kernelIiLj256ELj8EN10test_utils4lessELj10EEvPKT_PS2_T2_
	.globl	_Z17sort_pairs_kernelIiLj256ELj8EN10test_utils4lessELj10EEvPKT_PS2_T2_
	.p2align	8
	.type	_Z17sort_pairs_kernelIiLj256ELj8EN10test_utils4lessELj10EEvPKT_PS2_T2_,@function
_Z17sort_pairs_kernelIiLj256ELj8EN10test_utils4lessELj10EEvPKT_PS2_T2_: ; @_Z17sort_pairs_kernelIiLj256ELj8EN10test_utils4lessELj10EEvPKT_PS2_T2_
; %bb.0:
	s_load_dwordx4 s[0:3], s[4:5], 0x0
	s_lshl_b32 s94, s6, 11
	s_mov_b32 s95, 0
	s_lshl_b64 s[92:93], s[94:95], 2
                                        ; implicit-def: $vgpr103 : SGPR spill to VGPR lane
	v_lshlrev_b32_e32 v18, 2, v0
	s_waitcnt lgkmcnt(0)
	s_add_u32 s0, s0, s92
	v_writelane_b32 v103, s0, 0
	v_writelane_b32 v103, s1, 1
	;; [unrolled: 1-line block ×4, first 2 shown]
	s_addc_u32 s1, s1, s93
	v_mov_b32_e32 v1, s1
	v_add_co_u32_e32 v2, vcc, s0, v18
	v_addc_co_u32_e32 v1, vcc, 0, v1, vcc
	s_movk_i32 s2, 0x1000
	v_add_co_u32_e32 v16, vcc, s2, v2
	v_addc_co_u32_e32 v17, vcc, 0, v1, vcc
	global_load_dword v73, v[16:17], off
	global_load_dword v72, v[16:17], off offset:1024
	global_load_dword v77, v[16:17], off offset:2048
	;; [unrolled: 1-line block ×3, first 2 shown]
	global_load_dword v83, v18, s[0:1]
	global_load_dword v76, v18, s[0:1] offset:1024
	global_load_dword v74, v18, s[0:1] offset:2048
	;; [unrolled: 1-line block ×3, first 2 shown]
	v_lshlrev_b32_e32 v39, 3, v0
	v_and_b32_e32 v1, 0x7f0, v39
	v_and_b32_e32 v4, 0x7e0, v39
	v_and_b32_e32 v7, 0x7c0, v39
	v_and_b32_e32 v10, 0x780, v39
	v_and_b32_e32 v13, 0x700, v39
	v_and_b32_e32 v16, 0x600, v39
	v_and_b32_e32 v19, 0x400, v39
	v_or_b32_e32 v2, 8, v1
	v_add_u32_e32 v3, 16, v1
	v_or_b32_e32 v5, 16, v4
	v_add_u32_e32 v6, 32, v4
	;; [unrolled: 2-line block ×7, first 2 shown]
	v_and_b32_e32 v41, 8, v39
	v_sub_u32_e32 v22, v3, v2
	v_and_b32_e32 v43, 24, v39
	v_sub_u32_e32 v24, v6, v5
	;; [unrolled: 2-line block ×7, first 2 shown]
	v_sub_u32_e32 v23, v41, v22
	v_sub_u32_e32 v25, v43, v24
	;; [unrolled: 1-line block ×7, first 2 shown]
	v_cmp_ge_i32_e32 vcc, v41, v22
	v_cmp_ge_i32_e64 s[0:1], v43, v24
	v_cmp_ge_i32_e64 s[2:3], v45, v26
	;; [unrolled: 1-line block ×6, first 2 shown]
	v_cndmask_b32_e32 v22, 0, v23, vcc
	v_sub_u32_e32 v23, v2, v1
	v_cndmask_b32_e64 v24, 0, v25, s[0:1]
	v_sub_u32_e32 v25, v5, v4
	v_cndmask_b32_e64 v26, 0, v27, s[2:3]
	;; [unrolled: 2-line block ×6, first 2 shown]
	v_sub_u32_e32 v35, v20, v19
	v_mov_b32_e32 v36, 0x400
	v_min_i32_e32 v23, v41, v23
	v_min_i32_e32 v25, v43, v25
	;; [unrolled: 1-line block ×7, first 2 shown]
	v_sub_u32_e64 v37, v39, v36 clamp
	v_min_i32_e32 v38, 0x400, v39
	v_add_u32_e32 v40, v2, v41
	v_lshlrev_b32_e32 v41, 2, v41
	v_add_u32_e32 v42, v5, v43
	v_lshlrev_b32_e32 v43, 2, v43
	v_add_u32_e32 v44, v8, v45
	v_lshlrev_b32_e32 v45, 2, v45
	v_add_u32_e32 v46, v11, v47
	v_lshlrev_b32_e32 v47, 2, v47
	v_add_u32_e32 v48, v14, v49
	v_lshlrev_b32_e32 v49, 2, v49
	v_add_u32_e32 v50, v17, v51
	v_lshlrev_b32_e32 v51, 2, v51
	v_add_u32_e32 v52, v20, v53
	v_lshlrev_b32_e32 v53, 2, v53
	v_lshlrev_b32_e32 v54, 5, v0
	v_cmp_lt_i32_e32 vcc, v22, v23
	v_cmp_lt_i32_e64 s[0:1], v24, v25
	v_cmp_lt_i32_e64 s[2:3], v26, v27
	;; [unrolled: 1-line block ×7, first 2 shown]
	v_add_u32_e32 v39, 0x400, v39
	v_lshl_add_u32 v41, v2, 2, v41
	v_lshl_add_u32 v43, v5, 2, v43
	;; [unrolled: 1-line block ×7, first 2 shown]
	s_movk_i32 s33, 0x800
	s_waitcnt vmcnt(3)
	v_add_u32_e32 v63, 1, v83
	s_waitcnt vmcnt(2)
	v_add_u32_e32 v67, 1, v76
	;; [unrolled: 2-line block ×4, first 2 shown]
	v_add_u32_e32 v65, 1, v73
	v_add_u32_e32 v69, 1, v72
	;; [unrolled: 1-line block ×4, first 2 shown]
	v_lshlrev_b32_e32 v55, 2, v1
	v_lshlrev_b32_e32 v56, 2, v4
	;; [unrolled: 1-line block ×7, first 2 shown]
	v_add_u32_e32 v62, 0x1000, v54
	s_branch .LBB29_2
.LBB29_1:                               ;   in Loop: Header=BB29_2 Depth=1
	s_or_b64 exec, exec, s[28:29]
	v_cndmask_b32_e64 v83, v73, v74, s[14:15]
	v_cndmask_b32_e64 v76, v75, v76, s[16:17]
	;; [unrolled: 1-line block ×5, first 2 shown]
	v_cmp_ge_i32_e64 s[16:17], v100, v36
	s_waitcnt lgkmcnt(0)
	v_cmp_lt_i32_e64 s[18:19], v102, v101
	v_cndmask_b32_e64 v72, v71, v72, s[14:15]
	v_cmp_gt_i32_e64 s[14:15], s33, v98
	s_or_b64 s[16:17], s[16:17], s[18:19]
	v_cndmask_b32_e64 v75, v84, v85, s[20:21]
	v_cndmask_b32_e64 v79, v97, v96, s[22:23]
	;; [unrolled: 1-line block ×4, first 2 shown]
	s_and_b64 s[14:15], s[14:15], s[16:17]
	v_cndmask_b32_e64 v78, v100, v98, s[14:15]
	s_barrier
	ds_write2_b32 v54, v63, v64 offset1:1
	ds_write2_b32 v54, v65, v66 offset0:2 offset1:3
	ds_write2_b32 v54, v67, v68 offset0:4 offset1:5
	;; [unrolled: 1-line block ×3, first 2 shown]
	v_lshlrev_b32_e32 v63, 2, v72
	v_lshlrev_b32_e32 v64, 2, v77
	;; [unrolled: 1-line block ×6, first 2 shown]
	s_waitcnt lgkmcnt(0)
	s_barrier
	v_lshlrev_b32_e32 v72, 2, v99
	v_lshlrev_b32_e32 v77, 2, v78
	ds_read_b32 v63, v63
	ds_read_b32 v67, v64
	;; [unrolled: 1-line block ×8, first 2 shown]
	s_add_i32 s95, s95, 1
	v_cndmask_b32_e64 v73, v89, v91, s[24:25]
	v_cndmask_b32_e64 v71, v101, v102, s[14:15]
	;; [unrolled: 1-line block ×3, first 2 shown]
	s_cmp_eq_u32 s95, 10
	v_cndmask_b32_e64 v77, v94, v95, s[26:27]
	s_cbranch_scc1 .LBB29_258
.LBB29_2:                               ; =>This Loop Header: Depth=1
                                        ;     Child Loop BB29_4 Depth 2
                                        ;     Child Loop BB29_36 Depth 2
	;; [unrolled: 1-line block ×8, first 2 shown]
	v_cmp_lt_i32_e64 s[14:15], v76, v83
	v_cmp_lt_i32_e64 s[16:17], v75, v74
	v_cmp_lt_i32_e64 s[18:19], v72, v73
	v_cmp_lt_i32_e64 s[20:21], v71, v77
	v_cndmask_b32_e64 v78, v83, v76, s[14:15]
	v_cndmask_b32_e64 v76, v76, v83, s[14:15]
	v_cndmask_b32_e64 v79, v75, v74, s[16:17]
	v_cndmask_b32_e64 v74, v74, v75, s[16:17]
	v_cndmask_b32_e64 v75, v72, v73, s[18:19]
	v_cndmask_b32_e64 v72, v73, v72, s[18:19]
	v_cndmask_b32_e64 v73, v71, v77, s[20:21]
	v_cndmask_b32_e64 v71, v77, v71, s[20:21]
	v_cmp_lt_i32_e64 s[22:23], v74, v76
	v_cmp_lt_i32_e64 s[24:25], v72, v79
	v_cmp_lt_i32_e64 s[26:27], v71, v75
	v_cndmask_b32_e64 v77, v74, v76, s[22:23]
	v_cndmask_b32_e64 v74, v76, v74, s[22:23]
	v_cndmask_b32_e64 v76, v72, v79, s[24:25]
	v_cndmask_b32_e64 v72, v79, v72, s[24:25]
	v_cndmask_b32_e64 v79, v71, v75, s[26:27]
	v_cndmask_b32_e64 v71, v75, v71, s[26:27]
	v_cmp_lt_i32_e64 s[28:29], v74, v78
	v_cmp_lt_i32_e64 s[30:31], v72, v77
	v_cmp_lt_i32_e64 s[34:35], v71, v76
	v_cmp_lt_i32_e64 s[36:37], v73, v79
	v_cndmask_b32_e64 v75, v78, v74, s[28:29]
	v_cndmask_b32_e64 v74, v74, v78, s[28:29]
	v_cndmask_b32_e64 v78, v72, v77, s[30:31]
	v_cndmask_b32_e64 v72, v77, v72, s[30:31]
	v_cndmask_b32_e64 v77, v71, v76, s[34:35]
	v_cndmask_b32_e64 v71, v76, v71, s[34:35]
	v_cndmask_b32_e64 v76, v73, v79, s[36:37]
	v_cndmask_b32_e64 v73, v79, v73, s[36:37]
	v_cmp_lt_i32_e64 s[38:39], v72, v74
	v_cmp_lt_i32_e64 s[40:41], v71, v78
	v_cmp_lt_i32_e64 s[42:43], v73, v77
	v_cndmask_b32_e64 v79, v72, v74, s[38:39]
	v_cndmask_b32_e64 v72, v74, v72, s[38:39]
	v_cndmask_b32_e64 v74, v71, v78, s[40:41]
	v_cndmask_b32_e64 v71, v78, v71, s[40:41]
	v_cndmask_b32_e64 v78, v73, v77, s[42:43]
	v_cndmask_b32_e64 v73, v77, v73, s[42:43]
	;; [unrolled: 21-line block ×3, first 2 shown]
	v_cmp_lt_i32_e64 s[58:59], v71, v77
	v_cmp_lt_i32_e64 s[60:61], v73, v78
	;; [unrolled: 1-line block ×3, first 2 shown]
	v_cndmask_b32_e64 v79, v77, v71, s[58:59]
	v_cndmask_b32_e64 v71, v71, v77, s[58:59]
	;; [unrolled: 1-line block ×6, first 2 shown]
	v_cmp_lt_i32_e64 s[64:65], v74, v75
	v_cndmask_b32_e64 v76, v74, v75, s[64:65]
	v_cndmask_b32_e64 v74, v75, v74, s[64:65]
	v_cmp_lt_i32_e64 s[66:67], v73, v71
	v_cmp_lt_i32_e64 s[68:69], v72, v77
	v_cndmask_b32_e64 v75, v73, v71, s[66:67]
	v_cndmask_b32_e64 v71, v71, v73, s[66:67]
	;; [unrolled: 1-line block ×3, first 2 shown]
	v_cmp_lt_i32_e64 s[70:71], v74, v78
	v_cndmask_b32_e64 v72, v77, v72, s[68:69]
	v_cndmask_b32_e64 v77, v74, v78, s[70:71]
	;; [unrolled: 1-line block ×3, first 2 shown]
	s_waitcnt lgkmcnt(0)
	s_barrier
	ds_write2_b32 v54, v79, v71 offset1:1
	ds_write2_b32 v54, v75, v72 offset0:2 offset1:3
	ds_write2_b32 v54, v73, v74 offset0:4 offset1:5
	ds_write2_b32 v54, v77, v76 offset0:6 offset1:7
	v_mov_b32_e32 v73, v22
	s_waitcnt lgkmcnt(0)
	s_barrier
	s_and_saveexec_b64 s[74:75], vcc
	s_cbranch_execz .LBB29_6
; %bb.3:                                ;   in Loop: Header=BB29_2 Depth=1
	s_mov_b64 s[76:77], 0
	v_mov_b32_e32 v73, v22
	v_mov_b32_e32 v71, v23
.LBB29_4:                               ;   Parent Loop BB29_2 Depth=1
                                        ; =>  This Inner Loop Header: Depth=2
	v_sub_u32_e32 v72, v71, v73
	v_lshrrev_b32_e32 v72, 1, v72
	v_add_u32_e32 v72, v72, v73
	v_not_b32_e32 v75, v72
	v_lshl_add_u32 v74, v72, 2, v55
	v_lshl_add_u32 v75, v75, 2, v41
	ds_read_b32 v74, v74
	ds_read_b32 v75, v75
	v_add_u32_e32 v76, 1, v72
	s_waitcnt lgkmcnt(0)
	v_cmp_lt_i32_e64 s[72:73], v75, v74
	v_cndmask_b32_e64 v71, v71, v72, s[72:73]
	v_cndmask_b32_e64 v73, v76, v73, s[72:73]
	v_cmp_ge_i32_e64 s[72:73], v73, v71
	s_or_b64 s[76:77], s[72:73], s[76:77]
	s_andn2_b64 exec, exec, s[76:77]
	s_cbranch_execnz .LBB29_4
; %bb.5:                                ;   in Loop: Header=BB29_2 Depth=1
	s_or_b64 exec, exec, s[76:77]
.LBB29_6:                               ;   in Loop: Header=BB29_2 Depth=1
	s_or_b64 exec, exec, s[74:75]
	v_sub_u32_e32 v71, v40, v73
	v_lshl_add_u32 v76, v73, 2, v55
	v_lshlrev_b32_e32 v77, 2, v71
	ds_read_b32 v72, v76
	ds_read_b32 v74, v77
	v_add_u32_e32 v73, v73, v1
	v_cmp_le_i32_e64 s[74:75], v2, v73
	v_cmp_gt_i32_e64 s[72:73], v3, v71
                                        ; implicit-def: $vgpr75
	s_waitcnt lgkmcnt(0)
	v_cmp_lt_i32_e64 s[76:77], v74, v72
	s_or_b64 s[74:75], s[74:75], s[76:77]
	s_and_b64 s[72:73], s[72:73], s[74:75]
	s_xor_b64 s[74:75], s[72:73], -1
	s_and_saveexec_b64 s[76:77], s[74:75]
	s_xor_b64 s[74:75], exec, s[76:77]
; %bb.7:                                ;   in Loop: Header=BB29_2 Depth=1
	ds_read_b32 v75, v76 offset:4
                                        ; implicit-def: $vgpr77
; %bb.8:                                ;   in Loop: Header=BB29_2 Depth=1
	s_or_saveexec_b64 s[74:75], s[74:75]
	v_mov_b32_e32 v76, v74
	s_xor_b64 exec, exec, s[74:75]
	s_cbranch_execz .LBB29_10
; %bb.9:                                ;   in Loop: Header=BB29_2 Depth=1
	ds_read_b32 v76, v77 offset:4
	s_waitcnt lgkmcnt(1)
	v_mov_b32_e32 v75, v72
.LBB29_10:                              ;   in Loop: Header=BB29_2 Depth=1
	s_or_b64 exec, exec, s[74:75]
	v_add_u32_e32 v78, 1, v73
	v_add_u32_e32 v77, 1, v71
	v_cndmask_b32_e64 v78, v78, v73, s[72:73]
	v_cndmask_b32_e64 v77, v71, v77, s[72:73]
	v_cmp_ge_i32_e64 s[76:77], v78, v2
	s_waitcnt lgkmcnt(0)
	v_cmp_lt_i32_e64 s[78:79], v76, v75
	v_cmp_lt_i32_e64 s[74:75], v77, v3
	s_or_b64 s[76:77], s[76:77], s[78:79]
	s_and_b64 s[74:75], s[74:75], s[76:77]
	s_xor_b64 s[76:77], s[74:75], -1
                                        ; implicit-def: $vgpr79
	s_and_saveexec_b64 s[78:79], s[76:77]
	s_xor_b64 s[76:77], exec, s[78:79]
; %bb.11:                               ;   in Loop: Header=BB29_2 Depth=1
	v_lshlrev_b32_e32 v79, 2, v78
	ds_read_b32 v79, v79 offset:4
; %bb.12:                               ;   in Loop: Header=BB29_2 Depth=1
	s_or_saveexec_b64 s[76:77], s[76:77]
	v_mov_b32_e32 v80, v76
	s_xor_b64 exec, exec, s[76:77]
	s_cbranch_execz .LBB29_14
; %bb.13:                               ;   in Loop: Header=BB29_2 Depth=1
	s_waitcnt lgkmcnt(0)
	v_lshlrev_b32_e32 v79, 2, v77
	ds_read_b32 v80, v79 offset:4
	v_mov_b32_e32 v79, v75
.LBB29_14:                              ;   in Loop: Header=BB29_2 Depth=1
	s_or_b64 exec, exec, s[76:77]
	v_add_u32_e32 v82, 1, v78
	v_add_u32_e32 v81, 1, v77
	v_cndmask_b32_e64 v82, v82, v78, s[74:75]
	v_cndmask_b32_e64 v81, v77, v81, s[74:75]
	v_cmp_ge_i32_e64 s[78:79], v82, v2
	s_waitcnt lgkmcnt(0)
	v_cmp_lt_i32_e64 s[80:81], v80, v79
	v_cmp_lt_i32_e64 s[76:77], v81, v3
	s_or_b64 s[78:79], s[78:79], s[80:81]
	s_and_b64 s[76:77], s[76:77], s[78:79]
	s_xor_b64 s[78:79], s[76:77], -1
                                        ; implicit-def: $vgpr83
	s_and_saveexec_b64 s[80:81], s[78:79]
	s_xor_b64 s[78:79], exec, s[80:81]
; %bb.15:                               ;   in Loop: Header=BB29_2 Depth=1
	v_lshlrev_b32_e32 v83, 2, v82
	ds_read_b32 v83, v83 offset:4
; %bb.16:                               ;   in Loop: Header=BB29_2 Depth=1
	s_or_saveexec_b64 s[78:79], s[78:79]
	v_mov_b32_e32 v84, v80
	s_xor_b64 exec, exec, s[78:79]
	s_cbranch_execz .LBB29_18
; %bb.17:                               ;   in Loop: Header=BB29_2 Depth=1
	s_waitcnt lgkmcnt(0)
	v_lshlrev_b32_e32 v83, 2, v81
	ds_read_b32 v84, v83 offset:4
	v_mov_b32_e32 v83, v79
.LBB29_18:                              ;   in Loop: Header=BB29_2 Depth=1
	s_or_b64 exec, exec, s[78:79]
	v_add_u32_e32 v86, 1, v82
	v_add_u32_e32 v85, 1, v81
	v_cndmask_b32_e64 v86, v86, v82, s[76:77]
	v_cndmask_b32_e64 v85, v81, v85, s[76:77]
	v_cmp_ge_i32_e64 s[80:81], v86, v2
	s_waitcnt lgkmcnt(0)
	v_cmp_lt_i32_e64 s[82:83], v84, v83
	v_cmp_lt_i32_e64 s[78:79], v85, v3
	s_or_b64 s[80:81], s[80:81], s[82:83]
	s_and_b64 s[78:79], s[78:79], s[80:81]
	s_xor_b64 s[80:81], s[78:79], -1
                                        ; implicit-def: $vgpr87
	s_and_saveexec_b64 s[82:83], s[80:81]
	s_xor_b64 s[80:81], exec, s[82:83]
; %bb.19:                               ;   in Loop: Header=BB29_2 Depth=1
	v_lshlrev_b32_e32 v87, 2, v86
	ds_read_b32 v87, v87 offset:4
; %bb.20:                               ;   in Loop: Header=BB29_2 Depth=1
	s_or_saveexec_b64 s[80:81], s[80:81]
	v_mov_b32_e32 v88, v84
	s_xor_b64 exec, exec, s[80:81]
	s_cbranch_execz .LBB29_22
; %bb.21:                               ;   in Loop: Header=BB29_2 Depth=1
	s_waitcnt lgkmcnt(0)
	v_lshlrev_b32_e32 v87, 2, v85
	ds_read_b32 v88, v87 offset:4
	v_mov_b32_e32 v87, v83
.LBB29_22:                              ;   in Loop: Header=BB29_2 Depth=1
	s_or_b64 exec, exec, s[80:81]
	v_add_u32_e32 v90, 1, v86
	v_add_u32_e32 v89, 1, v85
	v_cndmask_b32_e64 v90, v90, v86, s[78:79]
	v_cndmask_b32_e64 v89, v85, v89, s[78:79]
	v_cmp_ge_i32_e64 s[82:83], v90, v2
	s_waitcnt lgkmcnt(0)
	v_cmp_lt_i32_e64 s[84:85], v88, v87
	v_cmp_lt_i32_e64 s[80:81], v89, v3
	s_or_b64 s[82:83], s[82:83], s[84:85]
	s_and_b64 s[80:81], s[80:81], s[82:83]
	s_xor_b64 s[82:83], s[80:81], -1
                                        ; implicit-def: $vgpr91
	s_and_saveexec_b64 s[84:85], s[82:83]
	s_xor_b64 s[82:83], exec, s[84:85]
; %bb.23:                               ;   in Loop: Header=BB29_2 Depth=1
	v_lshlrev_b32_e32 v91, 2, v90
	ds_read_b32 v91, v91 offset:4
; %bb.24:                               ;   in Loop: Header=BB29_2 Depth=1
	s_or_saveexec_b64 s[82:83], s[82:83]
	v_mov_b32_e32 v93, v88
	s_xor_b64 exec, exec, s[82:83]
	s_cbranch_execz .LBB29_26
; %bb.25:                               ;   in Loop: Header=BB29_2 Depth=1
	s_waitcnt lgkmcnt(0)
	v_lshlrev_b32_e32 v91, 2, v89
	ds_read_b32 v93, v91 offset:4
	v_mov_b32_e32 v91, v87
.LBB29_26:                              ;   in Loop: Header=BB29_2 Depth=1
	s_or_b64 exec, exec, s[82:83]
	v_add_u32_e32 v94, 1, v90
	v_add_u32_e32 v92, 1, v89
	v_cndmask_b32_e64 v96, v94, v90, s[80:81]
	v_cndmask_b32_e64 v95, v89, v92, s[80:81]
	v_cmp_ge_i32_e64 s[84:85], v96, v2
	s_waitcnt lgkmcnt(0)
	v_cmp_lt_i32_e64 s[86:87], v93, v91
	v_cmp_lt_i32_e64 s[82:83], v95, v3
	s_or_b64 s[84:85], s[84:85], s[86:87]
	s_and_b64 s[82:83], s[82:83], s[84:85]
	s_xor_b64 s[84:85], s[82:83], -1
                                        ; implicit-def: $vgpr97
	s_and_saveexec_b64 s[86:87], s[84:85]
	s_xor_b64 s[84:85], exec, s[86:87]
; %bb.27:                               ;   in Loop: Header=BB29_2 Depth=1
	v_lshlrev_b32_e32 v92, 2, v96
	ds_read_b32 v97, v92 offset:4
; %bb.28:                               ;   in Loop: Header=BB29_2 Depth=1
	s_or_saveexec_b64 s[84:85], s[84:85]
	v_mov_b32_e32 v98, v93
	s_xor_b64 exec, exec, s[84:85]
	s_cbranch_execz .LBB29_30
; %bb.29:                               ;   in Loop: Header=BB29_2 Depth=1
	v_lshlrev_b32_e32 v92, 2, v95
	ds_read_b32 v98, v92 offset:4
	s_waitcnt lgkmcnt(1)
	v_mov_b32_e32 v97, v91
.LBB29_30:                              ;   in Loop: Header=BB29_2 Depth=1
	s_or_b64 exec, exec, s[84:85]
	v_add_u32_e32 v94, 1, v96
	v_add_u32_e32 v92, 1, v95
	v_cndmask_b32_e64 v100, v94, v96, s[82:83]
	v_cndmask_b32_e64 v99, v95, v92, s[82:83]
	v_cmp_ge_i32_e64 s[86:87], v100, v2
	s_waitcnt lgkmcnt(0)
	v_cmp_lt_i32_e64 s[88:89], v98, v97
	v_cmp_lt_i32_e64 s[84:85], v99, v3
	s_or_b64 s[86:87], s[86:87], s[88:89]
	s_and_b64 s[84:85], s[84:85], s[86:87]
	s_xor_b64 s[86:87], s[84:85], -1
                                        ; implicit-def: $vgpr92
	s_and_saveexec_b64 s[88:89], s[86:87]
	s_xor_b64 s[86:87], exec, s[88:89]
; %bb.31:                               ;   in Loop: Header=BB29_2 Depth=1
	v_lshlrev_b32_e32 v92, 2, v100
	ds_read_b32 v92, v92 offset:4
; %bb.32:                               ;   in Loop: Header=BB29_2 Depth=1
	s_or_saveexec_b64 s[86:87], s[86:87]
	v_mov_b32_e32 v94, v98
	s_xor_b64 exec, exec, s[86:87]
	s_cbranch_execz .LBB29_34
; %bb.33:                               ;   in Loop: Header=BB29_2 Depth=1
	s_waitcnt lgkmcnt(0)
	v_lshlrev_b32_e32 v92, 2, v99
	ds_read_b32 v94, v92 offset:4
	v_mov_b32_e32 v92, v97
.LBB29_34:                              ;   in Loop: Header=BB29_2 Depth=1
	s_or_b64 exec, exec, s[86:87]
	v_cndmask_b32_e64 v71, v73, v71, s[72:73]
	v_cndmask_b32_e64 v73, v63, v67, s[14:15]
	;; [unrolled: 1-line block ×15, first 2 shown]
	v_add_u32_e32 v101, 1, v100
	v_cndmask_b32_e64 v68, v73, v63, s[28:29]
	v_cndmask_b32_e64 v63, v63, v73, s[28:29]
	v_cndmask_b32_e64 v73, v65, v70, s[30:31]
	v_cndmask_b32_e64 v65, v70, v65, s[30:31]
	v_cndmask_b32_e64 v70, v66, v64, s[34:35]
	v_cndmask_b32_e64 v64, v64, v66, s[34:35]
	v_cndmask_b32_e64 v66, v69, v67, s[36:37]
	v_cndmask_b32_e64 v67, v67, v69, s[36:37]
	v_cndmask_b32_e64 v97, v97, v98, s[84:85]
	v_add_u32_e32 v98, 1, v99
	v_cndmask_b32_e64 v101, v101, v100, s[84:85]
	v_cndmask_b32_e64 v69, v65, v63, s[38:39]
	;; [unrolled: 1-line block ×16, first 2 shown]
	v_cmp_ge_i32_e64 s[16:17], v101, v2
	s_waitcnt lgkmcnt(0)
	v_cmp_lt_i32_e64 s[18:19], v94, v92
	v_cndmask_b32_e64 v73, v64, v63, s[52:53]
	v_cndmask_b32_e64 v63, v63, v64, s[52:53]
	;; [unrolled: 1-line block ×6, first 2 shown]
	v_cmp_lt_i32_e64 s[14:15], v98, v3
	s_or_b64 s[16:17], s[16:17], s[18:19]
	v_cndmask_b32_e64 v69, v70, v63, s[58:59]
	v_cndmask_b32_e64 v63, v63, v70, s[58:59]
	;; [unrolled: 1-line block ×8, first 2 shown]
	s_and_b64 s[14:15], s[14:15], s[16:17]
	v_cndmask_b32_e64 v99, v100, v99, s[84:85]
	v_cndmask_b32_e64 v91, v91, v93, s[82:83]
	;; [unrolled: 1-line block ×19, first 2 shown]
	s_barrier
	ds_write2_b32 v54, v69, v63 offset1:1
	ds_write2_b32 v54, v68, v64 offset0:2 offset1:3
	ds_write2_b32 v54, v65, v67 offset0:4 offset1:5
	;; [unrolled: 1-line block ×3, first 2 shown]
	v_lshlrev_b32_e32 v63, 2, v71
	v_lshlrev_b32_e32 v64, 2, v76
	;; [unrolled: 1-line block ×8, first 2 shown]
	s_waitcnt lgkmcnt(0)
	s_barrier
	ds_read_b32 v63, v63
	ds_read_b32 v64, v64
	;; [unrolled: 1-line block ×8, first 2 shown]
	v_cndmask_b32_e64 v73, v92, v94, s[14:15]
	s_waitcnt lgkmcnt(0)
	s_barrier
	ds_write2_b32 v54, v72, v75 offset1:1
	ds_write2_b32 v54, v79, v83 offset0:2 offset1:3
	ds_write2_b32 v54, v87, v91 offset0:4 offset1:5
	;; [unrolled: 1-line block ×3, first 2 shown]
	v_mov_b32_e32 v73, v24
	s_waitcnt lgkmcnt(0)
	s_barrier
	s_and_saveexec_b64 s[16:17], s[0:1]
	s_cbranch_execz .LBB29_38
; %bb.35:                               ;   in Loop: Header=BB29_2 Depth=1
	s_mov_b64 s[18:19], 0
	v_mov_b32_e32 v73, v24
	v_mov_b32_e32 v71, v25
.LBB29_36:                              ;   Parent Loop BB29_2 Depth=1
                                        ; =>  This Inner Loop Header: Depth=2
	v_sub_u32_e32 v72, v71, v73
	v_lshrrev_b32_e32 v72, 1, v72
	v_add_u32_e32 v72, v72, v73
	v_not_b32_e32 v75, v72
	v_lshl_add_u32 v74, v72, 2, v56
	v_lshl_add_u32 v75, v75, 2, v43
	ds_read_b32 v74, v74
	ds_read_b32 v75, v75
	v_add_u32_e32 v76, 1, v72
	s_waitcnt lgkmcnt(0)
	v_cmp_lt_i32_e64 s[14:15], v75, v74
	v_cndmask_b32_e64 v71, v71, v72, s[14:15]
	v_cndmask_b32_e64 v73, v76, v73, s[14:15]
	v_cmp_ge_i32_e64 s[14:15], v73, v71
	s_or_b64 s[18:19], s[14:15], s[18:19]
	s_andn2_b64 exec, exec, s[18:19]
	s_cbranch_execnz .LBB29_36
; %bb.37:                               ;   in Loop: Header=BB29_2 Depth=1
	s_or_b64 exec, exec, s[18:19]
.LBB29_38:                              ;   in Loop: Header=BB29_2 Depth=1
	s_or_b64 exec, exec, s[16:17]
	v_sub_u32_e32 v71, v42, v73
	v_lshl_add_u32 v76, v73, 2, v56
	v_lshlrev_b32_e32 v77, 2, v71
	ds_read_b32 v72, v76
	ds_read_b32 v74, v77
	v_add_u32_e32 v73, v73, v4
	v_cmp_le_i32_e64 s[16:17], v5, v73
	v_cmp_gt_i32_e64 s[14:15], v6, v71
                                        ; implicit-def: $vgpr75
	s_waitcnt lgkmcnt(0)
	v_cmp_lt_i32_e64 s[18:19], v74, v72
	s_or_b64 s[16:17], s[16:17], s[18:19]
	s_and_b64 s[14:15], s[14:15], s[16:17]
	s_xor_b64 s[16:17], s[14:15], -1
	s_and_saveexec_b64 s[18:19], s[16:17]
	s_xor_b64 s[16:17], exec, s[18:19]
; %bb.39:                               ;   in Loop: Header=BB29_2 Depth=1
	ds_read_b32 v75, v76 offset:4
                                        ; implicit-def: $vgpr77
; %bb.40:                               ;   in Loop: Header=BB29_2 Depth=1
	s_or_saveexec_b64 s[16:17], s[16:17]
	v_mov_b32_e32 v76, v74
	s_xor_b64 exec, exec, s[16:17]
	s_cbranch_execz .LBB29_42
; %bb.41:                               ;   in Loop: Header=BB29_2 Depth=1
	ds_read_b32 v76, v77 offset:4
	s_waitcnt lgkmcnt(1)
	v_mov_b32_e32 v75, v72
.LBB29_42:                              ;   in Loop: Header=BB29_2 Depth=1
	s_or_b64 exec, exec, s[16:17]
	v_add_u32_e32 v78, 1, v73
	v_add_u32_e32 v77, 1, v71
	v_cndmask_b32_e64 v78, v78, v73, s[14:15]
	v_cndmask_b32_e64 v77, v71, v77, s[14:15]
	v_cmp_ge_i32_e64 s[18:19], v78, v5
	s_waitcnt lgkmcnt(0)
	v_cmp_lt_i32_e64 s[20:21], v76, v75
	v_cmp_lt_i32_e64 s[16:17], v77, v6
	s_or_b64 s[18:19], s[18:19], s[20:21]
	s_and_b64 s[16:17], s[16:17], s[18:19]
	s_xor_b64 s[18:19], s[16:17], -1
                                        ; implicit-def: $vgpr79
	s_and_saveexec_b64 s[20:21], s[18:19]
	s_xor_b64 s[18:19], exec, s[20:21]
; %bb.43:                               ;   in Loop: Header=BB29_2 Depth=1
	v_lshlrev_b32_e32 v79, 2, v78
	ds_read_b32 v79, v79 offset:4
; %bb.44:                               ;   in Loop: Header=BB29_2 Depth=1
	s_or_saveexec_b64 s[18:19], s[18:19]
	v_mov_b32_e32 v80, v76
	s_xor_b64 exec, exec, s[18:19]
	s_cbranch_execz .LBB29_46
; %bb.45:                               ;   in Loop: Header=BB29_2 Depth=1
	s_waitcnt lgkmcnt(0)
	v_lshlrev_b32_e32 v79, 2, v77
	ds_read_b32 v80, v79 offset:4
	v_mov_b32_e32 v79, v75
.LBB29_46:                              ;   in Loop: Header=BB29_2 Depth=1
	s_or_b64 exec, exec, s[18:19]
	v_add_u32_e32 v82, 1, v78
	v_add_u32_e32 v81, 1, v77
	v_cndmask_b32_e64 v82, v82, v78, s[16:17]
	v_cndmask_b32_e64 v81, v77, v81, s[16:17]
	v_cmp_ge_i32_e64 s[20:21], v82, v5
	s_waitcnt lgkmcnt(0)
	v_cmp_lt_i32_e64 s[22:23], v80, v79
	v_cmp_lt_i32_e64 s[18:19], v81, v6
	s_or_b64 s[20:21], s[20:21], s[22:23]
	s_and_b64 s[18:19], s[18:19], s[20:21]
	s_xor_b64 s[20:21], s[18:19], -1
                                        ; implicit-def: $vgpr83
	s_and_saveexec_b64 s[22:23], s[20:21]
	s_xor_b64 s[20:21], exec, s[22:23]
; %bb.47:                               ;   in Loop: Header=BB29_2 Depth=1
	v_lshlrev_b32_e32 v83, 2, v82
	ds_read_b32 v83, v83 offset:4
; %bb.48:                               ;   in Loop: Header=BB29_2 Depth=1
	s_or_saveexec_b64 s[20:21], s[20:21]
	v_mov_b32_e32 v84, v80
	s_xor_b64 exec, exec, s[20:21]
	s_cbranch_execz .LBB29_50
; %bb.49:                               ;   in Loop: Header=BB29_2 Depth=1
	s_waitcnt lgkmcnt(0)
	v_lshlrev_b32_e32 v83, 2, v81
	ds_read_b32 v84, v83 offset:4
	v_mov_b32_e32 v83, v79
.LBB29_50:                              ;   in Loop: Header=BB29_2 Depth=1
	s_or_b64 exec, exec, s[20:21]
	v_add_u32_e32 v86, 1, v82
	v_add_u32_e32 v85, 1, v81
	v_cndmask_b32_e64 v86, v86, v82, s[18:19]
	v_cndmask_b32_e64 v85, v81, v85, s[18:19]
	v_cmp_ge_i32_e64 s[22:23], v86, v5
	s_waitcnt lgkmcnt(0)
	v_cmp_lt_i32_e64 s[24:25], v84, v83
	v_cmp_lt_i32_e64 s[20:21], v85, v6
	s_or_b64 s[22:23], s[22:23], s[24:25]
	s_and_b64 s[20:21], s[20:21], s[22:23]
	s_xor_b64 s[22:23], s[20:21], -1
                                        ; implicit-def: $vgpr87
	s_and_saveexec_b64 s[24:25], s[22:23]
	s_xor_b64 s[22:23], exec, s[24:25]
; %bb.51:                               ;   in Loop: Header=BB29_2 Depth=1
	v_lshlrev_b32_e32 v87, 2, v86
	ds_read_b32 v87, v87 offset:4
; %bb.52:                               ;   in Loop: Header=BB29_2 Depth=1
	s_or_saveexec_b64 s[22:23], s[22:23]
	v_mov_b32_e32 v88, v84
	s_xor_b64 exec, exec, s[22:23]
	s_cbranch_execz .LBB29_54
; %bb.53:                               ;   in Loop: Header=BB29_2 Depth=1
	s_waitcnt lgkmcnt(0)
	v_lshlrev_b32_e32 v87, 2, v85
	ds_read_b32 v88, v87 offset:4
	v_mov_b32_e32 v87, v83
.LBB29_54:                              ;   in Loop: Header=BB29_2 Depth=1
	s_or_b64 exec, exec, s[22:23]
	v_add_u32_e32 v90, 1, v86
	v_add_u32_e32 v89, 1, v85
	v_cndmask_b32_e64 v90, v90, v86, s[20:21]
	v_cndmask_b32_e64 v89, v85, v89, s[20:21]
	v_cmp_ge_i32_e64 s[24:25], v90, v5
	s_waitcnt lgkmcnt(0)
	v_cmp_lt_i32_e64 s[26:27], v88, v87
	v_cmp_lt_i32_e64 s[22:23], v89, v6
	s_or_b64 s[24:25], s[24:25], s[26:27]
	s_and_b64 s[22:23], s[22:23], s[24:25]
	s_xor_b64 s[24:25], s[22:23], -1
                                        ; implicit-def: $vgpr91
	s_and_saveexec_b64 s[26:27], s[24:25]
	s_xor_b64 s[24:25], exec, s[26:27]
; %bb.55:                               ;   in Loop: Header=BB29_2 Depth=1
	v_lshlrev_b32_e32 v91, 2, v90
	ds_read_b32 v91, v91 offset:4
; %bb.56:                               ;   in Loop: Header=BB29_2 Depth=1
	s_or_saveexec_b64 s[24:25], s[24:25]
	v_mov_b32_e32 v92, v88
	s_xor_b64 exec, exec, s[24:25]
	s_cbranch_execz .LBB29_58
; %bb.57:                               ;   in Loop: Header=BB29_2 Depth=1
	s_waitcnt lgkmcnt(0)
	v_lshlrev_b32_e32 v91, 2, v89
	ds_read_b32 v92, v91 offset:4
	v_mov_b32_e32 v91, v87
.LBB29_58:                              ;   in Loop: Header=BB29_2 Depth=1
	s_or_b64 exec, exec, s[24:25]
	v_add_u32_e32 v94, 1, v90
	v_add_u32_e32 v93, 1, v89
	v_cndmask_b32_e64 v94, v94, v90, s[22:23]
	v_cndmask_b32_e64 v93, v89, v93, s[22:23]
	v_cmp_ge_i32_e64 s[26:27], v94, v5
	s_waitcnt lgkmcnt(0)
	v_cmp_lt_i32_e64 s[28:29], v92, v91
	v_cmp_lt_i32_e64 s[24:25], v93, v6
	s_or_b64 s[26:27], s[26:27], s[28:29]
	s_and_b64 s[24:25], s[24:25], s[26:27]
	s_xor_b64 s[26:27], s[24:25], -1
                                        ; implicit-def: $vgpr95
	s_and_saveexec_b64 s[28:29], s[26:27]
	s_xor_b64 s[26:27], exec, s[28:29]
; %bb.59:                               ;   in Loop: Header=BB29_2 Depth=1
	v_lshlrev_b32_e32 v95, 2, v94
	ds_read_b32 v95, v95 offset:4
; %bb.60:                               ;   in Loop: Header=BB29_2 Depth=1
	s_or_saveexec_b64 s[26:27], s[26:27]
	v_mov_b32_e32 v96, v92
	s_xor_b64 exec, exec, s[26:27]
	s_cbranch_execz .LBB29_62
; %bb.61:                               ;   in Loop: Header=BB29_2 Depth=1
	s_waitcnt lgkmcnt(0)
	v_lshlrev_b32_e32 v95, 2, v93
	ds_read_b32 v96, v95 offset:4
	v_mov_b32_e32 v95, v91
.LBB29_62:                              ;   in Loop: Header=BB29_2 Depth=1
	s_or_b64 exec, exec, s[26:27]
	v_add_u32_e32 v99, 1, v94
	v_add_u32_e32 v97, 1, v93
	v_cndmask_b32_e64 v99, v99, v94, s[24:25]
	v_cndmask_b32_e64 v98, v93, v97, s[24:25]
	v_cmp_ge_i32_e64 s[28:29], v99, v5
	s_waitcnt lgkmcnt(0)
	v_cmp_lt_i32_e64 s[30:31], v96, v95
	v_cmp_lt_i32_e64 s[26:27], v98, v6
	s_or_b64 s[28:29], s[28:29], s[30:31]
	s_and_b64 s[26:27], s[26:27], s[28:29]
	s_xor_b64 s[28:29], s[26:27], -1
                                        ; implicit-def: $vgpr97
	s_and_saveexec_b64 s[30:31], s[28:29]
	s_xor_b64 s[28:29], exec, s[30:31]
; %bb.63:                               ;   in Loop: Header=BB29_2 Depth=1
	v_lshlrev_b32_e32 v97, 2, v99
	ds_read_b32 v97, v97 offset:4
; %bb.64:                               ;   in Loop: Header=BB29_2 Depth=1
	s_or_saveexec_b64 s[28:29], s[28:29]
	v_mov_b32_e32 v100, v96
	s_xor_b64 exec, exec, s[28:29]
	s_cbranch_execz .LBB29_66
; %bb.65:                               ;   in Loop: Header=BB29_2 Depth=1
	s_waitcnt lgkmcnt(0)
	v_lshlrev_b32_e32 v97, 2, v98
	ds_read_b32 v100, v97 offset:4
	v_mov_b32_e32 v97, v95
.LBB29_66:                              ;   in Loop: Header=BB29_2 Depth=1
	s_or_b64 exec, exec, s[28:29]
	v_add_u32_e32 v101, 1, v99
	v_cndmask_b32_e64 v95, v95, v96, s[26:27]
	v_add_u32_e32 v96, 1, v98
	v_cndmask_b32_e64 v101, v101, v99, s[26:27]
	v_cndmask_b32_e64 v96, v98, v96, s[26:27]
	;; [unrolled: 1-line block ×6, first 2 shown]
	v_cmp_ge_i32_e64 s[16:17], v101, v5
	s_waitcnt lgkmcnt(0)
	v_cmp_lt_i32_e64 s[18:19], v100, v97
	v_cndmask_b32_e64 v72, v72, v74, s[14:15]
	v_cndmask_b32_e64 v71, v73, v71, s[14:15]
	v_cmp_lt_i32_e64 s[14:15], v96, v6
	s_or_b64 s[16:17], s[16:17], s[18:19]
	s_and_b64 s[14:15], s[14:15], s[16:17]
	v_cndmask_b32_e64 v98, v99, v98, s[26:27]
	v_cndmask_b32_e64 v91, v91, v92, s[24:25]
	;; [unrolled: 1-line block ×8, first 2 shown]
	s_barrier
	ds_write2_b32 v54, v63, v64 offset1:1
	ds_write2_b32 v54, v65, v66 offset0:2 offset1:3
	ds_write2_b32 v54, v67, v68 offset0:4 offset1:5
	;; [unrolled: 1-line block ×3, first 2 shown]
	v_lshlrev_b32_e32 v63, 2, v71
	v_lshlrev_b32_e32 v64, 2, v76
	;; [unrolled: 1-line block ×8, first 2 shown]
	s_waitcnt lgkmcnt(0)
	s_barrier
	ds_read_b32 v63, v63
	ds_read_b32 v64, v64
	;; [unrolled: 1-line block ×8, first 2 shown]
	v_cndmask_b32_e64 v73, v97, v100, s[14:15]
	s_waitcnt lgkmcnt(0)
	s_barrier
	ds_write2_b32 v54, v72, v75 offset1:1
	ds_write2_b32 v54, v79, v83 offset0:2 offset1:3
	ds_write2_b32 v54, v87, v91 offset0:4 offset1:5
	;; [unrolled: 1-line block ×3, first 2 shown]
	v_mov_b32_e32 v73, v26
	s_waitcnt lgkmcnt(0)
	s_barrier
	s_and_saveexec_b64 s[16:17], s[2:3]
	s_cbranch_execz .LBB29_70
; %bb.67:                               ;   in Loop: Header=BB29_2 Depth=1
	s_mov_b64 s[18:19], 0
	v_mov_b32_e32 v73, v26
	v_mov_b32_e32 v71, v27
.LBB29_68:                              ;   Parent Loop BB29_2 Depth=1
                                        ; =>  This Inner Loop Header: Depth=2
	v_sub_u32_e32 v72, v71, v73
	v_lshrrev_b32_e32 v72, 1, v72
	v_add_u32_e32 v72, v72, v73
	v_not_b32_e32 v75, v72
	v_lshl_add_u32 v74, v72, 2, v57
	v_lshl_add_u32 v75, v75, 2, v45
	ds_read_b32 v74, v74
	ds_read_b32 v75, v75
	v_add_u32_e32 v76, 1, v72
	s_waitcnt lgkmcnt(0)
	v_cmp_lt_i32_e64 s[14:15], v75, v74
	v_cndmask_b32_e64 v71, v71, v72, s[14:15]
	v_cndmask_b32_e64 v73, v76, v73, s[14:15]
	v_cmp_ge_i32_e64 s[14:15], v73, v71
	s_or_b64 s[18:19], s[14:15], s[18:19]
	s_andn2_b64 exec, exec, s[18:19]
	s_cbranch_execnz .LBB29_68
; %bb.69:                               ;   in Loop: Header=BB29_2 Depth=1
	s_or_b64 exec, exec, s[18:19]
.LBB29_70:                              ;   in Loop: Header=BB29_2 Depth=1
	s_or_b64 exec, exec, s[16:17]
	v_sub_u32_e32 v71, v44, v73
	v_lshl_add_u32 v76, v73, 2, v57
	v_lshlrev_b32_e32 v77, 2, v71
	ds_read_b32 v72, v76
	ds_read_b32 v74, v77
	v_add_u32_e32 v73, v73, v7
	v_cmp_le_i32_e64 s[16:17], v8, v73
	v_cmp_gt_i32_e64 s[14:15], v9, v71
                                        ; implicit-def: $vgpr75
	s_waitcnt lgkmcnt(0)
	v_cmp_lt_i32_e64 s[18:19], v74, v72
	s_or_b64 s[16:17], s[16:17], s[18:19]
	s_and_b64 s[14:15], s[14:15], s[16:17]
	s_xor_b64 s[16:17], s[14:15], -1
	s_and_saveexec_b64 s[18:19], s[16:17]
	s_xor_b64 s[16:17], exec, s[18:19]
; %bb.71:                               ;   in Loop: Header=BB29_2 Depth=1
	ds_read_b32 v75, v76 offset:4
                                        ; implicit-def: $vgpr77
; %bb.72:                               ;   in Loop: Header=BB29_2 Depth=1
	s_or_saveexec_b64 s[16:17], s[16:17]
	v_mov_b32_e32 v76, v74
	s_xor_b64 exec, exec, s[16:17]
	s_cbranch_execz .LBB29_74
; %bb.73:                               ;   in Loop: Header=BB29_2 Depth=1
	ds_read_b32 v76, v77 offset:4
	s_waitcnt lgkmcnt(1)
	v_mov_b32_e32 v75, v72
.LBB29_74:                              ;   in Loop: Header=BB29_2 Depth=1
	s_or_b64 exec, exec, s[16:17]
	v_add_u32_e32 v78, 1, v73
	v_add_u32_e32 v77, 1, v71
	v_cndmask_b32_e64 v78, v78, v73, s[14:15]
	v_cndmask_b32_e64 v77, v71, v77, s[14:15]
	v_cmp_ge_i32_e64 s[18:19], v78, v8
	s_waitcnt lgkmcnt(0)
	v_cmp_lt_i32_e64 s[20:21], v76, v75
	v_cmp_lt_i32_e64 s[16:17], v77, v9
	s_or_b64 s[18:19], s[18:19], s[20:21]
	s_and_b64 s[16:17], s[16:17], s[18:19]
	s_xor_b64 s[18:19], s[16:17], -1
                                        ; implicit-def: $vgpr79
	s_and_saveexec_b64 s[20:21], s[18:19]
	s_xor_b64 s[18:19], exec, s[20:21]
; %bb.75:                               ;   in Loop: Header=BB29_2 Depth=1
	v_lshlrev_b32_e32 v79, 2, v78
	ds_read_b32 v79, v79 offset:4
; %bb.76:                               ;   in Loop: Header=BB29_2 Depth=1
	s_or_saveexec_b64 s[18:19], s[18:19]
	v_mov_b32_e32 v80, v76
	s_xor_b64 exec, exec, s[18:19]
	s_cbranch_execz .LBB29_78
; %bb.77:                               ;   in Loop: Header=BB29_2 Depth=1
	s_waitcnt lgkmcnt(0)
	v_lshlrev_b32_e32 v79, 2, v77
	ds_read_b32 v80, v79 offset:4
	v_mov_b32_e32 v79, v75
.LBB29_78:                              ;   in Loop: Header=BB29_2 Depth=1
	s_or_b64 exec, exec, s[18:19]
	v_add_u32_e32 v82, 1, v78
	v_add_u32_e32 v81, 1, v77
	v_cndmask_b32_e64 v82, v82, v78, s[16:17]
	v_cndmask_b32_e64 v81, v77, v81, s[16:17]
	v_cmp_ge_i32_e64 s[20:21], v82, v8
	s_waitcnt lgkmcnt(0)
	v_cmp_lt_i32_e64 s[22:23], v80, v79
	v_cmp_lt_i32_e64 s[18:19], v81, v9
	s_or_b64 s[20:21], s[20:21], s[22:23]
	s_and_b64 s[18:19], s[18:19], s[20:21]
	s_xor_b64 s[20:21], s[18:19], -1
                                        ; implicit-def: $vgpr83
	s_and_saveexec_b64 s[22:23], s[20:21]
	s_xor_b64 s[20:21], exec, s[22:23]
; %bb.79:                               ;   in Loop: Header=BB29_2 Depth=1
	v_lshlrev_b32_e32 v83, 2, v82
	ds_read_b32 v83, v83 offset:4
; %bb.80:                               ;   in Loop: Header=BB29_2 Depth=1
	s_or_saveexec_b64 s[20:21], s[20:21]
	v_mov_b32_e32 v84, v80
	s_xor_b64 exec, exec, s[20:21]
	s_cbranch_execz .LBB29_82
; %bb.81:                               ;   in Loop: Header=BB29_2 Depth=1
	s_waitcnt lgkmcnt(0)
	v_lshlrev_b32_e32 v83, 2, v81
	ds_read_b32 v84, v83 offset:4
	v_mov_b32_e32 v83, v79
.LBB29_82:                              ;   in Loop: Header=BB29_2 Depth=1
	s_or_b64 exec, exec, s[20:21]
	v_add_u32_e32 v86, 1, v82
	v_add_u32_e32 v85, 1, v81
	v_cndmask_b32_e64 v86, v86, v82, s[18:19]
	v_cndmask_b32_e64 v85, v81, v85, s[18:19]
	v_cmp_ge_i32_e64 s[22:23], v86, v8
	s_waitcnt lgkmcnt(0)
	v_cmp_lt_i32_e64 s[24:25], v84, v83
	v_cmp_lt_i32_e64 s[20:21], v85, v9
	s_or_b64 s[22:23], s[22:23], s[24:25]
	s_and_b64 s[20:21], s[20:21], s[22:23]
	s_xor_b64 s[22:23], s[20:21], -1
                                        ; implicit-def: $vgpr87
	s_and_saveexec_b64 s[24:25], s[22:23]
	s_xor_b64 s[22:23], exec, s[24:25]
; %bb.83:                               ;   in Loop: Header=BB29_2 Depth=1
	v_lshlrev_b32_e32 v87, 2, v86
	ds_read_b32 v87, v87 offset:4
; %bb.84:                               ;   in Loop: Header=BB29_2 Depth=1
	s_or_saveexec_b64 s[22:23], s[22:23]
	v_mov_b32_e32 v88, v84
	s_xor_b64 exec, exec, s[22:23]
	s_cbranch_execz .LBB29_86
; %bb.85:                               ;   in Loop: Header=BB29_2 Depth=1
	s_waitcnt lgkmcnt(0)
	v_lshlrev_b32_e32 v87, 2, v85
	ds_read_b32 v88, v87 offset:4
	v_mov_b32_e32 v87, v83
.LBB29_86:                              ;   in Loop: Header=BB29_2 Depth=1
	s_or_b64 exec, exec, s[22:23]
	v_add_u32_e32 v90, 1, v86
	v_add_u32_e32 v89, 1, v85
	v_cndmask_b32_e64 v90, v90, v86, s[20:21]
	v_cndmask_b32_e64 v89, v85, v89, s[20:21]
	v_cmp_ge_i32_e64 s[24:25], v90, v8
	s_waitcnt lgkmcnt(0)
	v_cmp_lt_i32_e64 s[26:27], v88, v87
	v_cmp_lt_i32_e64 s[22:23], v89, v9
	s_or_b64 s[24:25], s[24:25], s[26:27]
	s_and_b64 s[22:23], s[22:23], s[24:25]
	s_xor_b64 s[24:25], s[22:23], -1
                                        ; implicit-def: $vgpr91
	s_and_saveexec_b64 s[26:27], s[24:25]
	s_xor_b64 s[24:25], exec, s[26:27]
; %bb.87:                               ;   in Loop: Header=BB29_2 Depth=1
	v_lshlrev_b32_e32 v91, 2, v90
	ds_read_b32 v91, v91 offset:4
; %bb.88:                               ;   in Loop: Header=BB29_2 Depth=1
	s_or_saveexec_b64 s[24:25], s[24:25]
	v_mov_b32_e32 v92, v88
	s_xor_b64 exec, exec, s[24:25]
	s_cbranch_execz .LBB29_90
; %bb.89:                               ;   in Loop: Header=BB29_2 Depth=1
	s_waitcnt lgkmcnt(0)
	v_lshlrev_b32_e32 v91, 2, v89
	ds_read_b32 v92, v91 offset:4
	v_mov_b32_e32 v91, v87
.LBB29_90:                              ;   in Loop: Header=BB29_2 Depth=1
	s_or_b64 exec, exec, s[24:25]
	v_add_u32_e32 v94, 1, v90
	v_add_u32_e32 v93, 1, v89
	v_cndmask_b32_e64 v94, v94, v90, s[22:23]
	v_cndmask_b32_e64 v93, v89, v93, s[22:23]
	v_cmp_ge_i32_e64 s[26:27], v94, v8
	s_waitcnt lgkmcnt(0)
	v_cmp_lt_i32_e64 s[28:29], v92, v91
	v_cmp_lt_i32_e64 s[24:25], v93, v9
	s_or_b64 s[26:27], s[26:27], s[28:29]
	s_and_b64 s[24:25], s[24:25], s[26:27]
	s_xor_b64 s[26:27], s[24:25], -1
                                        ; implicit-def: $vgpr95
	s_and_saveexec_b64 s[28:29], s[26:27]
	s_xor_b64 s[26:27], exec, s[28:29]
; %bb.91:                               ;   in Loop: Header=BB29_2 Depth=1
	v_lshlrev_b32_e32 v95, 2, v94
	ds_read_b32 v95, v95 offset:4
; %bb.92:                               ;   in Loop: Header=BB29_2 Depth=1
	s_or_saveexec_b64 s[26:27], s[26:27]
	v_mov_b32_e32 v96, v92
	s_xor_b64 exec, exec, s[26:27]
	s_cbranch_execz .LBB29_94
; %bb.93:                               ;   in Loop: Header=BB29_2 Depth=1
	s_waitcnt lgkmcnt(0)
	v_lshlrev_b32_e32 v95, 2, v93
	ds_read_b32 v96, v95 offset:4
	v_mov_b32_e32 v95, v91
.LBB29_94:                              ;   in Loop: Header=BB29_2 Depth=1
	s_or_b64 exec, exec, s[26:27]
	v_add_u32_e32 v99, 1, v94
	v_add_u32_e32 v97, 1, v93
	v_cndmask_b32_e64 v99, v99, v94, s[24:25]
	v_cndmask_b32_e64 v98, v93, v97, s[24:25]
	v_cmp_ge_i32_e64 s[28:29], v99, v8
	s_waitcnt lgkmcnt(0)
	v_cmp_lt_i32_e64 s[30:31], v96, v95
	v_cmp_lt_i32_e64 s[26:27], v98, v9
	s_or_b64 s[28:29], s[28:29], s[30:31]
	s_and_b64 s[26:27], s[26:27], s[28:29]
	s_xor_b64 s[28:29], s[26:27], -1
                                        ; implicit-def: $vgpr97
	s_and_saveexec_b64 s[30:31], s[28:29]
	s_xor_b64 s[28:29], exec, s[30:31]
; %bb.95:                               ;   in Loop: Header=BB29_2 Depth=1
	v_lshlrev_b32_e32 v97, 2, v99
	ds_read_b32 v97, v97 offset:4
; %bb.96:                               ;   in Loop: Header=BB29_2 Depth=1
	s_or_saveexec_b64 s[28:29], s[28:29]
	v_mov_b32_e32 v100, v96
	s_xor_b64 exec, exec, s[28:29]
	s_cbranch_execz .LBB29_98
; %bb.97:                               ;   in Loop: Header=BB29_2 Depth=1
	s_waitcnt lgkmcnt(0)
	v_lshlrev_b32_e32 v97, 2, v98
	ds_read_b32 v100, v97 offset:4
	v_mov_b32_e32 v97, v95
.LBB29_98:                              ;   in Loop: Header=BB29_2 Depth=1
	s_or_b64 exec, exec, s[28:29]
	v_add_u32_e32 v101, 1, v99
	v_cndmask_b32_e64 v95, v95, v96, s[26:27]
	v_add_u32_e32 v96, 1, v98
	v_cndmask_b32_e64 v101, v101, v99, s[26:27]
	v_cndmask_b32_e64 v96, v98, v96, s[26:27]
	;; [unrolled: 1-line block ×6, first 2 shown]
	v_cmp_ge_i32_e64 s[16:17], v101, v8
	s_waitcnt lgkmcnt(0)
	v_cmp_lt_i32_e64 s[18:19], v100, v97
	v_cndmask_b32_e64 v72, v72, v74, s[14:15]
	v_cndmask_b32_e64 v71, v73, v71, s[14:15]
	v_cmp_lt_i32_e64 s[14:15], v96, v9
	s_or_b64 s[16:17], s[16:17], s[18:19]
	s_and_b64 s[14:15], s[14:15], s[16:17]
	v_cndmask_b32_e64 v98, v99, v98, s[26:27]
	v_cndmask_b32_e64 v91, v91, v92, s[24:25]
	;; [unrolled: 1-line block ×8, first 2 shown]
	s_barrier
	ds_write2_b32 v54, v63, v64 offset1:1
	ds_write2_b32 v54, v65, v66 offset0:2 offset1:3
	ds_write2_b32 v54, v67, v68 offset0:4 offset1:5
	;; [unrolled: 1-line block ×3, first 2 shown]
	v_lshlrev_b32_e32 v63, 2, v71
	v_lshlrev_b32_e32 v64, 2, v76
	;; [unrolled: 1-line block ×8, first 2 shown]
	s_waitcnt lgkmcnt(0)
	s_barrier
	ds_read_b32 v63, v63
	ds_read_b32 v64, v64
	;; [unrolled: 1-line block ×8, first 2 shown]
	v_cndmask_b32_e64 v73, v97, v100, s[14:15]
	s_waitcnt lgkmcnt(0)
	s_barrier
	ds_write2_b32 v54, v72, v75 offset1:1
	ds_write2_b32 v54, v79, v83 offset0:2 offset1:3
	ds_write2_b32 v54, v87, v91 offset0:4 offset1:5
	;; [unrolled: 1-line block ×3, first 2 shown]
	v_mov_b32_e32 v73, v28
	s_waitcnt lgkmcnt(0)
	s_barrier
	s_and_saveexec_b64 s[16:17], s[4:5]
	s_cbranch_execz .LBB29_102
; %bb.99:                               ;   in Loop: Header=BB29_2 Depth=1
	s_mov_b64 s[18:19], 0
	v_mov_b32_e32 v73, v28
	v_mov_b32_e32 v71, v29
.LBB29_100:                             ;   Parent Loop BB29_2 Depth=1
                                        ; =>  This Inner Loop Header: Depth=2
	v_sub_u32_e32 v72, v71, v73
	v_lshrrev_b32_e32 v72, 1, v72
	v_add_u32_e32 v72, v72, v73
	v_not_b32_e32 v75, v72
	v_lshl_add_u32 v74, v72, 2, v58
	v_lshl_add_u32 v75, v75, 2, v47
	ds_read_b32 v74, v74
	ds_read_b32 v75, v75
	v_add_u32_e32 v76, 1, v72
	s_waitcnt lgkmcnt(0)
	v_cmp_lt_i32_e64 s[14:15], v75, v74
	v_cndmask_b32_e64 v71, v71, v72, s[14:15]
	v_cndmask_b32_e64 v73, v76, v73, s[14:15]
	v_cmp_ge_i32_e64 s[14:15], v73, v71
	s_or_b64 s[18:19], s[14:15], s[18:19]
	s_andn2_b64 exec, exec, s[18:19]
	s_cbranch_execnz .LBB29_100
; %bb.101:                              ;   in Loop: Header=BB29_2 Depth=1
	s_or_b64 exec, exec, s[18:19]
.LBB29_102:                             ;   in Loop: Header=BB29_2 Depth=1
	s_or_b64 exec, exec, s[16:17]
	v_sub_u32_e32 v71, v46, v73
	v_lshl_add_u32 v76, v73, 2, v58
	v_lshlrev_b32_e32 v77, 2, v71
	ds_read_b32 v72, v76
	ds_read_b32 v74, v77
	v_add_u32_e32 v73, v73, v10
	v_cmp_le_i32_e64 s[16:17], v11, v73
	v_cmp_gt_i32_e64 s[14:15], v12, v71
                                        ; implicit-def: $vgpr75
	s_waitcnt lgkmcnt(0)
	v_cmp_lt_i32_e64 s[18:19], v74, v72
	s_or_b64 s[16:17], s[16:17], s[18:19]
	s_and_b64 s[14:15], s[14:15], s[16:17]
	s_xor_b64 s[16:17], s[14:15], -1
	s_and_saveexec_b64 s[18:19], s[16:17]
	s_xor_b64 s[16:17], exec, s[18:19]
; %bb.103:                              ;   in Loop: Header=BB29_2 Depth=1
	ds_read_b32 v75, v76 offset:4
                                        ; implicit-def: $vgpr77
; %bb.104:                              ;   in Loop: Header=BB29_2 Depth=1
	s_or_saveexec_b64 s[16:17], s[16:17]
	v_mov_b32_e32 v76, v74
	s_xor_b64 exec, exec, s[16:17]
	s_cbranch_execz .LBB29_106
; %bb.105:                              ;   in Loop: Header=BB29_2 Depth=1
	ds_read_b32 v76, v77 offset:4
	s_waitcnt lgkmcnt(1)
	v_mov_b32_e32 v75, v72
.LBB29_106:                             ;   in Loop: Header=BB29_2 Depth=1
	s_or_b64 exec, exec, s[16:17]
	v_add_u32_e32 v78, 1, v73
	v_add_u32_e32 v77, 1, v71
	v_cndmask_b32_e64 v78, v78, v73, s[14:15]
	v_cndmask_b32_e64 v77, v71, v77, s[14:15]
	v_cmp_ge_i32_e64 s[18:19], v78, v11
	s_waitcnt lgkmcnt(0)
	v_cmp_lt_i32_e64 s[20:21], v76, v75
	v_cmp_lt_i32_e64 s[16:17], v77, v12
	s_or_b64 s[18:19], s[18:19], s[20:21]
	s_and_b64 s[16:17], s[16:17], s[18:19]
	s_xor_b64 s[18:19], s[16:17], -1
                                        ; implicit-def: $vgpr79
	s_and_saveexec_b64 s[20:21], s[18:19]
	s_xor_b64 s[18:19], exec, s[20:21]
; %bb.107:                              ;   in Loop: Header=BB29_2 Depth=1
	v_lshlrev_b32_e32 v79, 2, v78
	ds_read_b32 v79, v79 offset:4
; %bb.108:                              ;   in Loop: Header=BB29_2 Depth=1
	s_or_saveexec_b64 s[18:19], s[18:19]
	v_mov_b32_e32 v80, v76
	s_xor_b64 exec, exec, s[18:19]
	s_cbranch_execz .LBB29_110
; %bb.109:                              ;   in Loop: Header=BB29_2 Depth=1
	s_waitcnt lgkmcnt(0)
	v_lshlrev_b32_e32 v79, 2, v77
	ds_read_b32 v80, v79 offset:4
	v_mov_b32_e32 v79, v75
.LBB29_110:                             ;   in Loop: Header=BB29_2 Depth=1
	s_or_b64 exec, exec, s[18:19]
	v_add_u32_e32 v82, 1, v78
	v_add_u32_e32 v81, 1, v77
	v_cndmask_b32_e64 v82, v82, v78, s[16:17]
	v_cndmask_b32_e64 v81, v77, v81, s[16:17]
	v_cmp_ge_i32_e64 s[20:21], v82, v11
	s_waitcnt lgkmcnt(0)
	v_cmp_lt_i32_e64 s[22:23], v80, v79
	v_cmp_lt_i32_e64 s[18:19], v81, v12
	s_or_b64 s[20:21], s[20:21], s[22:23]
	s_and_b64 s[18:19], s[18:19], s[20:21]
	s_xor_b64 s[20:21], s[18:19], -1
                                        ; implicit-def: $vgpr83
	s_and_saveexec_b64 s[22:23], s[20:21]
	s_xor_b64 s[20:21], exec, s[22:23]
; %bb.111:                              ;   in Loop: Header=BB29_2 Depth=1
	v_lshlrev_b32_e32 v83, 2, v82
	ds_read_b32 v83, v83 offset:4
; %bb.112:                              ;   in Loop: Header=BB29_2 Depth=1
	s_or_saveexec_b64 s[20:21], s[20:21]
	v_mov_b32_e32 v84, v80
	s_xor_b64 exec, exec, s[20:21]
	s_cbranch_execz .LBB29_114
; %bb.113:                              ;   in Loop: Header=BB29_2 Depth=1
	s_waitcnt lgkmcnt(0)
	v_lshlrev_b32_e32 v83, 2, v81
	ds_read_b32 v84, v83 offset:4
	v_mov_b32_e32 v83, v79
.LBB29_114:                             ;   in Loop: Header=BB29_2 Depth=1
	s_or_b64 exec, exec, s[20:21]
	v_add_u32_e32 v86, 1, v82
	v_add_u32_e32 v85, 1, v81
	v_cndmask_b32_e64 v86, v86, v82, s[18:19]
	v_cndmask_b32_e64 v85, v81, v85, s[18:19]
	v_cmp_ge_i32_e64 s[22:23], v86, v11
	s_waitcnt lgkmcnt(0)
	v_cmp_lt_i32_e64 s[24:25], v84, v83
	v_cmp_lt_i32_e64 s[20:21], v85, v12
	s_or_b64 s[22:23], s[22:23], s[24:25]
	s_and_b64 s[20:21], s[20:21], s[22:23]
	s_xor_b64 s[22:23], s[20:21], -1
                                        ; implicit-def: $vgpr87
	s_and_saveexec_b64 s[24:25], s[22:23]
	s_xor_b64 s[22:23], exec, s[24:25]
; %bb.115:                              ;   in Loop: Header=BB29_2 Depth=1
	v_lshlrev_b32_e32 v87, 2, v86
	ds_read_b32 v87, v87 offset:4
; %bb.116:                              ;   in Loop: Header=BB29_2 Depth=1
	s_or_saveexec_b64 s[22:23], s[22:23]
	v_mov_b32_e32 v88, v84
	s_xor_b64 exec, exec, s[22:23]
	s_cbranch_execz .LBB29_118
; %bb.117:                              ;   in Loop: Header=BB29_2 Depth=1
	s_waitcnt lgkmcnt(0)
	v_lshlrev_b32_e32 v87, 2, v85
	ds_read_b32 v88, v87 offset:4
	v_mov_b32_e32 v87, v83
.LBB29_118:                             ;   in Loop: Header=BB29_2 Depth=1
	s_or_b64 exec, exec, s[22:23]
	v_add_u32_e32 v90, 1, v86
	v_add_u32_e32 v89, 1, v85
	v_cndmask_b32_e64 v90, v90, v86, s[20:21]
	v_cndmask_b32_e64 v89, v85, v89, s[20:21]
	v_cmp_ge_i32_e64 s[24:25], v90, v11
	s_waitcnt lgkmcnt(0)
	v_cmp_lt_i32_e64 s[26:27], v88, v87
	v_cmp_lt_i32_e64 s[22:23], v89, v12
	s_or_b64 s[24:25], s[24:25], s[26:27]
	s_and_b64 s[22:23], s[22:23], s[24:25]
	s_xor_b64 s[24:25], s[22:23], -1
                                        ; implicit-def: $vgpr91
	s_and_saveexec_b64 s[26:27], s[24:25]
	s_xor_b64 s[24:25], exec, s[26:27]
; %bb.119:                              ;   in Loop: Header=BB29_2 Depth=1
	v_lshlrev_b32_e32 v91, 2, v90
	ds_read_b32 v91, v91 offset:4
; %bb.120:                              ;   in Loop: Header=BB29_2 Depth=1
	s_or_saveexec_b64 s[24:25], s[24:25]
	v_mov_b32_e32 v92, v88
	s_xor_b64 exec, exec, s[24:25]
	s_cbranch_execz .LBB29_122
; %bb.121:                              ;   in Loop: Header=BB29_2 Depth=1
	s_waitcnt lgkmcnt(0)
	v_lshlrev_b32_e32 v91, 2, v89
	ds_read_b32 v92, v91 offset:4
	v_mov_b32_e32 v91, v87
.LBB29_122:                             ;   in Loop: Header=BB29_2 Depth=1
	s_or_b64 exec, exec, s[24:25]
	v_add_u32_e32 v94, 1, v90
	v_add_u32_e32 v93, 1, v89
	v_cndmask_b32_e64 v94, v94, v90, s[22:23]
	v_cndmask_b32_e64 v93, v89, v93, s[22:23]
	v_cmp_ge_i32_e64 s[26:27], v94, v11
	s_waitcnt lgkmcnt(0)
	v_cmp_lt_i32_e64 s[28:29], v92, v91
	v_cmp_lt_i32_e64 s[24:25], v93, v12
	s_or_b64 s[26:27], s[26:27], s[28:29]
	s_and_b64 s[24:25], s[24:25], s[26:27]
	s_xor_b64 s[26:27], s[24:25], -1
                                        ; implicit-def: $vgpr95
	s_and_saveexec_b64 s[28:29], s[26:27]
	s_xor_b64 s[26:27], exec, s[28:29]
; %bb.123:                              ;   in Loop: Header=BB29_2 Depth=1
	v_lshlrev_b32_e32 v95, 2, v94
	ds_read_b32 v95, v95 offset:4
; %bb.124:                              ;   in Loop: Header=BB29_2 Depth=1
	s_or_saveexec_b64 s[26:27], s[26:27]
	v_mov_b32_e32 v96, v92
	s_xor_b64 exec, exec, s[26:27]
	s_cbranch_execz .LBB29_126
; %bb.125:                              ;   in Loop: Header=BB29_2 Depth=1
	s_waitcnt lgkmcnt(0)
	v_lshlrev_b32_e32 v95, 2, v93
	ds_read_b32 v96, v95 offset:4
	v_mov_b32_e32 v95, v91
.LBB29_126:                             ;   in Loop: Header=BB29_2 Depth=1
	s_or_b64 exec, exec, s[26:27]
	v_add_u32_e32 v99, 1, v94
	v_add_u32_e32 v97, 1, v93
	v_cndmask_b32_e64 v99, v99, v94, s[24:25]
	v_cndmask_b32_e64 v98, v93, v97, s[24:25]
	v_cmp_ge_i32_e64 s[28:29], v99, v11
	s_waitcnt lgkmcnt(0)
	v_cmp_lt_i32_e64 s[30:31], v96, v95
	v_cmp_lt_i32_e64 s[26:27], v98, v12
	s_or_b64 s[28:29], s[28:29], s[30:31]
	s_and_b64 s[26:27], s[26:27], s[28:29]
	s_xor_b64 s[28:29], s[26:27], -1
                                        ; implicit-def: $vgpr97
	s_and_saveexec_b64 s[30:31], s[28:29]
	s_xor_b64 s[28:29], exec, s[30:31]
; %bb.127:                              ;   in Loop: Header=BB29_2 Depth=1
	v_lshlrev_b32_e32 v97, 2, v99
	ds_read_b32 v97, v97 offset:4
; %bb.128:                              ;   in Loop: Header=BB29_2 Depth=1
	s_or_saveexec_b64 s[28:29], s[28:29]
	v_mov_b32_e32 v100, v96
	s_xor_b64 exec, exec, s[28:29]
	s_cbranch_execz .LBB29_130
; %bb.129:                              ;   in Loop: Header=BB29_2 Depth=1
	s_waitcnt lgkmcnt(0)
	v_lshlrev_b32_e32 v97, 2, v98
	ds_read_b32 v100, v97 offset:4
	v_mov_b32_e32 v97, v95
.LBB29_130:                             ;   in Loop: Header=BB29_2 Depth=1
	s_or_b64 exec, exec, s[28:29]
	v_add_u32_e32 v101, 1, v99
	v_cndmask_b32_e64 v95, v95, v96, s[26:27]
	v_add_u32_e32 v96, 1, v98
	v_cndmask_b32_e64 v101, v101, v99, s[26:27]
	v_cndmask_b32_e64 v96, v98, v96, s[26:27]
	;; [unrolled: 1-line block ×6, first 2 shown]
	v_cmp_ge_i32_e64 s[16:17], v101, v11
	s_waitcnt lgkmcnt(0)
	v_cmp_lt_i32_e64 s[18:19], v100, v97
	v_cndmask_b32_e64 v72, v72, v74, s[14:15]
	v_cndmask_b32_e64 v71, v73, v71, s[14:15]
	v_cmp_lt_i32_e64 s[14:15], v96, v12
	s_or_b64 s[16:17], s[16:17], s[18:19]
	s_and_b64 s[14:15], s[14:15], s[16:17]
	v_cndmask_b32_e64 v98, v99, v98, s[26:27]
	v_cndmask_b32_e64 v91, v91, v92, s[24:25]
	;; [unrolled: 1-line block ×8, first 2 shown]
	s_barrier
	ds_write2_b32 v54, v63, v64 offset1:1
	ds_write2_b32 v54, v65, v66 offset0:2 offset1:3
	ds_write2_b32 v54, v67, v68 offset0:4 offset1:5
	;; [unrolled: 1-line block ×3, first 2 shown]
	v_lshlrev_b32_e32 v63, 2, v71
	v_lshlrev_b32_e32 v64, 2, v76
	;; [unrolled: 1-line block ×8, first 2 shown]
	s_waitcnt lgkmcnt(0)
	s_barrier
	ds_read_b32 v63, v63
	ds_read_b32 v64, v64
	;; [unrolled: 1-line block ×8, first 2 shown]
	v_cndmask_b32_e64 v73, v97, v100, s[14:15]
	s_waitcnt lgkmcnt(0)
	s_barrier
	ds_write2_b32 v54, v72, v75 offset1:1
	ds_write2_b32 v54, v79, v83 offset0:2 offset1:3
	ds_write2_b32 v54, v87, v91 offset0:4 offset1:5
	;; [unrolled: 1-line block ×3, first 2 shown]
	v_mov_b32_e32 v73, v30
	s_waitcnt lgkmcnt(0)
	s_barrier
	s_and_saveexec_b64 s[16:17], s[6:7]
	s_cbranch_execz .LBB29_134
; %bb.131:                              ;   in Loop: Header=BB29_2 Depth=1
	s_mov_b64 s[18:19], 0
	v_mov_b32_e32 v73, v30
	v_mov_b32_e32 v71, v31
.LBB29_132:                             ;   Parent Loop BB29_2 Depth=1
                                        ; =>  This Inner Loop Header: Depth=2
	v_sub_u32_e32 v72, v71, v73
	v_lshrrev_b32_e32 v72, 1, v72
	v_add_u32_e32 v72, v72, v73
	v_not_b32_e32 v75, v72
	v_lshl_add_u32 v74, v72, 2, v59
	v_lshl_add_u32 v75, v75, 2, v49
	ds_read_b32 v74, v74
	ds_read_b32 v75, v75
	v_add_u32_e32 v76, 1, v72
	s_waitcnt lgkmcnt(0)
	v_cmp_lt_i32_e64 s[14:15], v75, v74
	v_cndmask_b32_e64 v71, v71, v72, s[14:15]
	v_cndmask_b32_e64 v73, v76, v73, s[14:15]
	v_cmp_ge_i32_e64 s[14:15], v73, v71
	s_or_b64 s[18:19], s[14:15], s[18:19]
	s_andn2_b64 exec, exec, s[18:19]
	s_cbranch_execnz .LBB29_132
; %bb.133:                              ;   in Loop: Header=BB29_2 Depth=1
	s_or_b64 exec, exec, s[18:19]
.LBB29_134:                             ;   in Loop: Header=BB29_2 Depth=1
	s_or_b64 exec, exec, s[16:17]
	v_sub_u32_e32 v71, v48, v73
	v_lshl_add_u32 v76, v73, 2, v59
	v_lshlrev_b32_e32 v77, 2, v71
	ds_read_b32 v72, v76
	ds_read_b32 v74, v77
	v_add_u32_e32 v73, v73, v13
	v_cmp_le_i32_e64 s[16:17], v14, v73
	v_cmp_gt_i32_e64 s[14:15], v15, v71
                                        ; implicit-def: $vgpr75
	s_waitcnt lgkmcnt(0)
	v_cmp_lt_i32_e64 s[18:19], v74, v72
	s_or_b64 s[16:17], s[16:17], s[18:19]
	s_and_b64 s[14:15], s[14:15], s[16:17]
	s_xor_b64 s[16:17], s[14:15], -1
	s_and_saveexec_b64 s[18:19], s[16:17]
	s_xor_b64 s[16:17], exec, s[18:19]
; %bb.135:                              ;   in Loop: Header=BB29_2 Depth=1
	ds_read_b32 v75, v76 offset:4
                                        ; implicit-def: $vgpr77
; %bb.136:                              ;   in Loop: Header=BB29_2 Depth=1
	s_or_saveexec_b64 s[16:17], s[16:17]
	v_mov_b32_e32 v76, v74
	s_xor_b64 exec, exec, s[16:17]
	s_cbranch_execz .LBB29_138
; %bb.137:                              ;   in Loop: Header=BB29_2 Depth=1
	ds_read_b32 v76, v77 offset:4
	s_waitcnt lgkmcnt(1)
	v_mov_b32_e32 v75, v72
.LBB29_138:                             ;   in Loop: Header=BB29_2 Depth=1
	s_or_b64 exec, exec, s[16:17]
	v_add_u32_e32 v78, 1, v73
	v_add_u32_e32 v77, 1, v71
	v_cndmask_b32_e64 v78, v78, v73, s[14:15]
	v_cndmask_b32_e64 v77, v71, v77, s[14:15]
	v_cmp_ge_i32_e64 s[18:19], v78, v14
	s_waitcnt lgkmcnt(0)
	v_cmp_lt_i32_e64 s[20:21], v76, v75
	v_cmp_lt_i32_e64 s[16:17], v77, v15
	s_or_b64 s[18:19], s[18:19], s[20:21]
	s_and_b64 s[16:17], s[16:17], s[18:19]
	s_xor_b64 s[18:19], s[16:17], -1
                                        ; implicit-def: $vgpr79
	s_and_saveexec_b64 s[20:21], s[18:19]
	s_xor_b64 s[18:19], exec, s[20:21]
; %bb.139:                              ;   in Loop: Header=BB29_2 Depth=1
	v_lshlrev_b32_e32 v79, 2, v78
	ds_read_b32 v79, v79 offset:4
; %bb.140:                              ;   in Loop: Header=BB29_2 Depth=1
	s_or_saveexec_b64 s[18:19], s[18:19]
	v_mov_b32_e32 v80, v76
	s_xor_b64 exec, exec, s[18:19]
	s_cbranch_execz .LBB29_142
; %bb.141:                              ;   in Loop: Header=BB29_2 Depth=1
	s_waitcnt lgkmcnt(0)
	v_lshlrev_b32_e32 v79, 2, v77
	ds_read_b32 v80, v79 offset:4
	v_mov_b32_e32 v79, v75
.LBB29_142:                             ;   in Loop: Header=BB29_2 Depth=1
	s_or_b64 exec, exec, s[18:19]
	v_add_u32_e32 v82, 1, v78
	v_add_u32_e32 v81, 1, v77
	v_cndmask_b32_e64 v82, v82, v78, s[16:17]
	v_cndmask_b32_e64 v81, v77, v81, s[16:17]
	v_cmp_ge_i32_e64 s[20:21], v82, v14
	s_waitcnt lgkmcnt(0)
	v_cmp_lt_i32_e64 s[22:23], v80, v79
	v_cmp_lt_i32_e64 s[18:19], v81, v15
	s_or_b64 s[20:21], s[20:21], s[22:23]
	s_and_b64 s[18:19], s[18:19], s[20:21]
	s_xor_b64 s[20:21], s[18:19], -1
                                        ; implicit-def: $vgpr83
	s_and_saveexec_b64 s[22:23], s[20:21]
	s_xor_b64 s[20:21], exec, s[22:23]
; %bb.143:                              ;   in Loop: Header=BB29_2 Depth=1
	v_lshlrev_b32_e32 v83, 2, v82
	ds_read_b32 v83, v83 offset:4
; %bb.144:                              ;   in Loop: Header=BB29_2 Depth=1
	s_or_saveexec_b64 s[20:21], s[20:21]
	v_mov_b32_e32 v84, v80
	s_xor_b64 exec, exec, s[20:21]
	s_cbranch_execz .LBB29_146
; %bb.145:                              ;   in Loop: Header=BB29_2 Depth=1
	s_waitcnt lgkmcnt(0)
	v_lshlrev_b32_e32 v83, 2, v81
	ds_read_b32 v84, v83 offset:4
	v_mov_b32_e32 v83, v79
.LBB29_146:                             ;   in Loop: Header=BB29_2 Depth=1
	s_or_b64 exec, exec, s[20:21]
	v_add_u32_e32 v86, 1, v82
	v_add_u32_e32 v85, 1, v81
	v_cndmask_b32_e64 v86, v86, v82, s[18:19]
	v_cndmask_b32_e64 v85, v81, v85, s[18:19]
	v_cmp_ge_i32_e64 s[22:23], v86, v14
	s_waitcnt lgkmcnt(0)
	v_cmp_lt_i32_e64 s[24:25], v84, v83
	v_cmp_lt_i32_e64 s[20:21], v85, v15
	s_or_b64 s[22:23], s[22:23], s[24:25]
	s_and_b64 s[20:21], s[20:21], s[22:23]
	s_xor_b64 s[22:23], s[20:21], -1
                                        ; implicit-def: $vgpr87
	s_and_saveexec_b64 s[24:25], s[22:23]
	s_xor_b64 s[22:23], exec, s[24:25]
; %bb.147:                              ;   in Loop: Header=BB29_2 Depth=1
	v_lshlrev_b32_e32 v87, 2, v86
	ds_read_b32 v87, v87 offset:4
; %bb.148:                              ;   in Loop: Header=BB29_2 Depth=1
	s_or_saveexec_b64 s[22:23], s[22:23]
	v_mov_b32_e32 v88, v84
	s_xor_b64 exec, exec, s[22:23]
	s_cbranch_execz .LBB29_150
; %bb.149:                              ;   in Loop: Header=BB29_2 Depth=1
	s_waitcnt lgkmcnt(0)
	v_lshlrev_b32_e32 v87, 2, v85
	ds_read_b32 v88, v87 offset:4
	v_mov_b32_e32 v87, v83
.LBB29_150:                             ;   in Loop: Header=BB29_2 Depth=1
	s_or_b64 exec, exec, s[22:23]
	v_add_u32_e32 v90, 1, v86
	v_add_u32_e32 v89, 1, v85
	v_cndmask_b32_e64 v90, v90, v86, s[20:21]
	v_cndmask_b32_e64 v89, v85, v89, s[20:21]
	v_cmp_ge_i32_e64 s[24:25], v90, v14
	s_waitcnt lgkmcnt(0)
	v_cmp_lt_i32_e64 s[26:27], v88, v87
	v_cmp_lt_i32_e64 s[22:23], v89, v15
	s_or_b64 s[24:25], s[24:25], s[26:27]
	s_and_b64 s[22:23], s[22:23], s[24:25]
	s_xor_b64 s[24:25], s[22:23], -1
                                        ; implicit-def: $vgpr91
	s_and_saveexec_b64 s[26:27], s[24:25]
	s_xor_b64 s[24:25], exec, s[26:27]
; %bb.151:                              ;   in Loop: Header=BB29_2 Depth=1
	v_lshlrev_b32_e32 v91, 2, v90
	ds_read_b32 v91, v91 offset:4
; %bb.152:                              ;   in Loop: Header=BB29_2 Depth=1
	s_or_saveexec_b64 s[24:25], s[24:25]
	v_mov_b32_e32 v92, v88
	s_xor_b64 exec, exec, s[24:25]
	s_cbranch_execz .LBB29_154
; %bb.153:                              ;   in Loop: Header=BB29_2 Depth=1
	s_waitcnt lgkmcnt(0)
	v_lshlrev_b32_e32 v91, 2, v89
	ds_read_b32 v92, v91 offset:4
	v_mov_b32_e32 v91, v87
.LBB29_154:                             ;   in Loop: Header=BB29_2 Depth=1
	s_or_b64 exec, exec, s[24:25]
	v_add_u32_e32 v94, 1, v90
	v_add_u32_e32 v93, 1, v89
	v_cndmask_b32_e64 v94, v94, v90, s[22:23]
	v_cndmask_b32_e64 v93, v89, v93, s[22:23]
	v_cmp_ge_i32_e64 s[26:27], v94, v14
	s_waitcnt lgkmcnt(0)
	v_cmp_lt_i32_e64 s[28:29], v92, v91
	v_cmp_lt_i32_e64 s[24:25], v93, v15
	s_or_b64 s[26:27], s[26:27], s[28:29]
	s_and_b64 s[24:25], s[24:25], s[26:27]
	s_xor_b64 s[26:27], s[24:25], -1
                                        ; implicit-def: $vgpr95
	s_and_saveexec_b64 s[28:29], s[26:27]
	s_xor_b64 s[26:27], exec, s[28:29]
; %bb.155:                              ;   in Loop: Header=BB29_2 Depth=1
	v_lshlrev_b32_e32 v95, 2, v94
	ds_read_b32 v95, v95 offset:4
; %bb.156:                              ;   in Loop: Header=BB29_2 Depth=1
	s_or_saveexec_b64 s[26:27], s[26:27]
	v_mov_b32_e32 v96, v92
	s_xor_b64 exec, exec, s[26:27]
	s_cbranch_execz .LBB29_158
; %bb.157:                              ;   in Loop: Header=BB29_2 Depth=1
	s_waitcnt lgkmcnt(0)
	v_lshlrev_b32_e32 v95, 2, v93
	ds_read_b32 v96, v95 offset:4
	v_mov_b32_e32 v95, v91
.LBB29_158:                             ;   in Loop: Header=BB29_2 Depth=1
	s_or_b64 exec, exec, s[26:27]
	v_add_u32_e32 v99, 1, v94
	v_add_u32_e32 v97, 1, v93
	v_cndmask_b32_e64 v99, v99, v94, s[24:25]
	v_cndmask_b32_e64 v98, v93, v97, s[24:25]
	v_cmp_ge_i32_e64 s[28:29], v99, v14
	s_waitcnt lgkmcnt(0)
	v_cmp_lt_i32_e64 s[30:31], v96, v95
	v_cmp_lt_i32_e64 s[26:27], v98, v15
	s_or_b64 s[28:29], s[28:29], s[30:31]
	s_and_b64 s[26:27], s[26:27], s[28:29]
	s_xor_b64 s[28:29], s[26:27], -1
                                        ; implicit-def: $vgpr97
	s_and_saveexec_b64 s[30:31], s[28:29]
	s_xor_b64 s[28:29], exec, s[30:31]
; %bb.159:                              ;   in Loop: Header=BB29_2 Depth=1
	v_lshlrev_b32_e32 v97, 2, v99
	ds_read_b32 v97, v97 offset:4
; %bb.160:                              ;   in Loop: Header=BB29_2 Depth=1
	s_or_saveexec_b64 s[28:29], s[28:29]
	v_mov_b32_e32 v100, v96
	s_xor_b64 exec, exec, s[28:29]
	s_cbranch_execz .LBB29_162
; %bb.161:                              ;   in Loop: Header=BB29_2 Depth=1
	s_waitcnt lgkmcnt(0)
	v_lshlrev_b32_e32 v97, 2, v98
	ds_read_b32 v100, v97 offset:4
	v_mov_b32_e32 v97, v95
.LBB29_162:                             ;   in Loop: Header=BB29_2 Depth=1
	s_or_b64 exec, exec, s[28:29]
	v_add_u32_e32 v101, 1, v99
	v_cndmask_b32_e64 v95, v95, v96, s[26:27]
	v_add_u32_e32 v96, 1, v98
	v_cndmask_b32_e64 v101, v101, v99, s[26:27]
	v_cndmask_b32_e64 v96, v98, v96, s[26:27]
	;; [unrolled: 1-line block ×6, first 2 shown]
	v_cmp_ge_i32_e64 s[16:17], v101, v14
	s_waitcnt lgkmcnt(0)
	v_cmp_lt_i32_e64 s[18:19], v100, v97
	v_cndmask_b32_e64 v72, v72, v74, s[14:15]
	v_cndmask_b32_e64 v71, v73, v71, s[14:15]
	v_cmp_lt_i32_e64 s[14:15], v96, v15
	s_or_b64 s[16:17], s[16:17], s[18:19]
	s_and_b64 s[14:15], s[14:15], s[16:17]
	v_cndmask_b32_e64 v98, v99, v98, s[26:27]
	v_cndmask_b32_e64 v91, v91, v92, s[24:25]
	;; [unrolled: 1-line block ×8, first 2 shown]
	s_barrier
	ds_write2_b32 v54, v63, v64 offset1:1
	ds_write2_b32 v54, v65, v66 offset0:2 offset1:3
	ds_write2_b32 v54, v67, v68 offset0:4 offset1:5
	ds_write2_b32 v54, v69, v70 offset0:6 offset1:7
	v_lshlrev_b32_e32 v63, 2, v71
	v_lshlrev_b32_e32 v64, 2, v76
	;; [unrolled: 1-line block ×8, first 2 shown]
	s_waitcnt lgkmcnt(0)
	s_barrier
	ds_read_b32 v63, v63
	ds_read_b32 v64, v64
	ds_read_b32 v65, v65
	ds_read_b32 v66, v66
	ds_read_b32 v67, v67
	ds_read_b32 v68, v68
	ds_read_b32 v69, v69
	ds_read_b32 v70, v70
	v_cndmask_b32_e64 v73, v97, v100, s[14:15]
	s_waitcnt lgkmcnt(0)
	s_barrier
	ds_write2_b32 v54, v72, v75 offset1:1
	ds_write2_b32 v54, v79, v83 offset0:2 offset1:3
	ds_write2_b32 v54, v87, v91 offset0:4 offset1:5
	;; [unrolled: 1-line block ×3, first 2 shown]
	v_mov_b32_e32 v73, v32
	s_waitcnt lgkmcnt(0)
	s_barrier
	s_and_saveexec_b64 s[16:17], s[8:9]
	s_cbranch_execz .LBB29_166
; %bb.163:                              ;   in Loop: Header=BB29_2 Depth=1
	s_mov_b64 s[18:19], 0
	v_mov_b32_e32 v73, v32
	v_mov_b32_e32 v71, v33
.LBB29_164:                             ;   Parent Loop BB29_2 Depth=1
                                        ; =>  This Inner Loop Header: Depth=2
	v_sub_u32_e32 v72, v71, v73
	v_lshrrev_b32_e32 v72, 1, v72
	v_add_u32_e32 v72, v72, v73
	v_not_b32_e32 v75, v72
	v_lshl_add_u32 v74, v72, 2, v60
	v_lshl_add_u32 v75, v75, 2, v51
	ds_read_b32 v74, v74
	ds_read_b32 v75, v75
	v_add_u32_e32 v76, 1, v72
	s_waitcnt lgkmcnt(0)
	v_cmp_lt_i32_e64 s[14:15], v75, v74
	v_cndmask_b32_e64 v71, v71, v72, s[14:15]
	v_cndmask_b32_e64 v73, v76, v73, s[14:15]
	v_cmp_ge_i32_e64 s[14:15], v73, v71
	s_or_b64 s[18:19], s[14:15], s[18:19]
	s_andn2_b64 exec, exec, s[18:19]
	s_cbranch_execnz .LBB29_164
; %bb.165:                              ;   in Loop: Header=BB29_2 Depth=1
	s_or_b64 exec, exec, s[18:19]
.LBB29_166:                             ;   in Loop: Header=BB29_2 Depth=1
	s_or_b64 exec, exec, s[16:17]
	v_sub_u32_e32 v71, v50, v73
	v_lshl_add_u32 v76, v73, 2, v60
	v_lshlrev_b32_e32 v77, 2, v71
	ds_read_b32 v72, v76
	ds_read_b32 v74, v77
	v_add_u32_e32 v73, v73, v16
	v_cmp_le_i32_e64 s[16:17], v17, v73
	v_cmp_gt_i32_e64 s[14:15], v18, v71
                                        ; implicit-def: $vgpr75
	s_waitcnt lgkmcnt(0)
	v_cmp_lt_i32_e64 s[18:19], v74, v72
	s_or_b64 s[16:17], s[16:17], s[18:19]
	s_and_b64 s[14:15], s[14:15], s[16:17]
	s_xor_b64 s[16:17], s[14:15], -1
	s_and_saveexec_b64 s[18:19], s[16:17]
	s_xor_b64 s[16:17], exec, s[18:19]
; %bb.167:                              ;   in Loop: Header=BB29_2 Depth=1
	ds_read_b32 v75, v76 offset:4
                                        ; implicit-def: $vgpr77
; %bb.168:                              ;   in Loop: Header=BB29_2 Depth=1
	s_or_saveexec_b64 s[16:17], s[16:17]
	v_mov_b32_e32 v76, v74
	s_xor_b64 exec, exec, s[16:17]
	s_cbranch_execz .LBB29_170
; %bb.169:                              ;   in Loop: Header=BB29_2 Depth=1
	ds_read_b32 v76, v77 offset:4
	s_waitcnt lgkmcnt(1)
	v_mov_b32_e32 v75, v72
.LBB29_170:                             ;   in Loop: Header=BB29_2 Depth=1
	s_or_b64 exec, exec, s[16:17]
	v_add_u32_e32 v78, 1, v73
	v_add_u32_e32 v77, 1, v71
	v_cndmask_b32_e64 v78, v78, v73, s[14:15]
	v_cndmask_b32_e64 v77, v71, v77, s[14:15]
	v_cmp_ge_i32_e64 s[18:19], v78, v17
	s_waitcnt lgkmcnt(0)
	v_cmp_lt_i32_e64 s[20:21], v76, v75
	v_cmp_lt_i32_e64 s[16:17], v77, v18
	s_or_b64 s[18:19], s[18:19], s[20:21]
	s_and_b64 s[16:17], s[16:17], s[18:19]
	s_xor_b64 s[18:19], s[16:17], -1
                                        ; implicit-def: $vgpr79
	s_and_saveexec_b64 s[20:21], s[18:19]
	s_xor_b64 s[18:19], exec, s[20:21]
; %bb.171:                              ;   in Loop: Header=BB29_2 Depth=1
	v_lshlrev_b32_e32 v79, 2, v78
	ds_read_b32 v79, v79 offset:4
; %bb.172:                              ;   in Loop: Header=BB29_2 Depth=1
	s_or_saveexec_b64 s[18:19], s[18:19]
	v_mov_b32_e32 v80, v76
	s_xor_b64 exec, exec, s[18:19]
	s_cbranch_execz .LBB29_174
; %bb.173:                              ;   in Loop: Header=BB29_2 Depth=1
	s_waitcnt lgkmcnt(0)
	v_lshlrev_b32_e32 v79, 2, v77
	ds_read_b32 v80, v79 offset:4
	v_mov_b32_e32 v79, v75
.LBB29_174:                             ;   in Loop: Header=BB29_2 Depth=1
	s_or_b64 exec, exec, s[18:19]
	v_add_u32_e32 v82, 1, v78
	v_add_u32_e32 v81, 1, v77
	v_cndmask_b32_e64 v82, v82, v78, s[16:17]
	v_cndmask_b32_e64 v81, v77, v81, s[16:17]
	v_cmp_ge_i32_e64 s[20:21], v82, v17
	s_waitcnt lgkmcnt(0)
	v_cmp_lt_i32_e64 s[22:23], v80, v79
	v_cmp_lt_i32_e64 s[18:19], v81, v18
	s_or_b64 s[20:21], s[20:21], s[22:23]
	s_and_b64 s[18:19], s[18:19], s[20:21]
	s_xor_b64 s[20:21], s[18:19], -1
                                        ; implicit-def: $vgpr83
	s_and_saveexec_b64 s[22:23], s[20:21]
	s_xor_b64 s[20:21], exec, s[22:23]
; %bb.175:                              ;   in Loop: Header=BB29_2 Depth=1
	v_lshlrev_b32_e32 v83, 2, v82
	ds_read_b32 v83, v83 offset:4
; %bb.176:                              ;   in Loop: Header=BB29_2 Depth=1
	s_or_saveexec_b64 s[20:21], s[20:21]
	v_mov_b32_e32 v84, v80
	s_xor_b64 exec, exec, s[20:21]
	s_cbranch_execz .LBB29_178
; %bb.177:                              ;   in Loop: Header=BB29_2 Depth=1
	s_waitcnt lgkmcnt(0)
	v_lshlrev_b32_e32 v83, 2, v81
	ds_read_b32 v84, v83 offset:4
	v_mov_b32_e32 v83, v79
.LBB29_178:                             ;   in Loop: Header=BB29_2 Depth=1
	s_or_b64 exec, exec, s[20:21]
	v_add_u32_e32 v86, 1, v82
	v_add_u32_e32 v85, 1, v81
	v_cndmask_b32_e64 v86, v86, v82, s[18:19]
	v_cndmask_b32_e64 v85, v81, v85, s[18:19]
	v_cmp_ge_i32_e64 s[22:23], v86, v17
	s_waitcnt lgkmcnt(0)
	v_cmp_lt_i32_e64 s[24:25], v84, v83
	v_cmp_lt_i32_e64 s[20:21], v85, v18
	s_or_b64 s[22:23], s[22:23], s[24:25]
	s_and_b64 s[20:21], s[20:21], s[22:23]
	s_xor_b64 s[22:23], s[20:21], -1
                                        ; implicit-def: $vgpr87
	s_and_saveexec_b64 s[24:25], s[22:23]
	s_xor_b64 s[22:23], exec, s[24:25]
; %bb.179:                              ;   in Loop: Header=BB29_2 Depth=1
	v_lshlrev_b32_e32 v87, 2, v86
	ds_read_b32 v87, v87 offset:4
; %bb.180:                              ;   in Loop: Header=BB29_2 Depth=1
	s_or_saveexec_b64 s[22:23], s[22:23]
	v_mov_b32_e32 v88, v84
	s_xor_b64 exec, exec, s[22:23]
	s_cbranch_execz .LBB29_182
; %bb.181:                              ;   in Loop: Header=BB29_2 Depth=1
	s_waitcnt lgkmcnt(0)
	v_lshlrev_b32_e32 v87, 2, v85
	ds_read_b32 v88, v87 offset:4
	v_mov_b32_e32 v87, v83
.LBB29_182:                             ;   in Loop: Header=BB29_2 Depth=1
	s_or_b64 exec, exec, s[22:23]
	v_add_u32_e32 v90, 1, v86
	v_add_u32_e32 v89, 1, v85
	v_cndmask_b32_e64 v90, v90, v86, s[20:21]
	v_cndmask_b32_e64 v89, v85, v89, s[20:21]
	v_cmp_ge_i32_e64 s[24:25], v90, v17
	s_waitcnt lgkmcnt(0)
	v_cmp_lt_i32_e64 s[26:27], v88, v87
	v_cmp_lt_i32_e64 s[22:23], v89, v18
	s_or_b64 s[24:25], s[24:25], s[26:27]
	s_and_b64 s[22:23], s[22:23], s[24:25]
	s_xor_b64 s[24:25], s[22:23], -1
                                        ; implicit-def: $vgpr91
	s_and_saveexec_b64 s[26:27], s[24:25]
	s_xor_b64 s[24:25], exec, s[26:27]
; %bb.183:                              ;   in Loop: Header=BB29_2 Depth=1
	v_lshlrev_b32_e32 v91, 2, v90
	ds_read_b32 v91, v91 offset:4
; %bb.184:                              ;   in Loop: Header=BB29_2 Depth=1
	s_or_saveexec_b64 s[24:25], s[24:25]
	v_mov_b32_e32 v92, v88
	s_xor_b64 exec, exec, s[24:25]
	s_cbranch_execz .LBB29_186
; %bb.185:                              ;   in Loop: Header=BB29_2 Depth=1
	s_waitcnt lgkmcnt(0)
	v_lshlrev_b32_e32 v91, 2, v89
	ds_read_b32 v92, v91 offset:4
	v_mov_b32_e32 v91, v87
.LBB29_186:                             ;   in Loop: Header=BB29_2 Depth=1
	s_or_b64 exec, exec, s[24:25]
	v_add_u32_e32 v94, 1, v90
	v_add_u32_e32 v93, 1, v89
	v_cndmask_b32_e64 v94, v94, v90, s[22:23]
	v_cndmask_b32_e64 v93, v89, v93, s[22:23]
	v_cmp_ge_i32_e64 s[26:27], v94, v17
	s_waitcnt lgkmcnt(0)
	v_cmp_lt_i32_e64 s[28:29], v92, v91
	v_cmp_lt_i32_e64 s[24:25], v93, v18
	s_or_b64 s[26:27], s[26:27], s[28:29]
	s_and_b64 s[24:25], s[24:25], s[26:27]
	s_xor_b64 s[26:27], s[24:25], -1
                                        ; implicit-def: $vgpr95
	s_and_saveexec_b64 s[28:29], s[26:27]
	s_xor_b64 s[26:27], exec, s[28:29]
; %bb.187:                              ;   in Loop: Header=BB29_2 Depth=1
	v_lshlrev_b32_e32 v95, 2, v94
	ds_read_b32 v95, v95 offset:4
; %bb.188:                              ;   in Loop: Header=BB29_2 Depth=1
	s_or_saveexec_b64 s[26:27], s[26:27]
	v_mov_b32_e32 v96, v92
	s_xor_b64 exec, exec, s[26:27]
	s_cbranch_execz .LBB29_190
; %bb.189:                              ;   in Loop: Header=BB29_2 Depth=1
	s_waitcnt lgkmcnt(0)
	v_lshlrev_b32_e32 v95, 2, v93
	ds_read_b32 v96, v95 offset:4
	v_mov_b32_e32 v95, v91
.LBB29_190:                             ;   in Loop: Header=BB29_2 Depth=1
	s_or_b64 exec, exec, s[26:27]
	v_add_u32_e32 v99, 1, v94
	v_add_u32_e32 v97, 1, v93
	v_cndmask_b32_e64 v99, v99, v94, s[24:25]
	v_cndmask_b32_e64 v98, v93, v97, s[24:25]
	v_cmp_ge_i32_e64 s[28:29], v99, v17
	s_waitcnt lgkmcnt(0)
	v_cmp_lt_i32_e64 s[30:31], v96, v95
	v_cmp_lt_i32_e64 s[26:27], v98, v18
	s_or_b64 s[28:29], s[28:29], s[30:31]
	s_and_b64 s[26:27], s[26:27], s[28:29]
	s_xor_b64 s[28:29], s[26:27], -1
                                        ; implicit-def: $vgpr97
	s_and_saveexec_b64 s[30:31], s[28:29]
	s_xor_b64 s[28:29], exec, s[30:31]
; %bb.191:                              ;   in Loop: Header=BB29_2 Depth=1
	v_lshlrev_b32_e32 v97, 2, v99
	ds_read_b32 v97, v97 offset:4
; %bb.192:                              ;   in Loop: Header=BB29_2 Depth=1
	s_or_saveexec_b64 s[28:29], s[28:29]
	v_mov_b32_e32 v100, v96
	s_xor_b64 exec, exec, s[28:29]
	s_cbranch_execz .LBB29_194
; %bb.193:                              ;   in Loop: Header=BB29_2 Depth=1
	s_waitcnt lgkmcnt(0)
	v_lshlrev_b32_e32 v97, 2, v98
	ds_read_b32 v100, v97 offset:4
	v_mov_b32_e32 v97, v95
.LBB29_194:                             ;   in Loop: Header=BB29_2 Depth=1
	s_or_b64 exec, exec, s[28:29]
	v_add_u32_e32 v101, 1, v99
	v_cndmask_b32_e64 v95, v95, v96, s[26:27]
	v_add_u32_e32 v96, 1, v98
	v_cndmask_b32_e64 v101, v101, v99, s[26:27]
	v_cndmask_b32_e64 v96, v98, v96, s[26:27]
	;; [unrolled: 1-line block ×6, first 2 shown]
	v_cmp_ge_i32_e64 s[16:17], v101, v17
	s_waitcnt lgkmcnt(0)
	v_cmp_lt_i32_e64 s[18:19], v100, v97
	v_cndmask_b32_e64 v72, v72, v74, s[14:15]
	v_cndmask_b32_e64 v71, v73, v71, s[14:15]
	v_cmp_lt_i32_e64 s[14:15], v96, v18
	s_or_b64 s[16:17], s[16:17], s[18:19]
	s_and_b64 s[14:15], s[14:15], s[16:17]
	v_cndmask_b32_e64 v98, v99, v98, s[26:27]
	v_cndmask_b32_e64 v91, v91, v92, s[24:25]
	;; [unrolled: 1-line block ×8, first 2 shown]
	s_barrier
	ds_write2_b32 v54, v63, v64 offset1:1
	ds_write2_b32 v54, v65, v66 offset0:2 offset1:3
	ds_write2_b32 v54, v67, v68 offset0:4 offset1:5
	;; [unrolled: 1-line block ×3, first 2 shown]
	v_lshlrev_b32_e32 v63, 2, v71
	v_lshlrev_b32_e32 v64, 2, v76
	;; [unrolled: 1-line block ×8, first 2 shown]
	s_waitcnt lgkmcnt(0)
	s_barrier
	ds_read_b32 v63, v63
	ds_read_b32 v64, v64
	;; [unrolled: 1-line block ×8, first 2 shown]
	v_cndmask_b32_e64 v73, v97, v100, s[14:15]
	s_waitcnt lgkmcnt(0)
	s_barrier
	ds_write2_b32 v54, v72, v75 offset1:1
	ds_write2_b32 v54, v79, v83 offset0:2 offset1:3
	ds_write2_b32 v54, v87, v91 offset0:4 offset1:5
	;; [unrolled: 1-line block ×3, first 2 shown]
	v_mov_b32_e32 v73, v34
	s_waitcnt lgkmcnt(0)
	s_barrier
	s_and_saveexec_b64 s[16:17], s[10:11]
	s_cbranch_execz .LBB29_198
; %bb.195:                              ;   in Loop: Header=BB29_2 Depth=1
	s_mov_b64 s[18:19], 0
	v_mov_b32_e32 v73, v34
	v_mov_b32_e32 v71, v35
.LBB29_196:                             ;   Parent Loop BB29_2 Depth=1
                                        ; =>  This Inner Loop Header: Depth=2
	v_sub_u32_e32 v72, v71, v73
	v_lshrrev_b32_e32 v72, 1, v72
	v_add_u32_e32 v72, v72, v73
	v_not_b32_e32 v75, v72
	v_lshl_add_u32 v74, v72, 2, v61
	v_lshl_add_u32 v75, v75, 2, v53
	ds_read_b32 v74, v74
	ds_read_b32 v75, v75
	v_add_u32_e32 v76, 1, v72
	s_waitcnt lgkmcnt(0)
	v_cmp_lt_i32_e64 s[14:15], v75, v74
	v_cndmask_b32_e64 v71, v71, v72, s[14:15]
	v_cndmask_b32_e64 v73, v76, v73, s[14:15]
	v_cmp_ge_i32_e64 s[14:15], v73, v71
	s_or_b64 s[18:19], s[14:15], s[18:19]
	s_andn2_b64 exec, exec, s[18:19]
	s_cbranch_execnz .LBB29_196
; %bb.197:                              ;   in Loop: Header=BB29_2 Depth=1
	s_or_b64 exec, exec, s[18:19]
.LBB29_198:                             ;   in Loop: Header=BB29_2 Depth=1
	s_or_b64 exec, exec, s[16:17]
	v_sub_u32_e32 v71, v52, v73
	v_lshl_add_u32 v76, v73, 2, v61
	v_lshlrev_b32_e32 v77, 2, v71
	ds_read_b32 v72, v76
	ds_read_b32 v74, v77
	v_add_u32_e32 v73, v73, v19
	v_cmp_le_i32_e64 s[16:17], v20, v73
	v_cmp_gt_i32_e64 s[14:15], v21, v71
                                        ; implicit-def: $vgpr75
	s_waitcnt lgkmcnt(0)
	v_cmp_lt_i32_e64 s[18:19], v74, v72
	s_or_b64 s[16:17], s[16:17], s[18:19]
	s_and_b64 s[14:15], s[14:15], s[16:17]
	s_xor_b64 s[16:17], s[14:15], -1
	s_and_saveexec_b64 s[18:19], s[16:17]
	s_xor_b64 s[16:17], exec, s[18:19]
; %bb.199:                              ;   in Loop: Header=BB29_2 Depth=1
	ds_read_b32 v75, v76 offset:4
                                        ; implicit-def: $vgpr77
; %bb.200:                              ;   in Loop: Header=BB29_2 Depth=1
	s_or_saveexec_b64 s[16:17], s[16:17]
	v_mov_b32_e32 v76, v74
	s_xor_b64 exec, exec, s[16:17]
	s_cbranch_execz .LBB29_202
; %bb.201:                              ;   in Loop: Header=BB29_2 Depth=1
	ds_read_b32 v76, v77 offset:4
	s_waitcnt lgkmcnt(1)
	v_mov_b32_e32 v75, v72
.LBB29_202:                             ;   in Loop: Header=BB29_2 Depth=1
	s_or_b64 exec, exec, s[16:17]
	v_add_u32_e32 v78, 1, v73
	v_add_u32_e32 v77, 1, v71
	v_cndmask_b32_e64 v78, v78, v73, s[14:15]
	v_cndmask_b32_e64 v77, v71, v77, s[14:15]
	v_cmp_ge_i32_e64 s[18:19], v78, v20
	s_waitcnt lgkmcnt(0)
	v_cmp_lt_i32_e64 s[20:21], v76, v75
	v_cmp_lt_i32_e64 s[16:17], v77, v21
	s_or_b64 s[18:19], s[18:19], s[20:21]
	s_and_b64 s[16:17], s[16:17], s[18:19]
	s_xor_b64 s[18:19], s[16:17], -1
                                        ; implicit-def: $vgpr79
	s_and_saveexec_b64 s[20:21], s[18:19]
	s_xor_b64 s[18:19], exec, s[20:21]
; %bb.203:                              ;   in Loop: Header=BB29_2 Depth=1
	v_lshlrev_b32_e32 v79, 2, v78
	ds_read_b32 v79, v79 offset:4
; %bb.204:                              ;   in Loop: Header=BB29_2 Depth=1
	s_or_saveexec_b64 s[18:19], s[18:19]
	v_mov_b32_e32 v80, v76
	s_xor_b64 exec, exec, s[18:19]
	s_cbranch_execz .LBB29_206
; %bb.205:                              ;   in Loop: Header=BB29_2 Depth=1
	s_waitcnt lgkmcnt(0)
	v_lshlrev_b32_e32 v79, 2, v77
	ds_read_b32 v80, v79 offset:4
	v_mov_b32_e32 v79, v75
.LBB29_206:                             ;   in Loop: Header=BB29_2 Depth=1
	s_or_b64 exec, exec, s[18:19]
	v_add_u32_e32 v82, 1, v78
	v_add_u32_e32 v81, 1, v77
	v_cndmask_b32_e64 v82, v82, v78, s[16:17]
	v_cndmask_b32_e64 v81, v77, v81, s[16:17]
	v_cmp_ge_i32_e64 s[20:21], v82, v20
	s_waitcnt lgkmcnt(0)
	v_cmp_lt_i32_e64 s[22:23], v80, v79
	v_cmp_lt_i32_e64 s[18:19], v81, v21
	s_or_b64 s[20:21], s[20:21], s[22:23]
	s_and_b64 s[18:19], s[18:19], s[20:21]
	s_xor_b64 s[20:21], s[18:19], -1
                                        ; implicit-def: $vgpr83
	s_and_saveexec_b64 s[22:23], s[20:21]
	s_xor_b64 s[20:21], exec, s[22:23]
; %bb.207:                              ;   in Loop: Header=BB29_2 Depth=1
	v_lshlrev_b32_e32 v83, 2, v82
	ds_read_b32 v83, v83 offset:4
; %bb.208:                              ;   in Loop: Header=BB29_2 Depth=1
	s_or_saveexec_b64 s[20:21], s[20:21]
	v_mov_b32_e32 v84, v80
	s_xor_b64 exec, exec, s[20:21]
	s_cbranch_execz .LBB29_210
; %bb.209:                              ;   in Loop: Header=BB29_2 Depth=1
	s_waitcnt lgkmcnt(0)
	v_lshlrev_b32_e32 v83, 2, v81
	ds_read_b32 v84, v83 offset:4
	v_mov_b32_e32 v83, v79
.LBB29_210:                             ;   in Loop: Header=BB29_2 Depth=1
	s_or_b64 exec, exec, s[20:21]
	v_add_u32_e32 v86, 1, v82
	v_add_u32_e32 v85, 1, v81
	v_cndmask_b32_e64 v86, v86, v82, s[18:19]
	v_cndmask_b32_e64 v85, v81, v85, s[18:19]
	v_cmp_ge_i32_e64 s[22:23], v86, v20
	s_waitcnt lgkmcnt(0)
	v_cmp_lt_i32_e64 s[24:25], v84, v83
	v_cmp_lt_i32_e64 s[20:21], v85, v21
	s_or_b64 s[22:23], s[22:23], s[24:25]
	s_and_b64 s[20:21], s[20:21], s[22:23]
	s_xor_b64 s[22:23], s[20:21], -1
                                        ; implicit-def: $vgpr87
	s_and_saveexec_b64 s[24:25], s[22:23]
	s_xor_b64 s[22:23], exec, s[24:25]
; %bb.211:                              ;   in Loop: Header=BB29_2 Depth=1
	v_lshlrev_b32_e32 v87, 2, v86
	ds_read_b32 v87, v87 offset:4
; %bb.212:                              ;   in Loop: Header=BB29_2 Depth=1
	s_or_saveexec_b64 s[22:23], s[22:23]
	v_mov_b32_e32 v88, v84
	s_xor_b64 exec, exec, s[22:23]
	s_cbranch_execz .LBB29_214
; %bb.213:                              ;   in Loop: Header=BB29_2 Depth=1
	s_waitcnt lgkmcnt(0)
	v_lshlrev_b32_e32 v87, 2, v85
	ds_read_b32 v88, v87 offset:4
	v_mov_b32_e32 v87, v83
.LBB29_214:                             ;   in Loop: Header=BB29_2 Depth=1
	s_or_b64 exec, exec, s[22:23]
	v_add_u32_e32 v90, 1, v86
	v_add_u32_e32 v89, 1, v85
	v_cndmask_b32_e64 v90, v90, v86, s[20:21]
	v_cndmask_b32_e64 v89, v85, v89, s[20:21]
	v_cmp_ge_i32_e64 s[24:25], v90, v20
	s_waitcnt lgkmcnt(0)
	v_cmp_lt_i32_e64 s[26:27], v88, v87
	v_cmp_lt_i32_e64 s[22:23], v89, v21
	s_or_b64 s[24:25], s[24:25], s[26:27]
	s_and_b64 s[22:23], s[22:23], s[24:25]
	s_xor_b64 s[24:25], s[22:23], -1
                                        ; implicit-def: $vgpr91
	s_and_saveexec_b64 s[26:27], s[24:25]
	s_xor_b64 s[24:25], exec, s[26:27]
; %bb.215:                              ;   in Loop: Header=BB29_2 Depth=1
	v_lshlrev_b32_e32 v91, 2, v90
	ds_read_b32 v91, v91 offset:4
; %bb.216:                              ;   in Loop: Header=BB29_2 Depth=1
	s_or_saveexec_b64 s[24:25], s[24:25]
	v_mov_b32_e32 v92, v88
	s_xor_b64 exec, exec, s[24:25]
	s_cbranch_execz .LBB29_218
; %bb.217:                              ;   in Loop: Header=BB29_2 Depth=1
	s_waitcnt lgkmcnt(0)
	v_lshlrev_b32_e32 v91, 2, v89
	ds_read_b32 v92, v91 offset:4
	v_mov_b32_e32 v91, v87
.LBB29_218:                             ;   in Loop: Header=BB29_2 Depth=1
	s_or_b64 exec, exec, s[24:25]
	v_add_u32_e32 v94, 1, v90
	v_add_u32_e32 v93, 1, v89
	v_cndmask_b32_e64 v94, v94, v90, s[22:23]
	v_cndmask_b32_e64 v93, v89, v93, s[22:23]
	v_cmp_ge_i32_e64 s[26:27], v94, v20
	s_waitcnt lgkmcnt(0)
	v_cmp_lt_i32_e64 s[28:29], v92, v91
	v_cmp_lt_i32_e64 s[24:25], v93, v21
	s_or_b64 s[26:27], s[26:27], s[28:29]
	s_and_b64 s[24:25], s[24:25], s[26:27]
	s_xor_b64 s[26:27], s[24:25], -1
                                        ; implicit-def: $vgpr95
	s_and_saveexec_b64 s[28:29], s[26:27]
	s_xor_b64 s[26:27], exec, s[28:29]
; %bb.219:                              ;   in Loop: Header=BB29_2 Depth=1
	v_lshlrev_b32_e32 v95, 2, v94
	ds_read_b32 v95, v95 offset:4
; %bb.220:                              ;   in Loop: Header=BB29_2 Depth=1
	s_or_saveexec_b64 s[26:27], s[26:27]
	v_mov_b32_e32 v96, v92
	s_xor_b64 exec, exec, s[26:27]
	s_cbranch_execz .LBB29_222
; %bb.221:                              ;   in Loop: Header=BB29_2 Depth=1
	s_waitcnt lgkmcnt(0)
	v_lshlrev_b32_e32 v95, 2, v93
	ds_read_b32 v96, v95 offset:4
	v_mov_b32_e32 v95, v91
.LBB29_222:                             ;   in Loop: Header=BB29_2 Depth=1
	s_or_b64 exec, exec, s[26:27]
	v_add_u32_e32 v99, 1, v94
	v_add_u32_e32 v97, 1, v93
	v_cndmask_b32_e64 v99, v99, v94, s[24:25]
	v_cndmask_b32_e64 v98, v93, v97, s[24:25]
	v_cmp_ge_i32_e64 s[28:29], v99, v20
	s_waitcnt lgkmcnt(0)
	v_cmp_lt_i32_e64 s[30:31], v96, v95
	v_cmp_lt_i32_e64 s[26:27], v98, v21
	s_or_b64 s[28:29], s[28:29], s[30:31]
	s_and_b64 s[26:27], s[26:27], s[28:29]
	s_xor_b64 s[28:29], s[26:27], -1
                                        ; implicit-def: $vgpr97
	s_and_saveexec_b64 s[30:31], s[28:29]
	s_xor_b64 s[28:29], exec, s[30:31]
; %bb.223:                              ;   in Loop: Header=BB29_2 Depth=1
	v_lshlrev_b32_e32 v97, 2, v99
	ds_read_b32 v97, v97 offset:4
; %bb.224:                              ;   in Loop: Header=BB29_2 Depth=1
	s_or_saveexec_b64 s[28:29], s[28:29]
	v_mov_b32_e32 v100, v96
	s_xor_b64 exec, exec, s[28:29]
	s_cbranch_execz .LBB29_226
; %bb.225:                              ;   in Loop: Header=BB29_2 Depth=1
	s_waitcnt lgkmcnt(0)
	v_lshlrev_b32_e32 v97, 2, v98
	ds_read_b32 v100, v97 offset:4
	v_mov_b32_e32 v97, v95
.LBB29_226:                             ;   in Loop: Header=BB29_2 Depth=1
	s_or_b64 exec, exec, s[28:29]
	v_add_u32_e32 v101, 1, v99
	v_cndmask_b32_e64 v95, v95, v96, s[26:27]
	v_add_u32_e32 v96, 1, v98
	v_cndmask_b32_e64 v101, v101, v99, s[26:27]
	v_cndmask_b32_e64 v96, v98, v96, s[26:27]
	v_cndmask_b32_e64 v79, v79, v80, s[18:19]
	v_cndmask_b32_e64 v80, v82, v81, s[18:19]
	v_cndmask_b32_e64 v75, v75, v76, s[16:17]
	v_cndmask_b32_e64 v76, v78, v77, s[16:17]
	v_cmp_ge_i32_e64 s[16:17], v101, v20
	s_waitcnt lgkmcnt(0)
	v_cmp_lt_i32_e64 s[18:19], v100, v97
	v_cndmask_b32_e64 v72, v72, v74, s[14:15]
	v_cndmask_b32_e64 v71, v73, v71, s[14:15]
	v_cmp_lt_i32_e64 s[14:15], v96, v21
	s_or_b64 s[16:17], s[16:17], s[18:19]
	s_and_b64 s[14:15], s[14:15], s[16:17]
	v_cndmask_b32_e64 v98, v99, v98, s[26:27]
	v_cndmask_b32_e64 v91, v91, v92, s[24:25]
	;; [unrolled: 1-line block ×8, first 2 shown]
	s_barrier
	ds_write2_b32 v54, v63, v64 offset1:1
	ds_write2_b32 v54, v65, v66 offset0:2 offset1:3
	ds_write2_b32 v54, v67, v68 offset0:4 offset1:5
	ds_write2_b32 v54, v69, v70 offset0:6 offset1:7
	v_lshlrev_b32_e32 v63, 2, v71
	v_lshlrev_b32_e32 v64, 2, v76
	;; [unrolled: 1-line block ×8, first 2 shown]
	s_waitcnt lgkmcnt(0)
	s_barrier
	ds_read_b32 v63, v63
	ds_read_b32 v64, v64
	;; [unrolled: 1-line block ×8, first 2 shown]
	v_mov_b32_e32 v71, v37
	v_cndmask_b32_e64 v73, v97, v100, s[14:15]
	s_waitcnt lgkmcnt(0)
	s_barrier
	ds_write2_b32 v54, v72, v75 offset1:1
	ds_write2_b32 v54, v79, v83 offset0:2 offset1:3
	ds_write2_b32 v54, v87, v91 offset0:4 offset1:5
	;; [unrolled: 1-line block ×3, first 2 shown]
	s_waitcnt lgkmcnt(0)
	s_barrier
	s_and_saveexec_b64 s[16:17], s[12:13]
	s_cbranch_execz .LBB29_230
; %bb.227:                              ;   in Loop: Header=BB29_2 Depth=1
	s_mov_b64 s[18:19], 0
	v_mov_b32_e32 v71, v37
	v_mov_b32_e32 v72, v38
.LBB29_228:                             ;   Parent Loop BB29_2 Depth=1
                                        ; =>  This Inner Loop Header: Depth=2
	v_sub_u32_e32 v73, v72, v71
	v_lshrrev_b32_e32 v73, 1, v73
	v_add_u32_e32 v73, v73, v71
	v_not_b32_e32 v75, v73
	v_lshlrev_b32_e32 v74, 2, v73
	v_lshl_add_u32 v75, v75, 2, v62
	ds_read_b32 v74, v74
	ds_read_b32 v75, v75
	v_add_u32_e32 v76, 1, v73
	s_waitcnt lgkmcnt(0)
	v_cmp_lt_i32_e64 s[14:15], v75, v74
	v_cndmask_b32_e64 v72, v72, v73, s[14:15]
	v_cndmask_b32_e64 v71, v76, v71, s[14:15]
	v_cmp_ge_i32_e64 s[14:15], v71, v72
	s_or_b64 s[18:19], s[14:15], s[18:19]
	s_andn2_b64 exec, exec, s[18:19]
	s_cbranch_execnz .LBB29_228
; %bb.229:                              ;   in Loop: Header=BB29_2 Depth=1
	s_or_b64 exec, exec, s[18:19]
.LBB29_230:                             ;   in Loop: Header=BB29_2 Depth=1
	s_or_b64 exec, exec, s[16:17]
	v_sub_u32_e32 v72, v39, v71
	v_lshlrev_b32_e32 v76, 2, v71
	v_lshlrev_b32_e32 v77, 2, v72
	ds_read_b32 v73, v76
	ds_read_b32 v74, v77
	v_cmp_le_i32_e64 s[16:17], v36, v71
	v_cmp_gt_i32_e64 s[14:15], s33, v72
                                        ; implicit-def: $vgpr75
	s_waitcnt lgkmcnt(0)
	v_cmp_lt_i32_e64 s[18:19], v74, v73
	s_or_b64 s[16:17], s[16:17], s[18:19]
	s_and_b64 s[14:15], s[14:15], s[16:17]
	s_xor_b64 s[16:17], s[14:15], -1
	s_and_saveexec_b64 s[18:19], s[16:17]
	s_xor_b64 s[16:17], exec, s[18:19]
; %bb.231:                              ;   in Loop: Header=BB29_2 Depth=1
	ds_read_b32 v75, v76 offset:4
                                        ; implicit-def: $vgpr77
; %bb.232:                              ;   in Loop: Header=BB29_2 Depth=1
	s_or_saveexec_b64 s[16:17], s[16:17]
	v_mov_b32_e32 v76, v74
	s_xor_b64 exec, exec, s[16:17]
	s_cbranch_execz .LBB29_234
; %bb.233:                              ;   in Loop: Header=BB29_2 Depth=1
	ds_read_b32 v76, v77 offset:4
	s_waitcnt lgkmcnt(1)
	v_mov_b32_e32 v75, v73
.LBB29_234:                             ;   in Loop: Header=BB29_2 Depth=1
	s_or_b64 exec, exec, s[16:17]
	v_add_u32_e32 v78, 1, v71
	v_add_u32_e32 v77, 1, v72
	v_cndmask_b32_e64 v78, v78, v71, s[14:15]
	v_cndmask_b32_e64 v77, v72, v77, s[14:15]
	v_cmp_ge_i32_e64 s[18:19], v78, v36
	s_waitcnt lgkmcnt(0)
	v_cmp_lt_i32_e64 s[20:21], v76, v75
	v_cmp_gt_i32_e64 s[16:17], s33, v77
	s_or_b64 s[18:19], s[18:19], s[20:21]
	s_and_b64 s[16:17], s[16:17], s[18:19]
	s_xor_b64 s[18:19], s[16:17], -1
                                        ; implicit-def: $vgpr79
	s_and_saveexec_b64 s[20:21], s[18:19]
	s_xor_b64 s[18:19], exec, s[20:21]
; %bb.235:                              ;   in Loop: Header=BB29_2 Depth=1
	v_lshlrev_b32_e32 v79, 2, v78
	ds_read_b32 v79, v79 offset:4
; %bb.236:                              ;   in Loop: Header=BB29_2 Depth=1
	s_or_saveexec_b64 s[18:19], s[18:19]
	v_mov_b32_e32 v80, v76
	s_xor_b64 exec, exec, s[18:19]
	s_cbranch_execz .LBB29_238
; %bb.237:                              ;   in Loop: Header=BB29_2 Depth=1
	s_waitcnt lgkmcnt(0)
	v_lshlrev_b32_e32 v79, 2, v77
	ds_read_b32 v80, v79 offset:4
	v_mov_b32_e32 v79, v75
.LBB29_238:                             ;   in Loop: Header=BB29_2 Depth=1
	s_or_b64 exec, exec, s[18:19]
	v_add_u32_e32 v82, 1, v78
	v_add_u32_e32 v81, 1, v77
	v_cndmask_b32_e64 v82, v82, v78, s[16:17]
	v_cndmask_b32_e64 v81, v77, v81, s[16:17]
	v_cmp_ge_i32_e64 s[20:21], v82, v36
	s_waitcnt lgkmcnt(0)
	v_cmp_lt_i32_e64 s[22:23], v80, v79
	v_cmp_gt_i32_e64 s[18:19], s33, v81
	s_or_b64 s[20:21], s[20:21], s[22:23]
	s_and_b64 s[18:19], s[18:19], s[20:21]
	s_xor_b64 s[20:21], s[18:19], -1
                                        ; implicit-def: $vgpr84
	s_and_saveexec_b64 s[22:23], s[20:21]
	s_xor_b64 s[20:21], exec, s[22:23]
; %bb.239:                              ;   in Loop: Header=BB29_2 Depth=1
	v_lshlrev_b32_e32 v83, 2, v82
	ds_read_b32 v84, v83 offset:4
; %bb.240:                              ;   in Loop: Header=BB29_2 Depth=1
	s_or_saveexec_b64 s[20:21], s[20:21]
	v_mov_b32_e32 v85, v80
	s_xor_b64 exec, exec, s[20:21]
	s_cbranch_execz .LBB29_242
; %bb.241:                              ;   in Loop: Header=BB29_2 Depth=1
	v_lshlrev_b32_e32 v83, 2, v81
	ds_read_b32 v85, v83 offset:4
	s_waitcnt lgkmcnt(1)
	v_mov_b32_e32 v84, v79
.LBB29_242:                             ;   in Loop: Header=BB29_2 Depth=1
	s_or_b64 exec, exec, s[20:21]
	v_add_u32_e32 v87, 1, v82
	v_add_u32_e32 v83, 1, v81
	v_cndmask_b32_e64 v87, v87, v82, s[18:19]
	v_cndmask_b32_e64 v86, v81, v83, s[18:19]
	v_cmp_ge_i32_e64 s[22:23], v87, v36
	s_waitcnt lgkmcnt(0)
	v_cmp_lt_i32_e64 s[24:25], v85, v84
	v_cmp_gt_i32_e64 s[20:21], s33, v86
	s_or_b64 s[22:23], s[22:23], s[24:25]
	s_and_b64 s[20:21], s[20:21], s[22:23]
	s_xor_b64 s[22:23], s[20:21], -1
                                        ; implicit-def: $vgpr89
	s_and_saveexec_b64 s[24:25], s[22:23]
	s_xor_b64 s[22:23], exec, s[24:25]
; %bb.243:                              ;   in Loop: Header=BB29_2 Depth=1
	v_lshlrev_b32_e32 v83, 2, v87
	ds_read_b32 v89, v83 offset:4
; %bb.244:                              ;   in Loop: Header=BB29_2 Depth=1
	s_or_saveexec_b64 s[22:23], s[22:23]
	v_mov_b32_e32 v91, v85
	s_xor_b64 exec, exec, s[22:23]
	s_cbranch_execz .LBB29_246
; %bb.245:                              ;   in Loop: Header=BB29_2 Depth=1
	v_lshlrev_b32_e32 v83, 2, v86
	ds_read_b32 v91, v83 offset:4
	s_waitcnt lgkmcnt(1)
	v_mov_b32_e32 v89, v84
.LBB29_246:                             ;   in Loop: Header=BB29_2 Depth=1
	s_or_b64 exec, exec, s[22:23]
	v_add_u32_e32 v88, 1, v87
	v_add_u32_e32 v83, 1, v86
	v_cndmask_b32_e64 v93, v88, v87, s[20:21]
	v_cndmask_b32_e64 v92, v86, v83, s[20:21]
	v_cmp_ge_i32_e64 s[24:25], v93, v36
	s_waitcnt lgkmcnt(0)
	v_cmp_lt_i32_e64 s[26:27], v91, v89
	v_cmp_gt_i32_e64 s[22:23], s33, v92
	s_or_b64 s[24:25], s[24:25], s[26:27]
	s_and_b64 s[24:25], s[22:23], s[24:25]
	s_xor_b64 s[22:23], s[24:25], -1
                                        ; implicit-def: $vgpr88
	s_and_saveexec_b64 s[26:27], s[22:23]
	s_xor_b64 s[22:23], exec, s[26:27]
; %bb.247:                              ;   in Loop: Header=BB29_2 Depth=1
	v_lshlrev_b32_e32 v83, 2, v93
	ds_read_b32 v88, v83 offset:4
; %bb.248:                              ;   in Loop: Header=BB29_2 Depth=1
	s_or_saveexec_b64 s[22:23], s[22:23]
	v_mov_b32_e32 v90, v91
	s_xor_b64 exec, exec, s[22:23]
	s_cbranch_execz .LBB29_250
; %bb.249:                              ;   in Loop: Header=BB29_2 Depth=1
	v_lshlrev_b32_e32 v83, 2, v92
	ds_read_b32 v90, v83 offset:4
	s_waitcnt lgkmcnt(1)
	v_mov_b32_e32 v88, v89
.LBB29_250:                             ;   in Loop: Header=BB29_2 Depth=1
	s_or_b64 exec, exec, s[22:23]
	v_add_u32_e32 v94, 1, v93
	v_add_u32_e32 v83, 1, v92
	v_cndmask_b32_e64 v97, v94, v93, s[24:25]
	v_cndmask_b32_e64 v96, v92, v83, s[24:25]
	v_cmp_ge_i32_e64 s[26:27], v97, v36
	s_waitcnt lgkmcnt(0)
	v_cmp_lt_i32_e64 s[28:29], v90, v88
	v_cmp_gt_i32_e64 s[22:23], s33, v96
	s_or_b64 s[26:27], s[26:27], s[28:29]
	s_and_b64 s[22:23], s[22:23], s[26:27]
	s_xor_b64 s[26:27], s[22:23], -1
                                        ; implicit-def: $vgpr94
	s_and_saveexec_b64 s[28:29], s[26:27]
	s_xor_b64 s[26:27], exec, s[28:29]
; %bb.251:                              ;   in Loop: Header=BB29_2 Depth=1
	v_lshlrev_b32_e32 v83, 2, v97
	ds_read_b32 v94, v83 offset:4
; %bb.252:                              ;   in Loop: Header=BB29_2 Depth=1
	s_or_saveexec_b64 s[26:27], s[26:27]
	v_mov_b32_e32 v95, v90
	s_xor_b64 exec, exec, s[26:27]
	s_cbranch_execz .LBB29_254
; %bb.253:                              ;   in Loop: Header=BB29_2 Depth=1
	v_lshlrev_b32_e32 v83, 2, v96
	ds_read_b32 v95, v83 offset:4
	s_waitcnt lgkmcnt(1)
	v_mov_b32_e32 v94, v88
.LBB29_254:                             ;   in Loop: Header=BB29_2 Depth=1
	s_or_b64 exec, exec, s[26:27]
	v_add_u32_e32 v83, 1, v96
	v_add_u32_e32 v99, 1, v97
	v_cndmask_b32_e64 v98, v96, v83, s[22:23]
	v_cndmask_b32_e64 v83, v99, v97, s[22:23]
	v_cmp_ge_i32_e64 s[28:29], v83, v36
	s_waitcnt lgkmcnt(0)
	v_cmp_lt_i32_e64 s[30:31], v95, v94
	v_cmp_gt_i32_e64 s[26:27], s33, v98
	s_or_b64 s[28:29], s[28:29], s[30:31]
	s_and_b64 s[26:27], s[26:27], s[28:29]
	s_xor_b64 s[28:29], s[26:27], -1
                                        ; implicit-def: $vgpr101
                                        ; implicit-def: $vgpr100
	s_and_saveexec_b64 s[30:31], s[28:29]
	s_xor_b64 s[28:29], exec, s[30:31]
; %bb.255:                              ;   in Loop: Header=BB29_2 Depth=1
	v_lshlrev_b32_e32 v99, 2, v83
	ds_read_b32 v101, v99 offset:4
	v_add_u32_e32 v100, 1, v83
; %bb.256:                              ;   in Loop: Header=BB29_2 Depth=1
	s_or_saveexec_b64 s[28:29], s[28:29]
	v_mov_b32_e32 v99, v83
	v_mov_b32_e32 v102, v95
	s_xor_b64 exec, exec, s[28:29]
	s_cbranch_execz .LBB29_1
; %bb.257:                              ;   in Loop: Header=BB29_2 Depth=1
	v_lshlrev_b32_e32 v99, 2, v98
	ds_read_b32 v102, v99 offset:4
	s_waitcnt lgkmcnt(1)
	v_add_u32_e32 v101, 1, v98
	v_mov_b32_e32 v99, v98
	v_mov_b32_e32 v100, v83
	;; [unrolled: 1-line block ×4, first 2 shown]
	s_branch .LBB29_1
.LBB29_258:
	v_readlane_b32 s0, v103, 0
	v_readlane_b32 s2, v103, 2
	;; [unrolled: 1-line block ×4, first 2 shown]
	s_add_u32 s0, s2, s92
	s_addc_u32 s1, s3, s93
	v_lshlrev_b32_e32 v0, 2, v0
	v_mov_b32_e32 v9, s1
	v_add_co_u32_e32 v10, vcc, s0, v0
	s_waitcnt lgkmcnt(7)
	v_add_u32_e32 v1, v83, v63
	v_addc_co_u32_e32 v9, vcc, 0, v9, vcc
	s_waitcnt lgkmcnt(6)
	v_add_u32_e32 v2, v76, v67
	s_waitcnt lgkmcnt(5)
	v_add_u32_e32 v3, v74, v64
	;; [unrolled: 2-line block ×3, first 2 shown]
	global_store_dword v0, v1, s[0:1]
	global_store_dword v0, v2, s[0:1] offset:1024
	global_store_dword v0, v3, s[0:1] offset:2048
	;; [unrolled: 1-line block ×3, first 2 shown]
	v_add_co_u32_e32 v0, vcc, 0x1000, v10
	s_waitcnt lgkmcnt(3)
	v_add_u32_e32 v5, v73, v65
	v_addc_co_u32_e32 v1, vcc, 0, v9, vcc
	s_waitcnt lgkmcnt(2)
	v_add_u32_e32 v6, v72, v69
	s_waitcnt lgkmcnt(1)
	v_add_u32_e32 v7, v77, v66
	;; [unrolled: 2-line block ×3, first 2 shown]
	global_store_dword v[0:1], v5, off
	global_store_dword v[0:1], v6, off offset:1024
	global_store_dword v[0:1], v7, off offset:2048
	;; [unrolled: 1-line block ×3, first 2 shown]
	s_endpgm
	.section	.rodata,"a",@progbits
	.p2align	6, 0x0
	.amdhsa_kernel _Z17sort_pairs_kernelIiLj256ELj8EN10test_utils4lessELj10EEvPKT_PS2_T2_
		.amdhsa_group_segment_fixed_size 8196
		.amdhsa_private_segment_fixed_size 0
		.amdhsa_kernarg_size 20
		.amdhsa_user_sgpr_count 6
		.amdhsa_user_sgpr_private_segment_buffer 1
		.amdhsa_user_sgpr_dispatch_ptr 0
		.amdhsa_user_sgpr_queue_ptr 0
		.amdhsa_user_sgpr_kernarg_segment_ptr 1
		.amdhsa_user_sgpr_dispatch_id 0
		.amdhsa_user_sgpr_flat_scratch_init 0
		.amdhsa_user_sgpr_private_segment_size 0
		.amdhsa_uses_dynamic_stack 0
		.amdhsa_system_sgpr_private_segment_wavefront_offset 0
		.amdhsa_system_sgpr_workgroup_id_x 1
		.amdhsa_system_sgpr_workgroup_id_y 0
		.amdhsa_system_sgpr_workgroup_id_z 0
		.amdhsa_system_sgpr_workgroup_info 0
		.amdhsa_system_vgpr_workitem_id 0
		.amdhsa_next_free_vgpr 104
		.amdhsa_next_free_sgpr 96
		.amdhsa_reserve_vcc 1
		.amdhsa_reserve_flat_scratch 0
		.amdhsa_float_round_mode_32 0
		.amdhsa_float_round_mode_16_64 0
		.amdhsa_float_denorm_mode_32 3
		.amdhsa_float_denorm_mode_16_64 3
		.amdhsa_dx10_clamp 1
		.amdhsa_ieee_mode 1
		.amdhsa_fp16_overflow 0
		.amdhsa_exception_fp_ieee_invalid_op 0
		.amdhsa_exception_fp_denorm_src 0
		.amdhsa_exception_fp_ieee_div_zero 0
		.amdhsa_exception_fp_ieee_overflow 0
		.amdhsa_exception_fp_ieee_underflow 0
		.amdhsa_exception_fp_ieee_inexact 0
		.amdhsa_exception_int_div_zero 0
	.end_amdhsa_kernel
	.section	.text._Z17sort_pairs_kernelIiLj256ELj8EN10test_utils4lessELj10EEvPKT_PS2_T2_,"axG",@progbits,_Z17sort_pairs_kernelIiLj256ELj8EN10test_utils4lessELj10EEvPKT_PS2_T2_,comdat
.Lfunc_end29:
	.size	_Z17sort_pairs_kernelIiLj256ELj8EN10test_utils4lessELj10EEvPKT_PS2_T2_, .Lfunc_end29-_Z17sort_pairs_kernelIiLj256ELj8EN10test_utils4lessELj10EEvPKT_PS2_T2_
                                        ; -- End function
	.set _Z17sort_pairs_kernelIiLj256ELj8EN10test_utils4lessELj10EEvPKT_PS2_T2_.num_vgpr, 104
	.set _Z17sort_pairs_kernelIiLj256ELj8EN10test_utils4lessELj10EEvPKT_PS2_T2_.num_agpr, 0
	.set _Z17sort_pairs_kernelIiLj256ELj8EN10test_utils4lessELj10EEvPKT_PS2_T2_.numbered_sgpr, 96
	.set _Z17sort_pairs_kernelIiLj256ELj8EN10test_utils4lessELj10EEvPKT_PS2_T2_.num_named_barrier, 0
	.set _Z17sort_pairs_kernelIiLj256ELj8EN10test_utils4lessELj10EEvPKT_PS2_T2_.private_seg_size, 0
	.set _Z17sort_pairs_kernelIiLj256ELj8EN10test_utils4lessELj10EEvPKT_PS2_T2_.uses_vcc, 1
	.set _Z17sort_pairs_kernelIiLj256ELj8EN10test_utils4lessELj10EEvPKT_PS2_T2_.uses_flat_scratch, 0
	.set _Z17sort_pairs_kernelIiLj256ELj8EN10test_utils4lessELj10EEvPKT_PS2_T2_.has_dyn_sized_stack, 0
	.set _Z17sort_pairs_kernelIiLj256ELj8EN10test_utils4lessELj10EEvPKT_PS2_T2_.has_recursion, 0
	.set _Z17sort_pairs_kernelIiLj256ELj8EN10test_utils4lessELj10EEvPKT_PS2_T2_.has_indirect_call, 0
	.section	.AMDGPU.csdata,"",@progbits
; Kernel info:
; codeLenInByte = 13216
; TotalNumSgprs: 100
; NumVgprs: 104
; ScratchSize: 0
; MemoryBound: 0
; FloatMode: 240
; IeeeMode: 1
; LDSByteSize: 8196 bytes/workgroup (compile time only)
; SGPRBlocks: 12
; VGPRBlocks: 25
; NumSGPRsForWavesPerEU: 100
; NumVGPRsForWavesPerEU: 104
; Occupancy: 2
; WaveLimiterHint : 1
; COMPUTE_PGM_RSRC2:SCRATCH_EN: 0
; COMPUTE_PGM_RSRC2:USER_SGPR: 6
; COMPUTE_PGM_RSRC2:TRAP_HANDLER: 0
; COMPUTE_PGM_RSRC2:TGID_X_EN: 1
; COMPUTE_PGM_RSRC2:TGID_Y_EN: 0
; COMPUTE_PGM_RSRC2:TGID_Z_EN: 0
; COMPUTE_PGM_RSRC2:TIDIG_COMP_CNT: 0
	.section	.text._Z16sort_keys_kernelIiLj512ELj1EN10test_utils4lessELj10EEvPKT_PS2_T2_,"axG",@progbits,_Z16sort_keys_kernelIiLj512ELj1EN10test_utils4lessELj10EEvPKT_PS2_T2_,comdat
	.protected	_Z16sort_keys_kernelIiLj512ELj1EN10test_utils4lessELj10EEvPKT_PS2_T2_ ; -- Begin function _Z16sort_keys_kernelIiLj512ELj1EN10test_utils4lessELj10EEvPKT_PS2_T2_
	.globl	_Z16sort_keys_kernelIiLj512ELj1EN10test_utils4lessELj10EEvPKT_PS2_T2_
	.p2align	8
	.type	_Z16sort_keys_kernelIiLj512ELj1EN10test_utils4lessELj10EEvPKT_PS2_T2_,@function
_Z16sort_keys_kernelIiLj512ELj1EN10test_utils4lessELj10EEvPKT_PS2_T2_: ; @_Z16sort_keys_kernelIiLj512ELj1EN10test_utils4lessELj10EEvPKT_PS2_T2_
; %bb.0:
	s_load_dwordx4 s[20:23], s[4:5], 0x0
	s_lshl_b32 s26, s6, 9
	s_mov_b32 s27, 0
	s_lshl_b64 s[24:25], s[26:27], 2
	v_lshlrev_b32_e32 v11, 2, v0
	s_waitcnt lgkmcnt(0)
	s_add_u32 s0, s20, s24
	s_addc_u32 s1, s21, s25
	global_load_dword v63, v11, s[0:1]
	v_and_b32_e32 v15, 0x1fc, v0
	v_and_b32_e32 v21, 0x1f8, v0
	;; [unrolled: 1-line block ×6, first 2 shown]
	v_or_b32_e32 v18, 2, v15
	v_add_u32_e32 v1, 4, v15
	v_or_b32_e32 v24, 4, v21
	v_add_u32_e32 v2, 8, v21
	;; [unrolled: 2-line block ×6, first 2 shown]
	v_and_b32_e32 v51, 0x100, v0
	v_and_b32_e32 v19, 3, v0
	v_sub_u32_e32 v16, v1, v18
	v_and_b32_e32 v25, 7, v0
	v_sub_u32_e32 v22, v2, v24
	;; [unrolled: 2-line block ×6, first 2 shown]
	v_or_b32_e32 v55, 0x80, v51
	v_add_u32_e32 v7, 0x100, v51
	v_and_b32_e32 v10, 0x1fe, v0
	v_sub_u32_e32 v17, v19, v16
	v_sub_u32_e32 v23, v25, v22
	;; [unrolled: 1-line block ×7, first 2 shown]
	v_or_b32_e32 v8, 1, v10
	v_and_b32_e32 v60, 1, v0
	v_cmp_ge_i32_e64 s[0:1], v19, v16
	v_cmp_ge_i32_e64 s[2:3], v25, v22
	;; [unrolled: 1-line block ×6, first 2 shown]
	v_sub_u32_sdwa v53, v0, v52 dst_sel:DWORD dst_unused:UNUSED_PAD src0_sel:BYTE_0 src1_sel:DWORD
	v_sub_u32_e32 v9, v8, v10
	v_add_u32_e32 v12, -1, v60
	v_cmp_lt_i32_e32 vcc, 0, v60
	v_sub_u32_e32 v14, v18, v15
	v_cndmask_b32_e64 v16, 0, v17, s[0:1]
	v_lshlrev_b32_e32 v17, 2, v19
	v_sub_u32_e32 v20, v24, v21
	v_cndmask_b32_e64 v22, 0, v23, s[2:3]
	v_lshlrev_b32_e32 v23, 2, v25
	;; [unrolled: 3-line block ×6, first 2 shown]
	v_sub_u32_e32 v50, v55, v51
	v_cmp_ge_i32_sdwa s[12:13], v0, v52 src0_sel:BYTE_0 src1_sel:DWORD
	v_mov_b32_e32 v54, 2
	v_mov_b32_e32 v56, 0x100
	v_cndmask_b32_e32 v12, 0, v12, vcc
	v_min_i32_e32 v13, v60, v9
	v_lshl_add_u32 v17, v18, 2, v17
	v_add_u32_e32 v18, v18, v19
	v_min_i32_e32 v19, v19, v14
	v_lshl_add_u32 v23, v24, 2, v23
	v_add_u32_e32 v24, v24, v25
	;; [unrolled: 3-line block ×6, first 2 shown]
	v_min_i32_e32 v49, v49, v44
	v_cndmask_b32_e64 v52, 0, v53, s[12:13]
	v_min_i32_sdwa v53, v0, v50 dst_sel:DWORD dst_unused:UNUSED_PAD src0_sel:BYTE_0 src1_sel:DWORD
	v_lshlrev_b32_sdwa v54, v54, v0 dst_sel:DWORD dst_unused:UNUSED_PAD src0_sel:DWORD src1_sel:BYTE_0
	v_sub_u32_e64 v57, v0, v56 clamp
	v_min_i32_e32 v58, 0x100, v0
	v_add_u32_e32 v59, v8, v60
	v_lshlrev_b32_e32 v60, 2, v60
	v_lshlrev_b32_e32 v10, 2, v10
	v_cmp_lt_i32_e32 vcc, v12, v13
	v_lshlrev_b32_e32 v15, 2, v15
	v_cmp_lt_i32_e64 s[0:1], v16, v19
	v_lshlrev_b32_e32 v21, 2, v21
	v_cmp_lt_i32_e64 s[2:3], v22, v25
	v_lshlrev_b32_e32 v27, 2, v27
	v_cmp_lt_i32_e64 s[4:5], v28, v31
	v_lshlrev_b32_e32 v33, 2, v33
	v_cmp_lt_i32_e64 s[6:7], v34, v37
	v_lshlrev_b32_e32 v39, 2, v39
	v_cmp_lt_i32_e64 s[8:9], v40, v43
	v_lshlrev_b32_e32 v45, 2, v45
	v_cmp_lt_i32_e64 s[10:11], v46, v49
	v_lshlrev_b32_e32 v51, 2, v51
	v_cmp_lt_i32_e64 s[12:13], v52, v53
	v_lshl_add_u32 v54, v55, 2, v54
	v_add_u32_sdwa v55, v55, v0 dst_sel:DWORD dst_unused:UNUSED_PAD src0_sel:DWORD src1_sel:BYTE_0
	v_cmp_lt_i32_e64 s[14:15], v57, v58
	v_lshl_add_u32 v60, v8, 2, v60
	s_movk_i32 s26, 0x200
	v_add_u32_e32 v61, 0x100, v0
	v_add_u32_e32 v62, 0x400, v11
	s_branch .LBB30_2
.LBB30_1:                               ;   in Loop: Header=BB30_2 Depth=1
	s_or_b64 exec, exec, s[18:19]
	v_sub_u32_e32 v64, v61, v63
	v_lshlrev_b32_e32 v65, 2, v63
	v_lshlrev_b32_e32 v66, 2, v64
	ds_read_b32 v65, v65
	ds_read_b32 v66, v66
	v_cmp_ge_i32_e64 s[16:17], v63, v56
	v_cmp_gt_i32_e64 s[18:19], s26, v64
	s_add_i32 s27, s27, 1
	s_waitcnt lgkmcnt(0)
	v_cmp_lt_i32_e64 s[20:21], v66, v65
	s_or_b64 s[16:17], s[16:17], s[20:21]
	s_and_b64 s[16:17], s[18:19], s[16:17]
	s_cmp_eq_u32 s27, 10
	v_cndmask_b32_e64 v63, v65, v66, s[16:17]
	s_cbranch_scc1 .LBB30_38
.LBB30_2:                               ; =>This Loop Header: Depth=1
                                        ;     Child Loop BB30_4 Depth 2
                                        ;     Child Loop BB30_8 Depth 2
	;; [unrolled: 1-line block ×9, first 2 shown]
	s_waitcnt vmcnt(0)
	s_barrier
	ds_write_b32 v11, v63
	v_mov_b32_e32 v63, v12
	s_waitcnt lgkmcnt(0)
	s_barrier
	s_and_saveexec_b64 s[18:19], vcc
	s_cbranch_execz .LBB30_6
; %bb.3:                                ;   in Loop: Header=BB30_2 Depth=1
	s_mov_b64 s[20:21], 0
	v_mov_b32_e32 v63, v12
	v_mov_b32_e32 v64, v13
.LBB30_4:                               ;   Parent Loop BB30_2 Depth=1
                                        ; =>  This Inner Loop Header: Depth=2
	v_sub_u32_e32 v65, v64, v63
	v_lshrrev_b32_e32 v65, 1, v65
	v_add_u32_e32 v65, v65, v63
	v_not_b32_e32 v67, v65
	v_lshl_add_u32 v66, v65, 2, v10
	v_lshl_add_u32 v67, v67, 2, v60
	ds_read_b32 v66, v66
	ds_read_b32 v67, v67
	v_add_u32_e32 v68, 1, v65
	s_waitcnt lgkmcnt(0)
	v_cmp_lt_i32_e64 s[16:17], v67, v66
	v_cndmask_b32_e64 v64, v64, v65, s[16:17]
	v_cndmask_b32_e64 v63, v68, v63, s[16:17]
	v_cmp_ge_i32_e64 s[16:17], v63, v64
	s_or_b64 s[20:21], s[16:17], s[20:21]
	s_andn2_b64 exec, exec, s[20:21]
	s_cbranch_execnz .LBB30_4
; %bb.5:                                ;   in Loop: Header=BB30_2 Depth=1
	s_or_b64 exec, exec, s[20:21]
.LBB30_6:                               ;   in Loop: Header=BB30_2 Depth=1
	s_or_b64 exec, exec, s[18:19]
	v_sub_u32_e32 v64, v59, v63
	v_lshl_add_u32 v65, v63, 2, v10
	v_lshlrev_b32_e32 v66, 2, v64
	ds_read_b32 v65, v65
	ds_read_b32 v66, v66
	v_cmp_ge_i32_e64 s[16:17], v63, v9
	v_cmp_ge_i32_e64 s[18:19], v8, v64
	s_waitcnt lgkmcnt(0)
	s_barrier
	v_cmp_lt_i32_e64 s[20:21], v66, v65
	s_or_b64 s[16:17], s[16:17], s[20:21]
	s_and_b64 s[16:17], s[18:19], s[16:17]
	v_cndmask_b32_e64 v63, v65, v66, s[16:17]
	ds_write_b32 v11, v63
	v_mov_b32_e32 v63, v16
	s_waitcnt lgkmcnt(0)
	s_barrier
	s_and_saveexec_b64 s[18:19], s[0:1]
	s_cbranch_execz .LBB30_10
; %bb.7:                                ;   in Loop: Header=BB30_2 Depth=1
	s_mov_b64 s[20:21], 0
	v_mov_b32_e32 v63, v16
	v_mov_b32_e32 v64, v19
.LBB30_8:                               ;   Parent Loop BB30_2 Depth=1
                                        ; =>  This Inner Loop Header: Depth=2
	v_sub_u32_e32 v65, v64, v63
	v_lshrrev_b32_e32 v65, 1, v65
	v_add_u32_e32 v65, v65, v63
	v_not_b32_e32 v67, v65
	v_lshl_add_u32 v66, v65, 2, v15
	v_lshl_add_u32 v67, v67, 2, v17
	ds_read_b32 v66, v66
	ds_read_b32 v67, v67
	v_add_u32_e32 v68, 1, v65
	s_waitcnt lgkmcnt(0)
	v_cmp_lt_i32_e64 s[16:17], v67, v66
	v_cndmask_b32_e64 v64, v64, v65, s[16:17]
	v_cndmask_b32_e64 v63, v68, v63, s[16:17]
	v_cmp_ge_i32_e64 s[16:17], v63, v64
	s_or_b64 s[20:21], s[16:17], s[20:21]
	s_andn2_b64 exec, exec, s[20:21]
	s_cbranch_execnz .LBB30_8
; %bb.9:                                ;   in Loop: Header=BB30_2 Depth=1
	s_or_b64 exec, exec, s[20:21]
.LBB30_10:                              ;   in Loop: Header=BB30_2 Depth=1
	s_or_b64 exec, exec, s[18:19]
	v_sub_u32_e32 v64, v18, v63
	v_lshl_add_u32 v65, v63, 2, v15
	v_lshlrev_b32_e32 v66, 2, v64
	ds_read_b32 v65, v65
	ds_read_b32 v66, v66
	v_cmp_ge_i32_e64 s[16:17], v63, v14
	v_cmp_gt_i32_e64 s[18:19], v1, v64
	s_waitcnt lgkmcnt(0)
	s_barrier
	v_cmp_lt_i32_e64 s[20:21], v66, v65
	s_or_b64 s[16:17], s[16:17], s[20:21]
	s_and_b64 s[16:17], s[18:19], s[16:17]
	v_cndmask_b32_e64 v63, v65, v66, s[16:17]
	ds_write_b32 v11, v63
	v_mov_b32_e32 v63, v22
	s_waitcnt lgkmcnt(0)
	s_barrier
	s_and_saveexec_b64 s[18:19], s[2:3]
	s_cbranch_execz .LBB30_14
; %bb.11:                               ;   in Loop: Header=BB30_2 Depth=1
	s_mov_b64 s[20:21], 0
	v_mov_b32_e32 v63, v22
	v_mov_b32_e32 v64, v25
.LBB30_12:                              ;   Parent Loop BB30_2 Depth=1
                                        ; =>  This Inner Loop Header: Depth=2
	v_sub_u32_e32 v65, v64, v63
	v_lshrrev_b32_e32 v65, 1, v65
	v_add_u32_e32 v65, v65, v63
	v_not_b32_e32 v67, v65
	v_lshl_add_u32 v66, v65, 2, v21
	v_lshl_add_u32 v67, v67, 2, v23
	ds_read_b32 v66, v66
	ds_read_b32 v67, v67
	v_add_u32_e32 v68, 1, v65
	s_waitcnt lgkmcnt(0)
	v_cmp_lt_i32_e64 s[16:17], v67, v66
	v_cndmask_b32_e64 v64, v64, v65, s[16:17]
	v_cndmask_b32_e64 v63, v68, v63, s[16:17]
	v_cmp_ge_i32_e64 s[16:17], v63, v64
	s_or_b64 s[20:21], s[16:17], s[20:21]
	s_andn2_b64 exec, exec, s[20:21]
	s_cbranch_execnz .LBB30_12
; %bb.13:                               ;   in Loop: Header=BB30_2 Depth=1
	s_or_b64 exec, exec, s[20:21]
.LBB30_14:                              ;   in Loop: Header=BB30_2 Depth=1
	s_or_b64 exec, exec, s[18:19]
	v_sub_u32_e32 v64, v24, v63
	v_lshl_add_u32 v65, v63, 2, v21
	v_lshlrev_b32_e32 v66, 2, v64
	ds_read_b32 v65, v65
	ds_read_b32 v66, v66
	v_cmp_ge_i32_e64 s[16:17], v63, v20
	v_cmp_gt_i32_e64 s[18:19], v2, v64
	s_waitcnt lgkmcnt(0)
	s_barrier
	v_cmp_lt_i32_e64 s[20:21], v66, v65
	s_or_b64 s[16:17], s[16:17], s[20:21]
	s_and_b64 s[16:17], s[18:19], s[16:17]
	v_cndmask_b32_e64 v63, v65, v66, s[16:17]
	ds_write_b32 v11, v63
	v_mov_b32_e32 v63, v28
	s_waitcnt lgkmcnt(0)
	s_barrier
	s_and_saveexec_b64 s[18:19], s[4:5]
	s_cbranch_execz .LBB30_18
; %bb.15:                               ;   in Loop: Header=BB30_2 Depth=1
	s_mov_b64 s[20:21], 0
	v_mov_b32_e32 v63, v28
	v_mov_b32_e32 v64, v31
.LBB30_16:                              ;   Parent Loop BB30_2 Depth=1
                                        ; =>  This Inner Loop Header: Depth=2
	v_sub_u32_e32 v65, v64, v63
	v_lshrrev_b32_e32 v65, 1, v65
	v_add_u32_e32 v65, v65, v63
	v_not_b32_e32 v67, v65
	v_lshl_add_u32 v66, v65, 2, v27
	v_lshl_add_u32 v67, v67, 2, v29
	ds_read_b32 v66, v66
	ds_read_b32 v67, v67
	v_add_u32_e32 v68, 1, v65
	s_waitcnt lgkmcnt(0)
	v_cmp_lt_i32_e64 s[16:17], v67, v66
	v_cndmask_b32_e64 v64, v64, v65, s[16:17]
	v_cndmask_b32_e64 v63, v68, v63, s[16:17]
	v_cmp_ge_i32_e64 s[16:17], v63, v64
	s_or_b64 s[20:21], s[16:17], s[20:21]
	s_andn2_b64 exec, exec, s[20:21]
	s_cbranch_execnz .LBB30_16
; %bb.17:                               ;   in Loop: Header=BB30_2 Depth=1
	s_or_b64 exec, exec, s[20:21]
.LBB30_18:                              ;   in Loop: Header=BB30_2 Depth=1
	;; [unrolled: 46-line block ×6, first 2 shown]
	s_or_b64 exec, exec, s[18:19]
	v_sub_u32_e32 v64, v55, v63
	v_lshl_add_u32 v65, v63, 2, v51
	v_lshlrev_b32_e32 v66, 2, v64
	ds_read_b32 v65, v65
	ds_read_b32 v66, v66
	v_cmp_ge_i32_e64 s[16:17], v63, v50
	v_cmp_gt_i32_e64 s[18:19], v7, v64
	s_waitcnt lgkmcnt(0)
	s_barrier
	v_cmp_lt_i32_e64 s[20:21], v66, v65
	s_or_b64 s[16:17], s[16:17], s[20:21]
	s_and_b64 s[16:17], s[18:19], s[16:17]
	v_cndmask_b32_e64 v63, v65, v66, s[16:17]
	ds_write_b32 v11, v63
	v_mov_b32_e32 v63, v57
	s_waitcnt lgkmcnt(0)
	s_barrier
	s_and_saveexec_b64 s[18:19], s[14:15]
	s_cbranch_execz .LBB30_1
; %bb.35:                               ;   in Loop: Header=BB30_2 Depth=1
	s_mov_b64 s[20:21], 0
	v_mov_b32_e32 v63, v57
	v_mov_b32_e32 v64, v58
.LBB30_36:                              ;   Parent Loop BB30_2 Depth=1
                                        ; =>  This Inner Loop Header: Depth=2
	v_sub_u32_e32 v65, v64, v63
	v_lshrrev_b32_e32 v65, 1, v65
	v_add_u32_e32 v65, v65, v63
	v_not_b32_e32 v67, v65
	v_lshlrev_b32_e32 v66, 2, v65
	v_lshl_add_u32 v67, v67, 2, v62
	ds_read_b32 v66, v66
	ds_read_b32 v67, v67
	v_add_u32_e32 v68, 1, v65
	s_waitcnt lgkmcnt(0)
	v_cmp_lt_i32_e64 s[16:17], v67, v66
	v_cndmask_b32_e64 v64, v64, v65, s[16:17]
	v_cndmask_b32_e64 v63, v68, v63, s[16:17]
	v_cmp_ge_i32_e64 s[16:17], v63, v64
	s_or_b64 s[20:21], s[16:17], s[20:21]
	s_andn2_b64 exec, exec, s[20:21]
	s_cbranch_execnz .LBB30_36
; %bb.37:                               ;   in Loop: Header=BB30_2 Depth=1
	s_or_b64 exec, exec, s[20:21]
	s_branch .LBB30_1
.LBB30_38:
	s_add_u32 s0, s22, s24
	s_addc_u32 s1, s23, s25
	v_lshlrev_b32_e32 v0, 2, v0
	global_store_dword v0, v63, s[0:1]
	s_endpgm
	.section	.rodata,"a",@progbits
	.p2align	6, 0x0
	.amdhsa_kernel _Z16sort_keys_kernelIiLj512ELj1EN10test_utils4lessELj10EEvPKT_PS2_T2_
		.amdhsa_group_segment_fixed_size 2052
		.amdhsa_private_segment_fixed_size 0
		.amdhsa_kernarg_size 20
		.amdhsa_user_sgpr_count 6
		.amdhsa_user_sgpr_private_segment_buffer 1
		.amdhsa_user_sgpr_dispatch_ptr 0
		.amdhsa_user_sgpr_queue_ptr 0
		.amdhsa_user_sgpr_kernarg_segment_ptr 1
		.amdhsa_user_sgpr_dispatch_id 0
		.amdhsa_user_sgpr_flat_scratch_init 0
		.amdhsa_user_sgpr_private_segment_size 0
		.amdhsa_uses_dynamic_stack 0
		.amdhsa_system_sgpr_private_segment_wavefront_offset 0
		.amdhsa_system_sgpr_workgroup_id_x 1
		.amdhsa_system_sgpr_workgroup_id_y 0
		.amdhsa_system_sgpr_workgroup_id_z 0
		.amdhsa_system_sgpr_workgroup_info 0
		.amdhsa_system_vgpr_workitem_id 0
		.amdhsa_next_free_vgpr 69
		.amdhsa_next_free_sgpr 28
		.amdhsa_reserve_vcc 1
		.amdhsa_reserve_flat_scratch 0
		.amdhsa_float_round_mode_32 0
		.amdhsa_float_round_mode_16_64 0
		.amdhsa_float_denorm_mode_32 3
		.amdhsa_float_denorm_mode_16_64 3
		.amdhsa_dx10_clamp 1
		.amdhsa_ieee_mode 1
		.amdhsa_fp16_overflow 0
		.amdhsa_exception_fp_ieee_invalid_op 0
		.amdhsa_exception_fp_denorm_src 0
		.amdhsa_exception_fp_ieee_div_zero 0
		.amdhsa_exception_fp_ieee_overflow 0
		.amdhsa_exception_fp_ieee_underflow 0
		.amdhsa_exception_fp_ieee_inexact 0
		.amdhsa_exception_int_div_zero 0
	.end_amdhsa_kernel
	.section	.text._Z16sort_keys_kernelIiLj512ELj1EN10test_utils4lessELj10EEvPKT_PS2_T2_,"axG",@progbits,_Z16sort_keys_kernelIiLj512ELj1EN10test_utils4lessELj10EEvPKT_PS2_T2_,comdat
.Lfunc_end30:
	.size	_Z16sort_keys_kernelIiLj512ELj1EN10test_utils4lessELj10EEvPKT_PS2_T2_, .Lfunc_end30-_Z16sort_keys_kernelIiLj512ELj1EN10test_utils4lessELj10EEvPKT_PS2_T2_
                                        ; -- End function
	.set _Z16sort_keys_kernelIiLj512ELj1EN10test_utils4lessELj10EEvPKT_PS2_T2_.num_vgpr, 69
	.set _Z16sort_keys_kernelIiLj512ELj1EN10test_utils4lessELj10EEvPKT_PS2_T2_.num_agpr, 0
	.set _Z16sort_keys_kernelIiLj512ELj1EN10test_utils4lessELj10EEvPKT_PS2_T2_.numbered_sgpr, 28
	.set _Z16sort_keys_kernelIiLj512ELj1EN10test_utils4lessELj10EEvPKT_PS2_T2_.num_named_barrier, 0
	.set _Z16sort_keys_kernelIiLj512ELj1EN10test_utils4lessELj10EEvPKT_PS2_T2_.private_seg_size, 0
	.set _Z16sort_keys_kernelIiLj512ELj1EN10test_utils4lessELj10EEvPKT_PS2_T2_.uses_vcc, 1
	.set _Z16sort_keys_kernelIiLj512ELj1EN10test_utils4lessELj10EEvPKT_PS2_T2_.uses_flat_scratch, 0
	.set _Z16sort_keys_kernelIiLj512ELj1EN10test_utils4lessELj10EEvPKT_PS2_T2_.has_dyn_sized_stack, 0
	.set _Z16sort_keys_kernelIiLj512ELj1EN10test_utils4lessELj10EEvPKT_PS2_T2_.has_recursion, 0
	.set _Z16sort_keys_kernelIiLj512ELj1EN10test_utils4lessELj10EEvPKT_PS2_T2_.has_indirect_call, 0
	.section	.AMDGPU.csdata,"",@progbits
; Kernel info:
; codeLenInByte = 2840
; TotalNumSgprs: 32
; NumVgprs: 69
; ScratchSize: 0
; MemoryBound: 0
; FloatMode: 240
; IeeeMode: 1
; LDSByteSize: 2052 bytes/workgroup (compile time only)
; SGPRBlocks: 3
; VGPRBlocks: 17
; NumSGPRsForWavesPerEU: 32
; NumVGPRsForWavesPerEU: 69
; Occupancy: 3
; WaveLimiterHint : 0
; COMPUTE_PGM_RSRC2:SCRATCH_EN: 0
; COMPUTE_PGM_RSRC2:USER_SGPR: 6
; COMPUTE_PGM_RSRC2:TRAP_HANDLER: 0
; COMPUTE_PGM_RSRC2:TGID_X_EN: 1
; COMPUTE_PGM_RSRC2:TGID_Y_EN: 0
; COMPUTE_PGM_RSRC2:TGID_Z_EN: 0
; COMPUTE_PGM_RSRC2:TIDIG_COMP_CNT: 0
	.section	.text._Z17sort_pairs_kernelIiLj512ELj1EN10test_utils4lessELj10EEvPKT_PS2_T2_,"axG",@progbits,_Z17sort_pairs_kernelIiLj512ELj1EN10test_utils4lessELj10EEvPKT_PS2_T2_,comdat
	.protected	_Z17sort_pairs_kernelIiLj512ELj1EN10test_utils4lessELj10EEvPKT_PS2_T2_ ; -- Begin function _Z17sort_pairs_kernelIiLj512ELj1EN10test_utils4lessELj10EEvPKT_PS2_T2_
	.globl	_Z17sort_pairs_kernelIiLj512ELj1EN10test_utils4lessELj10EEvPKT_PS2_T2_
	.p2align	8
	.type	_Z17sort_pairs_kernelIiLj512ELj1EN10test_utils4lessELj10EEvPKT_PS2_T2_,@function
_Z17sort_pairs_kernelIiLj512ELj1EN10test_utils4lessELj10EEvPKT_PS2_T2_: ; @_Z17sort_pairs_kernelIiLj512ELj1EN10test_utils4lessELj10EEvPKT_PS2_T2_
; %bb.0:
	s_load_dwordx4 s[20:23], s[4:5], 0x0
	s_lshl_b32 s26, s6, 9
	s_mov_b32 s27, 0
	s_lshl_b64 s[24:25], s[26:27], 2
	v_lshlrev_b32_e32 v19, 2, v0
	s_waitcnt lgkmcnt(0)
	s_add_u32 s0, s20, s24
	s_addc_u32 s1, s21, s25
	global_load_dword v70, v19, s[0:1]
	v_and_b32_e32 v1, 0x1fc, v0
	v_and_b32_e32 v4, 0x1f8, v0
	;; [unrolled: 1-line block ×7, first 2 shown]
	v_or_b32_e32 v2, 2, v1
	v_add_u32_e32 v3, 4, v1
	v_or_b32_e32 v5, 4, v4
	v_add_u32_e32 v6, 8, v4
	;; [unrolled: 2-line block ×7, first 2 shown]
	v_and_b32_e32 v47, 3, v0
	v_sub_u32_e32 v27, v3, v2
	v_and_b32_e32 v49, 7, v0
	v_sub_u32_e32 v29, v6, v5
	;; [unrolled: 2-line block ×6, first 2 shown]
	v_sub_u32_e32 v39, v22, v21
	v_and_b32_e32 v24, 0x1fe, v0
	v_sub_u32_e32 v28, v47, v27
	v_sub_u32_e32 v30, v49, v29
	;; [unrolled: 1-line block ×6, first 2 shown]
	v_sub_u32_sdwa v40, v0, v39 dst_sel:DWORD dst_unused:UNUSED_PAD src0_sel:BYTE_0 src1_sel:DWORD
	v_and_b32_e32 v45, 1, v0
	v_or_b32_e32 v25, 1, v24
	v_cmp_ge_i32_e64 s[0:1], v47, v27
	v_cmp_ge_i32_e64 s[2:3], v49, v29
	;; [unrolled: 1-line block ×6, first 2 shown]
	v_cmp_ge_i32_sdwa s[12:13], v0, v39 src0_sel:BYTE_0 src1_sel:DWORD
	v_add_u32_e32 v23, -1, v45
	v_cmp_lt_i32_e32 vcc, 0, v45
	v_sub_u32_e32 v26, v25, v24
	v_cndmask_b32_e64 v27, 0, v28, s[0:1]
	v_sub_u32_e32 v28, v2, v1
	v_cndmask_b32_e64 v29, 0, v30, s[2:3]
	;; [unrolled: 2-line block ×7, first 2 shown]
	v_sub_u32_e32 v40, v21, v20
	v_mov_b32_e32 v41, 0x100
	v_mov_b32_e32 v58, 2
	v_cndmask_b32_e32 v23, 0, v23, vcc
	v_min_i32_e32 v26, v45, v26
	v_min_i32_e32 v28, v47, v28
	;; [unrolled: 1-line block ×7, first 2 shown]
	v_min_i32_sdwa v40, v0, v40 dst_sel:DWORD dst_unused:UNUSED_PAD src0_sel:BYTE_0 src1_sel:DWORD
	v_sub_u32_e64 v42, v0, v41 clamp
	v_min_i32_e32 v43, 0x100, v0
	v_add_u32_e32 v44, v25, v45
	v_lshlrev_b32_e32 v45, 2, v45
	v_add_u32_e32 v46, v2, v47
	v_lshlrev_b32_e32 v47, 2, v47
	;; [unrolled: 2-line block ×7, first 2 shown]
	v_lshlrev_b32_sdwa v58, v58, v0 dst_sel:DWORD dst_unused:UNUSED_PAD src0_sel:DWORD src1_sel:BYTE_0
	v_cmp_lt_i32_e32 vcc, v23, v26
	v_cmp_lt_i32_e64 s[0:1], v27, v28
	v_cmp_lt_i32_e64 s[2:3], v29, v30
	;; [unrolled: 1-line block ×8, first 2 shown]
	v_lshl_add_u32 v45, v25, 2, v45
	v_lshl_add_u32 v47, v2, 2, v47
	;; [unrolled: 1-line block ×8, first 2 shown]
	s_movk_i32 s26, 0x200
	s_waitcnt vmcnt(0)
	v_add_u32_e32 v71, 1, v70
	v_lshlrev_b32_e32 v59, 2, v24
	v_lshlrev_b32_e32 v60, 2, v1
	;; [unrolled: 1-line block ×8, first 2 shown]
	v_add_u32_sdwa v67, v21, v0 dst_sel:DWORD dst_unused:UNUSED_PAD src0_sel:DWORD src1_sel:BYTE_0
	v_add_u32_e32 v68, 0x100, v0
	v_add_u32_e32 v69, 0x400, v19
	s_branch .LBB31_2
.LBB31_1:                               ;   in Loop: Header=BB31_2 Depth=1
	s_or_b64 exec, exec, s[18:19]
	v_sub_u32_e32 v73, v68, v72
	v_lshlrev_b32_e32 v70, 2, v72
	v_lshlrev_b32_e32 v74, 2, v73
	ds_read_b32 v70, v70
	ds_read_b32 v74, v74
	v_cmp_le_i32_e64 s[16:17], v41, v72
	v_cmp_gt_i32_e64 s[18:19], s26, v73
	s_waitcnt lgkmcnt(0)
	s_barrier
	v_cmp_lt_i32_e64 s[20:21], v74, v70
	s_or_b64 s[16:17], s[16:17], s[20:21]
	s_and_b64 s[16:17], s[18:19], s[16:17]
	v_cndmask_b32_e64 v72, v72, v73, s[16:17]
	ds_write_b32 v19, v71
	v_lshlrev_b32_e32 v71, 2, v72
	s_waitcnt lgkmcnt(0)
	s_barrier
	ds_read_b32 v71, v71
	s_add_i32 s27, s27, 1
	v_cndmask_b32_e64 v70, v70, v74, s[16:17]
	s_cmp_eq_u32 s27, 10
	s_cbranch_scc1 .LBB31_38
.LBB31_2:                               ; =>This Loop Header: Depth=1
                                        ;     Child Loop BB31_4 Depth 2
                                        ;     Child Loop BB31_8 Depth 2
	;; [unrolled: 1-line block ×9, first 2 shown]
	s_waitcnt lgkmcnt(0)
	s_barrier
	ds_write_b32 v19, v70
	v_mov_b32_e32 v70, v23
	s_waitcnt lgkmcnt(0)
	s_barrier
	s_and_saveexec_b64 s[18:19], vcc
	s_cbranch_execz .LBB31_6
; %bb.3:                                ;   in Loop: Header=BB31_2 Depth=1
	s_mov_b64 s[20:21], 0
	v_mov_b32_e32 v70, v23
	v_mov_b32_e32 v72, v26
.LBB31_4:                               ;   Parent Loop BB31_2 Depth=1
                                        ; =>  This Inner Loop Header: Depth=2
	v_sub_u32_e32 v73, v72, v70
	v_lshrrev_b32_e32 v73, 1, v73
	v_add_u32_e32 v73, v73, v70
	v_not_b32_e32 v75, v73
	v_lshl_add_u32 v74, v73, 2, v59
	v_lshl_add_u32 v75, v75, 2, v45
	ds_read_b32 v74, v74
	ds_read_b32 v75, v75
	v_add_u32_e32 v76, 1, v73
	s_waitcnt lgkmcnt(0)
	v_cmp_lt_i32_e64 s[16:17], v75, v74
	v_cndmask_b32_e64 v72, v72, v73, s[16:17]
	v_cndmask_b32_e64 v70, v76, v70, s[16:17]
	v_cmp_ge_i32_e64 s[16:17], v70, v72
	s_or_b64 s[20:21], s[16:17], s[20:21]
	s_andn2_b64 exec, exec, s[20:21]
	s_cbranch_execnz .LBB31_4
; %bb.5:                                ;   in Loop: Header=BB31_2 Depth=1
	s_or_b64 exec, exec, s[20:21]
.LBB31_6:                               ;   in Loop: Header=BB31_2 Depth=1
	s_or_b64 exec, exec, s[18:19]
	v_sub_u32_e32 v72, v44, v70
	v_lshl_add_u32 v73, v70, 2, v59
	v_lshlrev_b32_e32 v74, 2, v72
	ds_read_b32 v73, v73
	ds_read_b32 v74, v74
	v_add_u32_e32 v70, v70, v24
	v_cmp_le_i32_e64 s[18:19], v25, v70
	v_cmp_ge_i32_e64 s[16:17], v25, v72
	s_waitcnt lgkmcnt(0)
	v_cmp_lt_i32_e64 s[20:21], v74, v73
	s_or_b64 s[18:19], s[18:19], s[20:21]
	s_and_b64 s[16:17], s[16:17], s[18:19]
	v_cndmask_b32_e64 v70, v70, v72, s[16:17]
	v_lshlrev_b32_e32 v70, 2, v70
	s_barrier
	ds_write_b32 v19, v71
	s_waitcnt lgkmcnt(0)
	s_barrier
	ds_read_b32 v70, v70
	v_cndmask_b32_e64 v73, v73, v74, s[16:17]
	v_mov_b32_e32 v71, v27
	s_waitcnt lgkmcnt(0)
	s_barrier
	ds_write_b32 v19, v73
	s_waitcnt lgkmcnt(0)
	s_barrier
	s_and_saveexec_b64 s[18:19], s[0:1]
	s_cbranch_execz .LBB31_10
; %bb.7:                                ;   in Loop: Header=BB31_2 Depth=1
	s_mov_b64 s[20:21], 0
	v_mov_b32_e32 v71, v27
	v_mov_b32_e32 v72, v28
.LBB31_8:                               ;   Parent Loop BB31_2 Depth=1
                                        ; =>  This Inner Loop Header: Depth=2
	v_sub_u32_e32 v73, v72, v71
	v_lshrrev_b32_e32 v73, 1, v73
	v_add_u32_e32 v73, v73, v71
	v_not_b32_e32 v75, v73
	v_lshl_add_u32 v74, v73, 2, v60
	v_lshl_add_u32 v75, v75, 2, v47
	ds_read_b32 v74, v74
	ds_read_b32 v75, v75
	v_add_u32_e32 v76, 1, v73
	s_waitcnt lgkmcnt(0)
	v_cmp_lt_i32_e64 s[16:17], v75, v74
	v_cndmask_b32_e64 v72, v72, v73, s[16:17]
	v_cndmask_b32_e64 v71, v76, v71, s[16:17]
	v_cmp_ge_i32_e64 s[16:17], v71, v72
	s_or_b64 s[20:21], s[16:17], s[20:21]
	s_andn2_b64 exec, exec, s[20:21]
	s_cbranch_execnz .LBB31_8
; %bb.9:                                ;   in Loop: Header=BB31_2 Depth=1
	s_or_b64 exec, exec, s[20:21]
.LBB31_10:                              ;   in Loop: Header=BB31_2 Depth=1
	s_or_b64 exec, exec, s[18:19]
	v_sub_u32_e32 v72, v46, v71
	v_lshl_add_u32 v73, v71, 2, v60
	v_lshlrev_b32_e32 v74, 2, v72
	ds_read_b32 v73, v73
	ds_read_b32 v74, v74
	v_add_u32_e32 v71, v71, v1
	v_cmp_le_i32_e64 s[18:19], v2, v71
	v_cmp_gt_i32_e64 s[16:17], v3, v72
	s_waitcnt lgkmcnt(0)
	v_cmp_lt_i32_e64 s[20:21], v74, v73
	s_or_b64 s[18:19], s[18:19], s[20:21]
	s_and_b64 s[16:17], s[16:17], s[18:19]
	v_cndmask_b32_e64 v71, v71, v72, s[16:17]
	s_barrier
	ds_write_b32 v19, v70
	v_lshlrev_b32_e32 v70, 2, v71
	s_waitcnt lgkmcnt(0)
	s_barrier
	ds_read_b32 v70, v70
	v_cndmask_b32_e64 v73, v73, v74, s[16:17]
	v_mov_b32_e32 v71, v29
	s_waitcnt lgkmcnt(0)
	s_barrier
	ds_write_b32 v19, v73
	s_waitcnt lgkmcnt(0)
	s_barrier
	s_and_saveexec_b64 s[18:19], s[2:3]
	s_cbranch_execz .LBB31_14
; %bb.11:                               ;   in Loop: Header=BB31_2 Depth=1
	s_mov_b64 s[20:21], 0
	v_mov_b32_e32 v71, v29
	v_mov_b32_e32 v72, v30
.LBB31_12:                              ;   Parent Loop BB31_2 Depth=1
                                        ; =>  This Inner Loop Header: Depth=2
	v_sub_u32_e32 v73, v72, v71
	v_lshrrev_b32_e32 v73, 1, v73
	v_add_u32_e32 v73, v73, v71
	v_not_b32_e32 v75, v73
	v_lshl_add_u32 v74, v73, 2, v61
	v_lshl_add_u32 v75, v75, 2, v49
	ds_read_b32 v74, v74
	ds_read_b32 v75, v75
	v_add_u32_e32 v76, 1, v73
	s_waitcnt lgkmcnt(0)
	v_cmp_lt_i32_e64 s[16:17], v75, v74
	v_cndmask_b32_e64 v72, v72, v73, s[16:17]
	v_cndmask_b32_e64 v71, v76, v71, s[16:17]
	v_cmp_ge_i32_e64 s[16:17], v71, v72
	s_or_b64 s[20:21], s[16:17], s[20:21]
	s_andn2_b64 exec, exec, s[20:21]
	s_cbranch_execnz .LBB31_12
; %bb.13:                               ;   in Loop: Header=BB31_2 Depth=1
	s_or_b64 exec, exec, s[20:21]
.LBB31_14:                              ;   in Loop: Header=BB31_2 Depth=1
	s_or_b64 exec, exec, s[18:19]
	v_sub_u32_e32 v72, v48, v71
	v_lshl_add_u32 v73, v71, 2, v61
	v_lshlrev_b32_e32 v74, 2, v72
	ds_read_b32 v73, v73
	ds_read_b32 v74, v74
	v_add_u32_e32 v71, v71, v4
	v_cmp_le_i32_e64 s[18:19], v5, v71
	v_cmp_gt_i32_e64 s[16:17], v6, v72
	s_waitcnt lgkmcnt(0)
	v_cmp_lt_i32_e64 s[20:21], v74, v73
	s_or_b64 s[18:19], s[18:19], s[20:21]
	s_and_b64 s[16:17], s[16:17], s[18:19]
	v_cndmask_b32_e64 v71, v71, v72, s[16:17]
	s_barrier
	ds_write_b32 v19, v70
	v_lshlrev_b32_e32 v70, 2, v71
	s_waitcnt lgkmcnt(0)
	s_barrier
	ds_read_b32 v70, v70
	v_cndmask_b32_e64 v73, v73, v74, s[16:17]
	v_mov_b32_e32 v71, v31
	s_waitcnt lgkmcnt(0)
	s_barrier
	ds_write_b32 v19, v73
	s_waitcnt lgkmcnt(0)
	s_barrier
	s_and_saveexec_b64 s[18:19], s[4:5]
	s_cbranch_execz .LBB31_18
; %bb.15:                               ;   in Loop: Header=BB31_2 Depth=1
	s_mov_b64 s[20:21], 0
	v_mov_b32_e32 v71, v31
	v_mov_b32_e32 v72, v32
.LBB31_16:                              ;   Parent Loop BB31_2 Depth=1
                                        ; =>  This Inner Loop Header: Depth=2
	v_sub_u32_e32 v73, v72, v71
	v_lshrrev_b32_e32 v73, 1, v73
	v_add_u32_e32 v73, v73, v71
	v_not_b32_e32 v75, v73
	v_lshl_add_u32 v74, v73, 2, v62
	v_lshl_add_u32 v75, v75, 2, v51
	ds_read_b32 v74, v74
	ds_read_b32 v75, v75
	v_add_u32_e32 v76, 1, v73
	s_waitcnt lgkmcnt(0)
	v_cmp_lt_i32_e64 s[16:17], v75, v74
	v_cndmask_b32_e64 v72, v72, v73, s[16:17]
	v_cndmask_b32_e64 v71, v76, v71, s[16:17]
	v_cmp_ge_i32_e64 s[16:17], v71, v72
	s_or_b64 s[20:21], s[16:17], s[20:21]
	s_andn2_b64 exec, exec, s[20:21]
	s_cbranch_execnz .LBB31_16
; %bb.17:                               ;   in Loop: Header=BB31_2 Depth=1
	s_or_b64 exec, exec, s[20:21]
.LBB31_18:                              ;   in Loop: Header=BB31_2 Depth=1
	;; [unrolled: 55-line block ×6, first 2 shown]
	s_or_b64 exec, exec, s[18:19]
	v_sub_u32_e32 v72, v67, v71
	v_lshl_add_u32 v73, v71, 2, v66
	v_lshlrev_b32_e32 v74, 2, v72
	ds_read_b32 v73, v73
	ds_read_b32 v74, v74
	v_add_u32_e32 v71, v71, v20
	v_cmp_le_i32_e64 s[18:19], v21, v71
	v_cmp_gt_i32_e64 s[16:17], v22, v72
	s_waitcnt lgkmcnt(0)
	v_cmp_lt_i32_e64 s[20:21], v74, v73
	s_or_b64 s[18:19], s[18:19], s[20:21]
	s_and_b64 s[16:17], s[16:17], s[18:19]
	v_cndmask_b32_e64 v71, v71, v72, s[16:17]
	s_barrier
	ds_write_b32 v19, v70
	v_lshlrev_b32_e32 v70, 2, v71
	s_waitcnt lgkmcnt(0)
	s_barrier
	ds_read_b32 v71, v70
	v_cndmask_b32_e64 v73, v73, v74, s[16:17]
	v_mov_b32_e32 v72, v42
	s_waitcnt lgkmcnt(0)
	s_barrier
	ds_write_b32 v19, v73
	s_waitcnt lgkmcnt(0)
	s_barrier
	s_and_saveexec_b64 s[18:19], s[14:15]
	s_cbranch_execz .LBB31_1
; %bb.35:                               ;   in Loop: Header=BB31_2 Depth=1
	s_mov_b64 s[20:21], 0
	v_mov_b32_e32 v72, v42
	v_mov_b32_e32 v70, v43
.LBB31_36:                              ;   Parent Loop BB31_2 Depth=1
                                        ; =>  This Inner Loop Header: Depth=2
	v_sub_u32_e32 v73, v70, v72
	v_lshrrev_b32_e32 v73, 1, v73
	v_add_u32_e32 v73, v73, v72
	v_not_b32_e32 v75, v73
	v_lshlrev_b32_e32 v74, 2, v73
	v_lshl_add_u32 v75, v75, 2, v69
	ds_read_b32 v74, v74
	ds_read_b32 v75, v75
	v_add_u32_e32 v76, 1, v73
	s_waitcnt lgkmcnt(0)
	v_cmp_lt_i32_e64 s[16:17], v75, v74
	v_cndmask_b32_e64 v70, v70, v73, s[16:17]
	v_cndmask_b32_e64 v72, v76, v72, s[16:17]
	v_cmp_ge_i32_e64 s[16:17], v72, v70
	s_or_b64 s[20:21], s[16:17], s[20:21]
	s_andn2_b64 exec, exec, s[20:21]
	s_cbranch_execnz .LBB31_36
; %bb.37:                               ;   in Loop: Header=BB31_2 Depth=1
	s_or_b64 exec, exec, s[20:21]
	s_branch .LBB31_1
.LBB31_38:
	s_add_u32 s0, s22, s24
	s_waitcnt lgkmcnt(0)
	v_add_u32_e32 v1, v70, v71
	s_addc_u32 s1, s23, s25
	v_lshlrev_b32_e32 v0, 2, v0
	global_store_dword v0, v1, s[0:1]
	s_endpgm
	.section	.rodata,"a",@progbits
	.p2align	6, 0x0
	.amdhsa_kernel _Z17sort_pairs_kernelIiLj512ELj1EN10test_utils4lessELj10EEvPKT_PS2_T2_
		.amdhsa_group_segment_fixed_size 2052
		.amdhsa_private_segment_fixed_size 0
		.amdhsa_kernarg_size 20
		.amdhsa_user_sgpr_count 6
		.amdhsa_user_sgpr_private_segment_buffer 1
		.amdhsa_user_sgpr_dispatch_ptr 0
		.amdhsa_user_sgpr_queue_ptr 0
		.amdhsa_user_sgpr_kernarg_segment_ptr 1
		.amdhsa_user_sgpr_dispatch_id 0
		.amdhsa_user_sgpr_flat_scratch_init 0
		.amdhsa_user_sgpr_private_segment_size 0
		.amdhsa_uses_dynamic_stack 0
		.amdhsa_system_sgpr_private_segment_wavefront_offset 0
		.amdhsa_system_sgpr_workgroup_id_x 1
		.amdhsa_system_sgpr_workgroup_id_y 0
		.amdhsa_system_sgpr_workgroup_id_z 0
		.amdhsa_system_sgpr_workgroup_info 0
		.amdhsa_system_vgpr_workitem_id 0
		.amdhsa_next_free_vgpr 77
		.amdhsa_next_free_sgpr 28
		.amdhsa_reserve_vcc 1
		.amdhsa_reserve_flat_scratch 0
		.amdhsa_float_round_mode_32 0
		.amdhsa_float_round_mode_16_64 0
		.amdhsa_float_denorm_mode_32 3
		.amdhsa_float_denorm_mode_16_64 3
		.amdhsa_dx10_clamp 1
		.amdhsa_ieee_mode 1
		.amdhsa_fp16_overflow 0
		.amdhsa_exception_fp_ieee_invalid_op 0
		.amdhsa_exception_fp_denorm_src 0
		.amdhsa_exception_fp_ieee_div_zero 0
		.amdhsa_exception_fp_ieee_overflow 0
		.amdhsa_exception_fp_ieee_underflow 0
		.amdhsa_exception_fp_ieee_inexact 0
		.amdhsa_exception_int_div_zero 0
	.end_amdhsa_kernel
	.section	.text._Z17sort_pairs_kernelIiLj512ELj1EN10test_utils4lessELj10EEvPKT_PS2_T2_,"axG",@progbits,_Z17sort_pairs_kernelIiLj512ELj1EN10test_utils4lessELj10EEvPKT_PS2_T2_,comdat
.Lfunc_end31:
	.size	_Z17sort_pairs_kernelIiLj512ELj1EN10test_utils4lessELj10EEvPKT_PS2_T2_, .Lfunc_end31-_Z17sort_pairs_kernelIiLj512ELj1EN10test_utils4lessELj10EEvPKT_PS2_T2_
                                        ; -- End function
	.set _Z17sort_pairs_kernelIiLj512ELj1EN10test_utils4lessELj10EEvPKT_PS2_T2_.num_vgpr, 77
	.set _Z17sort_pairs_kernelIiLj512ELj1EN10test_utils4lessELj10EEvPKT_PS2_T2_.num_agpr, 0
	.set _Z17sort_pairs_kernelIiLj512ELj1EN10test_utils4lessELj10EEvPKT_PS2_T2_.numbered_sgpr, 28
	.set _Z17sort_pairs_kernelIiLj512ELj1EN10test_utils4lessELj10EEvPKT_PS2_T2_.num_named_barrier, 0
	.set _Z17sort_pairs_kernelIiLj512ELj1EN10test_utils4lessELj10EEvPKT_PS2_T2_.private_seg_size, 0
	.set _Z17sort_pairs_kernelIiLj512ELj1EN10test_utils4lessELj10EEvPKT_PS2_T2_.uses_vcc, 1
	.set _Z17sort_pairs_kernelIiLj512ELj1EN10test_utils4lessELj10EEvPKT_PS2_T2_.uses_flat_scratch, 0
	.set _Z17sort_pairs_kernelIiLj512ELj1EN10test_utils4lessELj10EEvPKT_PS2_T2_.has_dyn_sized_stack, 0
	.set _Z17sort_pairs_kernelIiLj512ELj1EN10test_utils4lessELj10EEvPKT_PS2_T2_.has_recursion, 0
	.set _Z17sort_pairs_kernelIiLj512ELj1EN10test_utils4lessELj10EEvPKT_PS2_T2_.has_indirect_call, 0
	.section	.AMDGPU.csdata,"",@progbits
; Kernel info:
; codeLenInByte = 3280
; TotalNumSgprs: 32
; NumVgprs: 77
; ScratchSize: 0
; MemoryBound: 0
; FloatMode: 240
; IeeeMode: 1
; LDSByteSize: 2052 bytes/workgroup (compile time only)
; SGPRBlocks: 3
; VGPRBlocks: 19
; NumSGPRsForWavesPerEU: 32
; NumVGPRsForWavesPerEU: 77
; Occupancy: 3
; WaveLimiterHint : 0
; COMPUTE_PGM_RSRC2:SCRATCH_EN: 0
; COMPUTE_PGM_RSRC2:USER_SGPR: 6
; COMPUTE_PGM_RSRC2:TRAP_HANDLER: 0
; COMPUTE_PGM_RSRC2:TGID_X_EN: 1
; COMPUTE_PGM_RSRC2:TGID_Y_EN: 0
; COMPUTE_PGM_RSRC2:TGID_Z_EN: 0
; COMPUTE_PGM_RSRC2:TIDIG_COMP_CNT: 0
	.section	.text._Z16sort_keys_kernelIiLj512ELj2EN10test_utils4lessELj10EEvPKT_PS2_T2_,"axG",@progbits,_Z16sort_keys_kernelIiLj512ELj2EN10test_utils4lessELj10EEvPKT_PS2_T2_,comdat
	.protected	_Z16sort_keys_kernelIiLj512ELj2EN10test_utils4lessELj10EEvPKT_PS2_T2_ ; -- Begin function _Z16sort_keys_kernelIiLj512ELj2EN10test_utils4lessELj10EEvPKT_PS2_T2_
	.globl	_Z16sort_keys_kernelIiLj512ELj2EN10test_utils4lessELj10EEvPKT_PS2_T2_
	.p2align	8
	.type	_Z16sort_keys_kernelIiLj512ELj2EN10test_utils4lessELj10EEvPKT_PS2_T2_,@function
_Z16sort_keys_kernelIiLj512ELj2EN10test_utils4lessELj10EEvPKT_PS2_T2_: ; @_Z16sort_keys_kernelIiLj512ELj2EN10test_utils4lessELj10EEvPKT_PS2_T2_
; %bb.0:
	s_load_dwordx4 s[20:23], s[4:5], 0x0
	s_lshl_b32 s26, s6, 10
	s_mov_b32 s27, 0
	s_lshl_b64 s[24:25], s[26:27], 2
	v_lshlrev_b32_e32 v22, 2, v0
	s_waitcnt lgkmcnt(0)
	s_add_u32 s0, s20, s24
	s_addc_u32 s1, s21, s25
	global_load_dword v71, v22, s[0:1]
	global_load_dword v72, v22, s[0:1] offset:2048
	v_lshlrev_b32_e32 v44, 1, v0
	v_and_b32_e32 v1, 0x3fc, v44
	v_and_b32_e32 v4, 0x3f8, v44
	;; [unrolled: 1-line block ×8, first 2 shown]
	v_or_b32_e32 v2, 2, v1
	v_add_u32_e32 v3, 4, v1
	v_or_b32_e32 v5, 4, v4
	v_add_u32_e32 v6, 8, v4
	;; [unrolled: 2-line block ×8, first 2 shown]
	v_and_b32_e32 v46, 2, v44
	v_sub_u32_e32 v25, v3, v2
	v_and_b32_e32 v48, 6, v44
	v_sub_u32_e32 v27, v6, v5
	;; [unrolled: 2-line block ×8, first 2 shown]
	v_sub_u32_e32 v26, v46, v25
	v_sub_u32_e32 v28, v48, v27
	;; [unrolled: 1-line block ×8, first 2 shown]
	v_cmp_ge_i32_e32 vcc, v46, v25
	v_cmp_ge_i32_e64 s[0:1], v48, v27
	v_cmp_ge_i32_e64 s[2:3], v50, v29
	;; [unrolled: 1-line block ×7, first 2 shown]
	v_cndmask_b32_e32 v25, 0, v26, vcc
	v_sub_u32_e32 v26, v2, v1
	v_cndmask_b32_e64 v27, 0, v28, s[0:1]
	v_sub_u32_e32 v28, v5, v4
	v_cndmask_b32_e64 v29, 0, v30, s[2:3]
	;; [unrolled: 2-line block ×7, first 2 shown]
	v_sub_u32_e32 v40, v23, v22
	v_mov_b32_e32 v41, 0x200
	v_min_i32_e32 v26, v46, v26
	v_min_i32_e32 v28, v48, v28
	;; [unrolled: 1-line block ×8, first 2 shown]
	v_sub_u32_e64 v42, v44, v41 clamp
	v_min_i32_e32 v43, 0x200, v44
	v_add_u32_e32 v45, v2, v46
	v_lshlrev_b32_e32 v46, 2, v46
	v_add_u32_e32 v47, v5, v48
	v_lshlrev_b32_e32 v48, 2, v48
	;; [unrolled: 2-line block ×8, first 2 shown]
	v_lshlrev_b32_e32 v61, 3, v0
	v_cmp_lt_i32_e32 vcc, v25, v26
	v_cmp_lt_i32_e64 s[0:1], v27, v28
	v_cmp_lt_i32_e64 s[2:3], v29, v30
	;; [unrolled: 1-line block ×8, first 2 shown]
	v_add_u32_e32 v44, 0x200, v44
	v_lshl_add_u32 v46, v2, 2, v46
	v_lshl_add_u32 v48, v5, 2, v48
	;; [unrolled: 1-line block ×8, first 2 shown]
	s_movk_i32 s26, 0x400
	v_lshlrev_b32_e32 v62, 2, v1
	v_lshlrev_b32_e32 v63, 2, v4
	;; [unrolled: 1-line block ×8, first 2 shown]
	v_add_u32_e32 v70, 0x800, v61
	s_branch .LBB32_2
.LBB32_1:                               ;   in Loop: Header=BB32_2 Depth=1
	s_or_b64 exec, exec, s[18:19]
	v_cmp_ge_i32_e64 s[18:19], v72, v41
	s_waitcnt lgkmcnt(0)
	v_cmp_lt_i32_e64 s[20:21], v77, v75
	v_cndmask_b32_e64 v71, v71, v74, s[16:17]
	v_cmp_gt_i32_e64 s[16:17], s26, v73
	s_or_b64 s[18:19], s[18:19], s[20:21]
	s_and_b64 s[16:17], s[16:17], s[18:19]
	s_add_i32 s27, s27, 1
	s_cmp_eq_u32 s27, 10
	v_cndmask_b32_e64 v72, v75, v77, s[16:17]
	s_cbranch_scc1 .LBB32_74
.LBB32_2:                               ; =>This Loop Header: Depth=1
                                        ;     Child Loop BB32_4 Depth 2
                                        ;     Child Loop BB32_12 Depth 2
	;; [unrolled: 1-line block ×9, first 2 shown]
	s_waitcnt vmcnt(0)
	v_cmp_lt_i32_e64 s[16:17], v72, v71
	v_cndmask_b32_e64 v73, v72, v71, s[16:17]
	v_cndmask_b32_e64 v71, v71, v72, s[16:17]
	v_mov_b32_e32 v72, v25
	s_barrier
	ds_write2_b32 v61, v71, v73 offset1:1
	s_waitcnt lgkmcnt(0)
	s_barrier
	s_and_saveexec_b64 s[18:19], vcc
	s_cbranch_execz .LBB32_6
; %bb.3:                                ;   in Loop: Header=BB32_2 Depth=1
	s_mov_b64 s[20:21], 0
	v_mov_b32_e32 v72, v25
	v_mov_b32_e32 v71, v26
.LBB32_4:                               ;   Parent Loop BB32_2 Depth=1
                                        ; =>  This Inner Loop Header: Depth=2
	v_sub_u32_e32 v73, v71, v72
	v_lshrrev_b32_e32 v73, 1, v73
	v_add_u32_e32 v73, v73, v72
	v_not_b32_e32 v75, v73
	v_lshl_add_u32 v74, v73, 2, v62
	v_lshl_add_u32 v75, v75, 2, v46
	ds_read_b32 v74, v74
	ds_read_b32 v75, v75
	v_add_u32_e32 v76, 1, v73
	s_waitcnt lgkmcnt(0)
	v_cmp_lt_i32_e64 s[16:17], v75, v74
	v_cndmask_b32_e64 v71, v71, v73, s[16:17]
	v_cndmask_b32_e64 v72, v76, v72, s[16:17]
	v_cmp_ge_i32_e64 s[16:17], v72, v71
	s_or_b64 s[20:21], s[16:17], s[20:21]
	s_andn2_b64 exec, exec, s[20:21]
	s_cbranch_execnz .LBB32_4
; %bb.5:                                ;   in Loop: Header=BB32_2 Depth=1
	s_or_b64 exec, exec, s[20:21]
.LBB32_6:                               ;   in Loop: Header=BB32_2 Depth=1
	s_or_b64 exec, exec, s[18:19]
	v_sub_u32_e32 v71, v45, v72
	v_lshl_add_u32 v77, v72, 2, v62
	v_lshlrev_b32_e32 v76, 2, v71
	ds_read_b32 v73, v77
	ds_read_b32 v74, v76
	v_add_u32_e32 v72, v72, v1
	v_cmp_le_i32_e64 s[18:19], v2, v72
	v_cmp_gt_i32_e64 s[16:17], v3, v71
                                        ; implicit-def: $vgpr75
	s_waitcnt lgkmcnt(0)
	v_cmp_lt_i32_e64 s[20:21], v74, v73
	s_or_b64 s[18:19], s[18:19], s[20:21]
	s_and_b64 s[16:17], s[16:17], s[18:19]
	s_xor_b64 s[18:19], s[16:17], -1
	s_and_saveexec_b64 s[20:21], s[18:19]
	s_xor_b64 s[18:19], exec, s[20:21]
; %bb.7:                                ;   in Loop: Header=BB32_2 Depth=1
	ds_read_b32 v75, v77 offset:4
                                        ; implicit-def: $vgpr76
; %bb.8:                                ;   in Loop: Header=BB32_2 Depth=1
	s_or_saveexec_b64 s[18:19], s[18:19]
	v_mov_b32_e32 v77, v74
	s_xor_b64 exec, exec, s[18:19]
	s_cbranch_execz .LBB32_10
; %bb.9:                                ;   in Loop: Header=BB32_2 Depth=1
	ds_read_b32 v77, v76 offset:4
	s_waitcnt lgkmcnt(1)
	v_mov_b32_e32 v75, v73
.LBB32_10:                              ;   in Loop: Header=BB32_2 Depth=1
	s_or_b64 exec, exec, s[18:19]
	v_add_u32_e32 v76, 1, v72
	v_cndmask_b32_e64 v73, v73, v74, s[16:17]
	v_add_u32_e32 v74, 1, v71
	v_cndmask_b32_e64 v72, v76, v72, s[16:17]
	v_cndmask_b32_e64 v71, v71, v74, s[16:17]
	v_cmp_ge_i32_e64 s[18:19], v72, v2
	s_waitcnt lgkmcnt(0)
	v_cmp_lt_i32_e64 s[20:21], v77, v75
	v_cmp_lt_i32_e64 s[16:17], v71, v3
	s_or_b64 s[18:19], s[18:19], s[20:21]
	s_and_b64 s[16:17], s[16:17], s[18:19]
	v_cndmask_b32_e64 v71, v75, v77, s[16:17]
	s_barrier
	ds_write2_b32 v61, v73, v71 offset1:1
	v_mov_b32_e32 v71, v27
	s_waitcnt lgkmcnt(0)
	s_barrier
	s_and_saveexec_b64 s[18:19], s[0:1]
	s_cbranch_execz .LBB32_14
; %bb.11:                               ;   in Loop: Header=BB32_2 Depth=1
	s_mov_b64 s[20:21], 0
	v_mov_b32_e32 v71, v27
	v_mov_b32_e32 v72, v28
.LBB32_12:                              ;   Parent Loop BB32_2 Depth=1
                                        ; =>  This Inner Loop Header: Depth=2
	v_sub_u32_e32 v73, v72, v71
	v_lshrrev_b32_e32 v73, 1, v73
	v_add_u32_e32 v73, v73, v71
	v_not_b32_e32 v75, v73
	v_lshl_add_u32 v74, v73, 2, v63
	v_lshl_add_u32 v75, v75, 2, v48
	ds_read_b32 v74, v74
	ds_read_b32 v75, v75
	v_add_u32_e32 v76, 1, v73
	s_waitcnt lgkmcnt(0)
	v_cmp_lt_i32_e64 s[16:17], v75, v74
	v_cndmask_b32_e64 v72, v72, v73, s[16:17]
	v_cndmask_b32_e64 v71, v76, v71, s[16:17]
	v_cmp_ge_i32_e64 s[16:17], v71, v72
	s_or_b64 s[20:21], s[16:17], s[20:21]
	s_andn2_b64 exec, exec, s[20:21]
	s_cbranch_execnz .LBB32_12
; %bb.13:                               ;   in Loop: Header=BB32_2 Depth=1
	s_or_b64 exec, exec, s[20:21]
.LBB32_14:                              ;   in Loop: Header=BB32_2 Depth=1
	s_or_b64 exec, exec, s[18:19]
	v_sub_u32_e32 v72, v47, v71
	v_lshl_add_u32 v77, v71, 2, v63
	v_lshlrev_b32_e32 v76, 2, v72
	ds_read_b32 v73, v77
	ds_read_b32 v74, v76
	v_add_u32_e32 v71, v71, v4
	v_cmp_le_i32_e64 s[18:19], v5, v71
	v_cmp_gt_i32_e64 s[16:17], v6, v72
                                        ; implicit-def: $vgpr75
	s_waitcnt lgkmcnt(0)
	v_cmp_lt_i32_e64 s[20:21], v74, v73
	s_or_b64 s[18:19], s[18:19], s[20:21]
	s_and_b64 s[16:17], s[16:17], s[18:19]
	s_xor_b64 s[18:19], s[16:17], -1
	s_and_saveexec_b64 s[20:21], s[18:19]
	s_xor_b64 s[18:19], exec, s[20:21]
; %bb.15:                               ;   in Loop: Header=BB32_2 Depth=1
	ds_read_b32 v75, v77 offset:4
                                        ; implicit-def: $vgpr76
; %bb.16:                               ;   in Loop: Header=BB32_2 Depth=1
	s_or_saveexec_b64 s[18:19], s[18:19]
	v_mov_b32_e32 v77, v74
	s_xor_b64 exec, exec, s[18:19]
	s_cbranch_execz .LBB32_18
; %bb.17:                               ;   in Loop: Header=BB32_2 Depth=1
	ds_read_b32 v77, v76 offset:4
	s_waitcnt lgkmcnt(1)
	v_mov_b32_e32 v75, v73
.LBB32_18:                              ;   in Loop: Header=BB32_2 Depth=1
	s_or_b64 exec, exec, s[18:19]
	v_add_u32_e32 v76, 1, v71
	v_cndmask_b32_e64 v73, v73, v74, s[16:17]
	v_add_u32_e32 v74, 1, v72
	v_cndmask_b32_e64 v71, v76, v71, s[16:17]
	v_cndmask_b32_e64 v72, v72, v74, s[16:17]
	v_cmp_ge_i32_e64 s[18:19], v71, v5
	s_waitcnt lgkmcnt(0)
	v_cmp_lt_i32_e64 s[20:21], v77, v75
	v_cmp_lt_i32_e64 s[16:17], v72, v6
	s_or_b64 s[18:19], s[18:19], s[20:21]
	s_and_b64 s[16:17], s[16:17], s[18:19]
	v_cndmask_b32_e64 v71, v75, v77, s[16:17]
	s_barrier
	ds_write2_b32 v61, v73, v71 offset1:1
	v_mov_b32_e32 v71, v29
	s_waitcnt lgkmcnt(0)
	s_barrier
	s_and_saveexec_b64 s[18:19], s[2:3]
	s_cbranch_execz .LBB32_22
; %bb.19:                               ;   in Loop: Header=BB32_2 Depth=1
	s_mov_b64 s[20:21], 0
	v_mov_b32_e32 v71, v29
	v_mov_b32_e32 v72, v30
.LBB32_20:                              ;   Parent Loop BB32_2 Depth=1
                                        ; =>  This Inner Loop Header: Depth=2
	v_sub_u32_e32 v73, v72, v71
	v_lshrrev_b32_e32 v73, 1, v73
	v_add_u32_e32 v73, v73, v71
	v_not_b32_e32 v75, v73
	v_lshl_add_u32 v74, v73, 2, v64
	v_lshl_add_u32 v75, v75, 2, v50
	ds_read_b32 v74, v74
	ds_read_b32 v75, v75
	v_add_u32_e32 v76, 1, v73
	s_waitcnt lgkmcnt(0)
	v_cmp_lt_i32_e64 s[16:17], v75, v74
	v_cndmask_b32_e64 v72, v72, v73, s[16:17]
	v_cndmask_b32_e64 v71, v76, v71, s[16:17]
	v_cmp_ge_i32_e64 s[16:17], v71, v72
	s_or_b64 s[20:21], s[16:17], s[20:21]
	s_andn2_b64 exec, exec, s[20:21]
	s_cbranch_execnz .LBB32_20
; %bb.21:                               ;   in Loop: Header=BB32_2 Depth=1
	s_or_b64 exec, exec, s[20:21]
.LBB32_22:                              ;   in Loop: Header=BB32_2 Depth=1
	s_or_b64 exec, exec, s[18:19]
	v_sub_u32_e32 v72, v49, v71
	v_lshl_add_u32 v77, v71, 2, v64
	v_lshlrev_b32_e32 v76, 2, v72
	ds_read_b32 v73, v77
	ds_read_b32 v74, v76
	v_add_u32_e32 v71, v71, v7
	v_cmp_le_i32_e64 s[18:19], v8, v71
	v_cmp_gt_i32_e64 s[16:17], v9, v72
                                        ; implicit-def: $vgpr75
	s_waitcnt lgkmcnt(0)
	v_cmp_lt_i32_e64 s[20:21], v74, v73
	s_or_b64 s[18:19], s[18:19], s[20:21]
	s_and_b64 s[16:17], s[16:17], s[18:19]
	s_xor_b64 s[18:19], s[16:17], -1
	s_and_saveexec_b64 s[20:21], s[18:19]
	s_xor_b64 s[18:19], exec, s[20:21]
; %bb.23:                               ;   in Loop: Header=BB32_2 Depth=1
	ds_read_b32 v75, v77 offset:4
                                        ; implicit-def: $vgpr76
; %bb.24:                               ;   in Loop: Header=BB32_2 Depth=1
	s_or_saveexec_b64 s[18:19], s[18:19]
	v_mov_b32_e32 v77, v74
	s_xor_b64 exec, exec, s[18:19]
	s_cbranch_execz .LBB32_26
; %bb.25:                               ;   in Loop: Header=BB32_2 Depth=1
	ds_read_b32 v77, v76 offset:4
	s_waitcnt lgkmcnt(1)
	v_mov_b32_e32 v75, v73
.LBB32_26:                              ;   in Loop: Header=BB32_2 Depth=1
	s_or_b64 exec, exec, s[18:19]
	v_add_u32_e32 v76, 1, v71
	v_cndmask_b32_e64 v73, v73, v74, s[16:17]
	v_add_u32_e32 v74, 1, v72
	v_cndmask_b32_e64 v71, v76, v71, s[16:17]
	v_cndmask_b32_e64 v72, v72, v74, s[16:17]
	v_cmp_ge_i32_e64 s[18:19], v71, v8
	s_waitcnt lgkmcnt(0)
	v_cmp_lt_i32_e64 s[20:21], v77, v75
	v_cmp_lt_i32_e64 s[16:17], v72, v9
	s_or_b64 s[18:19], s[18:19], s[20:21]
	s_and_b64 s[16:17], s[16:17], s[18:19]
	v_cndmask_b32_e64 v71, v75, v77, s[16:17]
	s_barrier
	ds_write2_b32 v61, v73, v71 offset1:1
	v_mov_b32_e32 v71, v31
	s_waitcnt lgkmcnt(0)
	s_barrier
	s_and_saveexec_b64 s[18:19], s[4:5]
	s_cbranch_execz .LBB32_30
; %bb.27:                               ;   in Loop: Header=BB32_2 Depth=1
	s_mov_b64 s[20:21], 0
	v_mov_b32_e32 v71, v31
	v_mov_b32_e32 v72, v32
.LBB32_28:                              ;   Parent Loop BB32_2 Depth=1
                                        ; =>  This Inner Loop Header: Depth=2
	v_sub_u32_e32 v73, v72, v71
	v_lshrrev_b32_e32 v73, 1, v73
	v_add_u32_e32 v73, v73, v71
	v_not_b32_e32 v75, v73
	v_lshl_add_u32 v74, v73, 2, v65
	v_lshl_add_u32 v75, v75, 2, v52
	ds_read_b32 v74, v74
	ds_read_b32 v75, v75
	v_add_u32_e32 v76, 1, v73
	s_waitcnt lgkmcnt(0)
	v_cmp_lt_i32_e64 s[16:17], v75, v74
	v_cndmask_b32_e64 v72, v72, v73, s[16:17]
	v_cndmask_b32_e64 v71, v76, v71, s[16:17]
	v_cmp_ge_i32_e64 s[16:17], v71, v72
	s_or_b64 s[20:21], s[16:17], s[20:21]
	s_andn2_b64 exec, exec, s[20:21]
	s_cbranch_execnz .LBB32_28
; %bb.29:                               ;   in Loop: Header=BB32_2 Depth=1
	s_or_b64 exec, exec, s[20:21]
.LBB32_30:                              ;   in Loop: Header=BB32_2 Depth=1
	s_or_b64 exec, exec, s[18:19]
	v_sub_u32_e32 v72, v51, v71
	v_lshl_add_u32 v77, v71, 2, v65
	v_lshlrev_b32_e32 v76, 2, v72
	ds_read_b32 v73, v77
	ds_read_b32 v74, v76
	v_add_u32_e32 v71, v71, v10
	v_cmp_le_i32_e64 s[18:19], v11, v71
	v_cmp_gt_i32_e64 s[16:17], v12, v72
                                        ; implicit-def: $vgpr75
	s_waitcnt lgkmcnt(0)
	v_cmp_lt_i32_e64 s[20:21], v74, v73
	s_or_b64 s[18:19], s[18:19], s[20:21]
	s_and_b64 s[16:17], s[16:17], s[18:19]
	s_xor_b64 s[18:19], s[16:17], -1
	s_and_saveexec_b64 s[20:21], s[18:19]
	s_xor_b64 s[18:19], exec, s[20:21]
; %bb.31:                               ;   in Loop: Header=BB32_2 Depth=1
	ds_read_b32 v75, v77 offset:4
                                        ; implicit-def: $vgpr76
; %bb.32:                               ;   in Loop: Header=BB32_2 Depth=1
	s_or_saveexec_b64 s[18:19], s[18:19]
	v_mov_b32_e32 v77, v74
	s_xor_b64 exec, exec, s[18:19]
	s_cbranch_execz .LBB32_34
; %bb.33:                               ;   in Loop: Header=BB32_2 Depth=1
	ds_read_b32 v77, v76 offset:4
	s_waitcnt lgkmcnt(1)
	v_mov_b32_e32 v75, v73
.LBB32_34:                              ;   in Loop: Header=BB32_2 Depth=1
	s_or_b64 exec, exec, s[18:19]
	v_add_u32_e32 v76, 1, v71
	v_cndmask_b32_e64 v73, v73, v74, s[16:17]
	v_add_u32_e32 v74, 1, v72
	v_cndmask_b32_e64 v71, v76, v71, s[16:17]
	v_cndmask_b32_e64 v72, v72, v74, s[16:17]
	v_cmp_ge_i32_e64 s[18:19], v71, v11
	s_waitcnt lgkmcnt(0)
	v_cmp_lt_i32_e64 s[20:21], v77, v75
	v_cmp_lt_i32_e64 s[16:17], v72, v12
	s_or_b64 s[18:19], s[18:19], s[20:21]
	s_and_b64 s[16:17], s[16:17], s[18:19]
	v_cndmask_b32_e64 v71, v75, v77, s[16:17]
	s_barrier
	ds_write2_b32 v61, v73, v71 offset1:1
	v_mov_b32_e32 v71, v33
	s_waitcnt lgkmcnt(0)
	s_barrier
	s_and_saveexec_b64 s[18:19], s[6:7]
	s_cbranch_execz .LBB32_38
; %bb.35:                               ;   in Loop: Header=BB32_2 Depth=1
	s_mov_b64 s[20:21], 0
	v_mov_b32_e32 v71, v33
	v_mov_b32_e32 v72, v34
.LBB32_36:                              ;   Parent Loop BB32_2 Depth=1
                                        ; =>  This Inner Loop Header: Depth=2
	v_sub_u32_e32 v73, v72, v71
	v_lshrrev_b32_e32 v73, 1, v73
	v_add_u32_e32 v73, v73, v71
	v_not_b32_e32 v75, v73
	v_lshl_add_u32 v74, v73, 2, v66
	v_lshl_add_u32 v75, v75, 2, v54
	ds_read_b32 v74, v74
	ds_read_b32 v75, v75
	v_add_u32_e32 v76, 1, v73
	s_waitcnt lgkmcnt(0)
	v_cmp_lt_i32_e64 s[16:17], v75, v74
	v_cndmask_b32_e64 v72, v72, v73, s[16:17]
	v_cndmask_b32_e64 v71, v76, v71, s[16:17]
	v_cmp_ge_i32_e64 s[16:17], v71, v72
	s_or_b64 s[20:21], s[16:17], s[20:21]
	s_andn2_b64 exec, exec, s[20:21]
	s_cbranch_execnz .LBB32_36
; %bb.37:                               ;   in Loop: Header=BB32_2 Depth=1
	s_or_b64 exec, exec, s[20:21]
.LBB32_38:                              ;   in Loop: Header=BB32_2 Depth=1
	s_or_b64 exec, exec, s[18:19]
	v_sub_u32_e32 v72, v53, v71
	v_lshl_add_u32 v77, v71, 2, v66
	v_lshlrev_b32_e32 v76, 2, v72
	ds_read_b32 v73, v77
	ds_read_b32 v74, v76
	v_add_u32_e32 v71, v71, v13
	v_cmp_le_i32_e64 s[18:19], v14, v71
	v_cmp_gt_i32_e64 s[16:17], v15, v72
                                        ; implicit-def: $vgpr75
	s_waitcnt lgkmcnt(0)
	v_cmp_lt_i32_e64 s[20:21], v74, v73
	s_or_b64 s[18:19], s[18:19], s[20:21]
	s_and_b64 s[16:17], s[16:17], s[18:19]
	s_xor_b64 s[18:19], s[16:17], -1
	s_and_saveexec_b64 s[20:21], s[18:19]
	s_xor_b64 s[18:19], exec, s[20:21]
; %bb.39:                               ;   in Loop: Header=BB32_2 Depth=1
	ds_read_b32 v75, v77 offset:4
                                        ; implicit-def: $vgpr76
; %bb.40:                               ;   in Loop: Header=BB32_2 Depth=1
	s_or_saveexec_b64 s[18:19], s[18:19]
	v_mov_b32_e32 v77, v74
	s_xor_b64 exec, exec, s[18:19]
	s_cbranch_execz .LBB32_42
; %bb.41:                               ;   in Loop: Header=BB32_2 Depth=1
	ds_read_b32 v77, v76 offset:4
	s_waitcnt lgkmcnt(1)
	v_mov_b32_e32 v75, v73
.LBB32_42:                              ;   in Loop: Header=BB32_2 Depth=1
	s_or_b64 exec, exec, s[18:19]
	v_add_u32_e32 v76, 1, v71
	v_cndmask_b32_e64 v73, v73, v74, s[16:17]
	v_add_u32_e32 v74, 1, v72
	v_cndmask_b32_e64 v71, v76, v71, s[16:17]
	v_cndmask_b32_e64 v72, v72, v74, s[16:17]
	v_cmp_ge_i32_e64 s[18:19], v71, v14
	s_waitcnt lgkmcnt(0)
	v_cmp_lt_i32_e64 s[20:21], v77, v75
	v_cmp_lt_i32_e64 s[16:17], v72, v15
	s_or_b64 s[18:19], s[18:19], s[20:21]
	s_and_b64 s[16:17], s[16:17], s[18:19]
	v_cndmask_b32_e64 v71, v75, v77, s[16:17]
	s_barrier
	ds_write2_b32 v61, v73, v71 offset1:1
	v_mov_b32_e32 v71, v35
	s_waitcnt lgkmcnt(0)
	s_barrier
	s_and_saveexec_b64 s[18:19], s[8:9]
	s_cbranch_execz .LBB32_46
; %bb.43:                               ;   in Loop: Header=BB32_2 Depth=1
	s_mov_b64 s[20:21], 0
	v_mov_b32_e32 v71, v35
	v_mov_b32_e32 v72, v36
.LBB32_44:                              ;   Parent Loop BB32_2 Depth=1
                                        ; =>  This Inner Loop Header: Depth=2
	v_sub_u32_e32 v73, v72, v71
	v_lshrrev_b32_e32 v73, 1, v73
	v_add_u32_e32 v73, v73, v71
	v_not_b32_e32 v75, v73
	v_lshl_add_u32 v74, v73, 2, v67
	v_lshl_add_u32 v75, v75, 2, v56
	ds_read_b32 v74, v74
	ds_read_b32 v75, v75
	v_add_u32_e32 v76, 1, v73
	s_waitcnt lgkmcnt(0)
	v_cmp_lt_i32_e64 s[16:17], v75, v74
	v_cndmask_b32_e64 v72, v72, v73, s[16:17]
	v_cndmask_b32_e64 v71, v76, v71, s[16:17]
	v_cmp_ge_i32_e64 s[16:17], v71, v72
	s_or_b64 s[20:21], s[16:17], s[20:21]
	s_andn2_b64 exec, exec, s[20:21]
	s_cbranch_execnz .LBB32_44
; %bb.45:                               ;   in Loop: Header=BB32_2 Depth=1
	s_or_b64 exec, exec, s[20:21]
.LBB32_46:                              ;   in Loop: Header=BB32_2 Depth=1
	s_or_b64 exec, exec, s[18:19]
	v_sub_u32_e32 v72, v55, v71
	v_lshl_add_u32 v77, v71, 2, v67
	v_lshlrev_b32_e32 v76, 2, v72
	ds_read_b32 v73, v77
	ds_read_b32 v74, v76
	v_add_u32_e32 v71, v71, v16
	v_cmp_le_i32_e64 s[18:19], v17, v71
	v_cmp_gt_i32_e64 s[16:17], v18, v72
                                        ; implicit-def: $vgpr75
	s_waitcnt lgkmcnt(0)
	v_cmp_lt_i32_e64 s[20:21], v74, v73
	s_or_b64 s[18:19], s[18:19], s[20:21]
	s_and_b64 s[16:17], s[16:17], s[18:19]
	s_xor_b64 s[18:19], s[16:17], -1
	s_and_saveexec_b64 s[20:21], s[18:19]
	s_xor_b64 s[18:19], exec, s[20:21]
; %bb.47:                               ;   in Loop: Header=BB32_2 Depth=1
	ds_read_b32 v75, v77 offset:4
                                        ; implicit-def: $vgpr76
; %bb.48:                               ;   in Loop: Header=BB32_2 Depth=1
	s_or_saveexec_b64 s[18:19], s[18:19]
	v_mov_b32_e32 v77, v74
	s_xor_b64 exec, exec, s[18:19]
	s_cbranch_execz .LBB32_50
; %bb.49:                               ;   in Loop: Header=BB32_2 Depth=1
	ds_read_b32 v77, v76 offset:4
	s_waitcnt lgkmcnt(1)
	v_mov_b32_e32 v75, v73
.LBB32_50:                              ;   in Loop: Header=BB32_2 Depth=1
	s_or_b64 exec, exec, s[18:19]
	v_add_u32_e32 v76, 1, v71
	v_cndmask_b32_e64 v73, v73, v74, s[16:17]
	v_add_u32_e32 v74, 1, v72
	v_cndmask_b32_e64 v71, v76, v71, s[16:17]
	v_cndmask_b32_e64 v72, v72, v74, s[16:17]
	v_cmp_ge_i32_e64 s[18:19], v71, v17
	s_waitcnt lgkmcnt(0)
	v_cmp_lt_i32_e64 s[20:21], v77, v75
	v_cmp_lt_i32_e64 s[16:17], v72, v18
	s_or_b64 s[18:19], s[18:19], s[20:21]
	s_and_b64 s[16:17], s[16:17], s[18:19]
	v_cndmask_b32_e64 v71, v75, v77, s[16:17]
	s_barrier
	ds_write2_b32 v61, v73, v71 offset1:1
	v_mov_b32_e32 v71, v37
	s_waitcnt lgkmcnt(0)
	s_barrier
	s_and_saveexec_b64 s[18:19], s[10:11]
	s_cbranch_execz .LBB32_54
; %bb.51:                               ;   in Loop: Header=BB32_2 Depth=1
	s_mov_b64 s[20:21], 0
	v_mov_b32_e32 v71, v37
	v_mov_b32_e32 v72, v38
.LBB32_52:                              ;   Parent Loop BB32_2 Depth=1
                                        ; =>  This Inner Loop Header: Depth=2
	v_sub_u32_e32 v73, v72, v71
	v_lshrrev_b32_e32 v73, 1, v73
	v_add_u32_e32 v73, v73, v71
	v_not_b32_e32 v75, v73
	v_lshl_add_u32 v74, v73, 2, v68
	v_lshl_add_u32 v75, v75, 2, v58
	ds_read_b32 v74, v74
	ds_read_b32 v75, v75
	v_add_u32_e32 v76, 1, v73
	s_waitcnt lgkmcnt(0)
	v_cmp_lt_i32_e64 s[16:17], v75, v74
	v_cndmask_b32_e64 v72, v72, v73, s[16:17]
	v_cndmask_b32_e64 v71, v76, v71, s[16:17]
	v_cmp_ge_i32_e64 s[16:17], v71, v72
	s_or_b64 s[20:21], s[16:17], s[20:21]
	s_andn2_b64 exec, exec, s[20:21]
	s_cbranch_execnz .LBB32_52
; %bb.53:                               ;   in Loop: Header=BB32_2 Depth=1
	s_or_b64 exec, exec, s[20:21]
.LBB32_54:                              ;   in Loop: Header=BB32_2 Depth=1
	s_or_b64 exec, exec, s[18:19]
	v_sub_u32_e32 v72, v57, v71
	v_lshl_add_u32 v77, v71, 2, v68
	v_lshlrev_b32_e32 v76, 2, v72
	ds_read_b32 v73, v77
	ds_read_b32 v74, v76
	v_add_u32_e32 v71, v71, v19
	v_cmp_le_i32_e64 s[18:19], v20, v71
	v_cmp_gt_i32_e64 s[16:17], v21, v72
                                        ; implicit-def: $vgpr75
	s_waitcnt lgkmcnt(0)
	v_cmp_lt_i32_e64 s[20:21], v74, v73
	s_or_b64 s[18:19], s[18:19], s[20:21]
	s_and_b64 s[16:17], s[16:17], s[18:19]
	s_xor_b64 s[18:19], s[16:17], -1
	s_and_saveexec_b64 s[20:21], s[18:19]
	s_xor_b64 s[18:19], exec, s[20:21]
; %bb.55:                               ;   in Loop: Header=BB32_2 Depth=1
	ds_read_b32 v75, v77 offset:4
                                        ; implicit-def: $vgpr76
; %bb.56:                               ;   in Loop: Header=BB32_2 Depth=1
	s_or_saveexec_b64 s[18:19], s[18:19]
	v_mov_b32_e32 v77, v74
	s_xor_b64 exec, exec, s[18:19]
	s_cbranch_execz .LBB32_58
; %bb.57:                               ;   in Loop: Header=BB32_2 Depth=1
	ds_read_b32 v77, v76 offset:4
	s_waitcnt lgkmcnt(1)
	v_mov_b32_e32 v75, v73
.LBB32_58:                              ;   in Loop: Header=BB32_2 Depth=1
	s_or_b64 exec, exec, s[18:19]
	v_add_u32_e32 v76, 1, v71
	v_cndmask_b32_e64 v73, v73, v74, s[16:17]
	v_add_u32_e32 v74, 1, v72
	v_cndmask_b32_e64 v71, v76, v71, s[16:17]
	v_cndmask_b32_e64 v72, v72, v74, s[16:17]
	v_cmp_ge_i32_e64 s[18:19], v71, v20
	s_waitcnt lgkmcnt(0)
	v_cmp_lt_i32_e64 s[20:21], v77, v75
	v_cmp_lt_i32_e64 s[16:17], v72, v21
	s_or_b64 s[18:19], s[18:19], s[20:21]
	s_and_b64 s[16:17], s[16:17], s[18:19]
	v_cndmask_b32_e64 v71, v75, v77, s[16:17]
	s_barrier
	ds_write2_b32 v61, v73, v71 offset1:1
	v_mov_b32_e32 v71, v39
	s_waitcnt lgkmcnt(0)
	s_barrier
	s_and_saveexec_b64 s[18:19], s[12:13]
	s_cbranch_execz .LBB32_62
; %bb.59:                               ;   in Loop: Header=BB32_2 Depth=1
	s_mov_b64 s[20:21], 0
	v_mov_b32_e32 v71, v39
	v_mov_b32_e32 v72, v40
.LBB32_60:                              ;   Parent Loop BB32_2 Depth=1
                                        ; =>  This Inner Loop Header: Depth=2
	v_sub_u32_e32 v73, v72, v71
	v_lshrrev_b32_e32 v73, 1, v73
	v_add_u32_e32 v73, v73, v71
	v_not_b32_e32 v75, v73
	v_lshl_add_u32 v74, v73, 2, v69
	v_lshl_add_u32 v75, v75, 2, v60
	ds_read_b32 v74, v74
	ds_read_b32 v75, v75
	v_add_u32_e32 v76, 1, v73
	s_waitcnt lgkmcnt(0)
	v_cmp_lt_i32_e64 s[16:17], v75, v74
	v_cndmask_b32_e64 v72, v72, v73, s[16:17]
	v_cndmask_b32_e64 v71, v76, v71, s[16:17]
	v_cmp_ge_i32_e64 s[16:17], v71, v72
	s_or_b64 s[20:21], s[16:17], s[20:21]
	s_andn2_b64 exec, exec, s[20:21]
	s_cbranch_execnz .LBB32_60
; %bb.61:                               ;   in Loop: Header=BB32_2 Depth=1
	s_or_b64 exec, exec, s[20:21]
.LBB32_62:                              ;   in Loop: Header=BB32_2 Depth=1
	s_or_b64 exec, exec, s[18:19]
	v_sub_u32_e32 v72, v59, v71
	v_lshl_add_u32 v77, v71, 2, v69
	v_lshlrev_b32_e32 v76, 2, v72
	ds_read_b32 v73, v77
	ds_read_b32 v74, v76
	v_add_u32_e32 v71, v71, v22
	v_cmp_le_i32_e64 s[18:19], v23, v71
	v_cmp_gt_i32_e64 s[16:17], v24, v72
                                        ; implicit-def: $vgpr75
	s_waitcnt lgkmcnt(0)
	v_cmp_lt_i32_e64 s[20:21], v74, v73
	s_or_b64 s[18:19], s[18:19], s[20:21]
	s_and_b64 s[16:17], s[16:17], s[18:19]
	s_xor_b64 s[18:19], s[16:17], -1
	s_and_saveexec_b64 s[20:21], s[18:19]
	s_xor_b64 s[18:19], exec, s[20:21]
; %bb.63:                               ;   in Loop: Header=BB32_2 Depth=1
	ds_read_b32 v75, v77 offset:4
                                        ; implicit-def: $vgpr76
; %bb.64:                               ;   in Loop: Header=BB32_2 Depth=1
	s_or_saveexec_b64 s[18:19], s[18:19]
	v_mov_b32_e32 v77, v74
	s_xor_b64 exec, exec, s[18:19]
	s_cbranch_execz .LBB32_66
; %bb.65:                               ;   in Loop: Header=BB32_2 Depth=1
	ds_read_b32 v77, v76 offset:4
	s_waitcnt lgkmcnt(1)
	v_mov_b32_e32 v75, v73
.LBB32_66:                              ;   in Loop: Header=BB32_2 Depth=1
	s_or_b64 exec, exec, s[18:19]
	v_add_u32_e32 v76, 1, v71
	v_cndmask_b32_e64 v73, v73, v74, s[16:17]
	v_add_u32_e32 v74, 1, v72
	v_cndmask_b32_e64 v71, v76, v71, s[16:17]
	v_cndmask_b32_e64 v72, v72, v74, s[16:17]
	v_cmp_ge_i32_e64 s[18:19], v71, v23
	s_waitcnt lgkmcnt(0)
	v_cmp_lt_i32_e64 s[20:21], v77, v75
	v_cmp_lt_i32_e64 s[16:17], v72, v24
	s_or_b64 s[18:19], s[18:19], s[20:21]
	s_and_b64 s[16:17], s[16:17], s[18:19]
	v_cndmask_b32_e64 v71, v75, v77, s[16:17]
	v_mov_b32_e32 v72, v42
	s_barrier
	ds_write2_b32 v61, v73, v71 offset1:1
	s_waitcnt lgkmcnt(0)
	s_barrier
	s_and_saveexec_b64 s[18:19], s[14:15]
	s_cbranch_execz .LBB32_70
; %bb.67:                               ;   in Loop: Header=BB32_2 Depth=1
	s_mov_b64 s[20:21], 0
	v_mov_b32_e32 v72, v42
	v_mov_b32_e32 v71, v43
.LBB32_68:                              ;   Parent Loop BB32_2 Depth=1
                                        ; =>  This Inner Loop Header: Depth=2
	v_sub_u32_e32 v73, v71, v72
	v_lshrrev_b32_e32 v73, 1, v73
	v_add_u32_e32 v73, v73, v72
	v_not_b32_e32 v75, v73
	v_lshlrev_b32_e32 v74, 2, v73
	v_lshl_add_u32 v75, v75, 2, v70
	ds_read_b32 v74, v74
	ds_read_b32 v75, v75
	v_add_u32_e32 v76, 1, v73
	s_waitcnt lgkmcnt(0)
	v_cmp_lt_i32_e64 s[16:17], v75, v74
	v_cndmask_b32_e64 v71, v71, v73, s[16:17]
	v_cndmask_b32_e64 v72, v76, v72, s[16:17]
	v_cmp_ge_i32_e64 s[16:17], v72, v71
	s_or_b64 s[20:21], s[16:17], s[20:21]
	s_andn2_b64 exec, exec, s[20:21]
	s_cbranch_execnz .LBB32_68
; %bb.69:                               ;   in Loop: Header=BB32_2 Depth=1
	s_or_b64 exec, exec, s[20:21]
.LBB32_70:                              ;   in Loop: Header=BB32_2 Depth=1
	s_or_b64 exec, exec, s[18:19]
	v_sub_u32_e32 v73, v44, v72
	v_lshlrev_b32_e32 v77, 2, v72
	v_lshlrev_b32_e32 v76, 2, v73
	ds_read_b32 v71, v77
	ds_read_b32 v74, v76
	v_cmp_le_i32_e64 s[18:19], v41, v72
	v_cmp_gt_i32_e64 s[16:17], s26, v73
                                        ; implicit-def: $vgpr75
	s_waitcnt lgkmcnt(0)
	v_cmp_lt_i32_e64 s[20:21], v74, v71
	s_or_b64 s[18:19], s[18:19], s[20:21]
	s_and_b64 s[16:17], s[16:17], s[18:19]
	s_xor_b64 s[18:19], s[16:17], -1
	s_and_saveexec_b64 s[20:21], s[18:19]
	s_xor_b64 s[18:19], exec, s[20:21]
; %bb.71:                               ;   in Loop: Header=BB32_2 Depth=1
	ds_read_b32 v75, v77 offset:4
	v_add_u32_e32 v72, 1, v72
                                        ; implicit-def: $vgpr76
; %bb.72:                               ;   in Loop: Header=BB32_2 Depth=1
	s_or_saveexec_b64 s[18:19], s[18:19]
	v_mov_b32_e32 v77, v74
	s_xor_b64 exec, exec, s[18:19]
	s_cbranch_execz .LBB32_1
; %bb.73:                               ;   in Loop: Header=BB32_2 Depth=1
	ds_read_b32 v77, v76 offset:4
	v_add_u32_e32 v73, 1, v73
	s_waitcnt lgkmcnt(1)
	v_mov_b32_e32 v75, v71
	s_branch .LBB32_1
.LBB32_74:
	s_add_u32 s0, s22, s24
	s_addc_u32 s1, s23, s25
	v_lshlrev_b32_e32 v0, 2, v0
	global_store_dword v0, v71, s[0:1]
	global_store_dword v0, v72, s[0:1] offset:2048
	s_endpgm
	.section	.rodata,"a",@progbits
	.p2align	6, 0x0
	.amdhsa_kernel _Z16sort_keys_kernelIiLj512ELj2EN10test_utils4lessELj10EEvPKT_PS2_T2_
		.amdhsa_group_segment_fixed_size 4100
		.amdhsa_private_segment_fixed_size 0
		.amdhsa_kernarg_size 20
		.amdhsa_user_sgpr_count 6
		.amdhsa_user_sgpr_private_segment_buffer 1
		.amdhsa_user_sgpr_dispatch_ptr 0
		.amdhsa_user_sgpr_queue_ptr 0
		.amdhsa_user_sgpr_kernarg_segment_ptr 1
		.amdhsa_user_sgpr_dispatch_id 0
		.amdhsa_user_sgpr_flat_scratch_init 0
		.amdhsa_user_sgpr_private_segment_size 0
		.amdhsa_uses_dynamic_stack 0
		.amdhsa_system_sgpr_private_segment_wavefront_offset 0
		.amdhsa_system_sgpr_workgroup_id_x 1
		.amdhsa_system_sgpr_workgroup_id_y 0
		.amdhsa_system_sgpr_workgroup_id_z 0
		.amdhsa_system_sgpr_workgroup_info 0
		.amdhsa_system_vgpr_workitem_id 0
		.amdhsa_next_free_vgpr 78
		.amdhsa_next_free_sgpr 28
		.amdhsa_reserve_vcc 1
		.amdhsa_reserve_flat_scratch 0
		.amdhsa_float_round_mode_32 0
		.amdhsa_float_round_mode_16_64 0
		.amdhsa_float_denorm_mode_32 3
		.amdhsa_float_denorm_mode_16_64 3
		.amdhsa_dx10_clamp 1
		.amdhsa_ieee_mode 1
		.amdhsa_fp16_overflow 0
		.amdhsa_exception_fp_ieee_invalid_op 0
		.amdhsa_exception_fp_denorm_src 0
		.amdhsa_exception_fp_ieee_div_zero 0
		.amdhsa_exception_fp_ieee_overflow 0
		.amdhsa_exception_fp_ieee_underflow 0
		.amdhsa_exception_fp_ieee_inexact 0
		.amdhsa_exception_int_div_zero 0
	.end_amdhsa_kernel
	.section	.text._Z16sort_keys_kernelIiLj512ELj2EN10test_utils4lessELj10EEvPKT_PS2_T2_,"axG",@progbits,_Z16sort_keys_kernelIiLj512ELj2EN10test_utils4lessELj10EEvPKT_PS2_T2_,comdat
.Lfunc_end32:
	.size	_Z16sort_keys_kernelIiLj512ELj2EN10test_utils4lessELj10EEvPKT_PS2_T2_, .Lfunc_end32-_Z16sort_keys_kernelIiLj512ELj2EN10test_utils4lessELj10EEvPKT_PS2_T2_
                                        ; -- End function
	.set _Z16sort_keys_kernelIiLj512ELj2EN10test_utils4lessELj10EEvPKT_PS2_T2_.num_vgpr, 78
	.set _Z16sort_keys_kernelIiLj512ELj2EN10test_utils4lessELj10EEvPKT_PS2_T2_.num_agpr, 0
	.set _Z16sort_keys_kernelIiLj512ELj2EN10test_utils4lessELj10EEvPKT_PS2_T2_.numbered_sgpr, 28
	.set _Z16sort_keys_kernelIiLj512ELj2EN10test_utils4lessELj10EEvPKT_PS2_T2_.num_named_barrier, 0
	.set _Z16sort_keys_kernelIiLj512ELj2EN10test_utils4lessELj10EEvPKT_PS2_T2_.private_seg_size, 0
	.set _Z16sort_keys_kernelIiLj512ELj2EN10test_utils4lessELj10EEvPKT_PS2_T2_.uses_vcc, 1
	.set _Z16sort_keys_kernelIiLj512ELj2EN10test_utils4lessELj10EEvPKT_PS2_T2_.uses_flat_scratch, 0
	.set _Z16sort_keys_kernelIiLj512ELj2EN10test_utils4lessELj10EEvPKT_PS2_T2_.has_dyn_sized_stack, 0
	.set _Z16sort_keys_kernelIiLj512ELj2EN10test_utils4lessELj10EEvPKT_PS2_T2_.has_recursion, 0
	.set _Z16sort_keys_kernelIiLj512ELj2EN10test_utils4lessELj10EEvPKT_PS2_T2_.has_indirect_call, 0
	.section	.AMDGPU.csdata,"",@progbits
; Kernel info:
; codeLenInByte = 4028
; TotalNumSgprs: 32
; NumVgprs: 78
; ScratchSize: 0
; MemoryBound: 0
; FloatMode: 240
; IeeeMode: 1
; LDSByteSize: 4100 bytes/workgroup (compile time only)
; SGPRBlocks: 3
; VGPRBlocks: 19
; NumSGPRsForWavesPerEU: 32
; NumVGPRsForWavesPerEU: 78
; Occupancy: 3
; WaveLimiterHint : 1
; COMPUTE_PGM_RSRC2:SCRATCH_EN: 0
; COMPUTE_PGM_RSRC2:USER_SGPR: 6
; COMPUTE_PGM_RSRC2:TRAP_HANDLER: 0
; COMPUTE_PGM_RSRC2:TGID_X_EN: 1
; COMPUTE_PGM_RSRC2:TGID_Y_EN: 0
; COMPUTE_PGM_RSRC2:TGID_Z_EN: 0
; COMPUTE_PGM_RSRC2:TIDIG_COMP_CNT: 0
	.section	.text._Z17sort_pairs_kernelIiLj512ELj2EN10test_utils4lessELj10EEvPKT_PS2_T2_,"axG",@progbits,_Z17sort_pairs_kernelIiLj512ELj2EN10test_utils4lessELj10EEvPKT_PS2_T2_,comdat
	.protected	_Z17sort_pairs_kernelIiLj512ELj2EN10test_utils4lessELj10EEvPKT_PS2_T2_ ; -- Begin function _Z17sort_pairs_kernelIiLj512ELj2EN10test_utils4lessELj10EEvPKT_PS2_T2_
	.globl	_Z17sort_pairs_kernelIiLj512ELj2EN10test_utils4lessELj10EEvPKT_PS2_T2_
	.p2align	8
	.type	_Z17sort_pairs_kernelIiLj512ELj2EN10test_utils4lessELj10EEvPKT_PS2_T2_,@function
_Z17sort_pairs_kernelIiLj512ELj2EN10test_utils4lessELj10EEvPKT_PS2_T2_: ; @_Z17sort_pairs_kernelIiLj512ELj2EN10test_utils4lessELj10EEvPKT_PS2_T2_
; %bb.0:
	s_load_dwordx4 s[24:27], s[4:5], 0x0
	s_lshl_b32 s30, s6, 10
	s_mov_b32 s31, 0
	s_lshl_b64 s[28:29], s[30:31], 2
	v_lshlrev_b32_e32 v19, 2, v0
	s_waitcnt lgkmcnt(0)
	s_add_u32 s0, s24, s28
	s_addc_u32 s1, s25, s29
	global_load_dword v74, v19, s[0:1]
	global_load_dword v73, v19, s[0:1] offset:2048
	v_lshlrev_b32_e32 v44, 1, v0
	v_and_b32_e32 v1, 0x3fc, v44
	v_and_b32_e32 v4, 0x3f8, v44
	;; [unrolled: 1-line block ×8, first 2 shown]
	v_or_b32_e32 v2, 2, v1
	v_add_u32_e32 v3, 4, v1
	v_or_b32_e32 v5, 4, v4
	v_add_u32_e32 v6, 8, v4
	;; [unrolled: 2-line block ×8, first 2 shown]
	v_and_b32_e32 v46, 2, v44
	v_sub_u32_e32 v25, v3, v2
	v_and_b32_e32 v48, 6, v44
	v_sub_u32_e32 v27, v6, v5
	;; [unrolled: 2-line block ×8, first 2 shown]
	v_sub_u32_e32 v26, v46, v25
	v_sub_u32_e32 v28, v48, v27
	;; [unrolled: 1-line block ×8, first 2 shown]
	v_cmp_ge_i32_e32 vcc, v46, v25
	v_cmp_ge_i32_e64 s[0:1], v48, v27
	v_cmp_ge_i32_e64 s[2:3], v50, v29
	;; [unrolled: 1-line block ×7, first 2 shown]
	v_cndmask_b32_e32 v25, 0, v26, vcc
	v_sub_u32_e32 v26, v2, v1
	v_cndmask_b32_e64 v27, 0, v28, s[0:1]
	v_sub_u32_e32 v28, v5, v4
	v_cndmask_b32_e64 v29, 0, v30, s[2:3]
	;; [unrolled: 2-line block ×7, first 2 shown]
	v_sub_u32_e32 v40, v23, v22
	v_mov_b32_e32 v41, 0x200
	v_min_i32_e32 v26, v46, v26
	v_min_i32_e32 v28, v48, v28
	;; [unrolled: 1-line block ×8, first 2 shown]
	v_sub_u32_e64 v42, v44, v41 clamp
	v_min_i32_e32 v43, 0x200, v44
	v_add_u32_e32 v45, v2, v46
	v_lshlrev_b32_e32 v46, 2, v46
	v_add_u32_e32 v47, v5, v48
	v_lshlrev_b32_e32 v48, 2, v48
	;; [unrolled: 2-line block ×8, first 2 shown]
	v_lshlrev_b32_e32 v61, 3, v0
	v_cmp_lt_i32_e32 vcc, v25, v26
	v_cmp_lt_i32_e64 s[0:1], v27, v28
	v_cmp_lt_i32_e64 s[2:3], v29, v30
	;; [unrolled: 1-line block ×8, first 2 shown]
	v_add_u32_e32 v44, 0x200, v44
	v_lshl_add_u32 v46, v2, 2, v46
	v_lshl_add_u32 v48, v5, 2, v48
	;; [unrolled: 1-line block ×8, first 2 shown]
	s_movk_i32 s24, 0x400
	s_waitcnt vmcnt(1)
	v_add_u32_e32 v71, 1, v74
	s_waitcnt vmcnt(0)
	v_add_u32_e32 v72, 1, v73
	v_lshlrev_b32_e32 v62, 2, v1
	v_lshlrev_b32_e32 v63, 2, v4
	v_lshlrev_b32_e32 v64, 2, v7
	v_lshlrev_b32_e32 v65, 2, v10
	v_lshlrev_b32_e32 v66, 2, v13
	v_lshlrev_b32_e32 v67, 2, v16
	v_lshlrev_b32_e32 v68, 2, v19
	v_lshlrev_b32_e32 v69, 2, v22
	v_add_u32_e32 v70, 0x800, v61
	s_branch .LBB33_2
.LBB33_1:                               ;   in Loop: Header=BB33_2 Depth=1
	s_or_b64 exec, exec, s[18:19]
	v_cmp_ge_i32_e64 s[20:21], v77, v41
	s_waitcnt lgkmcnt(0)
	v_cmp_lt_i32_e64 s[22:23], v81, v78
	v_cmp_gt_i32_e64 s[18:19], s24, v76
	s_or_b64 s[20:21], s[20:21], s[22:23]
	s_and_b64 s[18:19], s[18:19], s[20:21]
	v_cndmask_b32_e64 v76, v77, v76, s[18:19]
	s_barrier
	ds_write2_b32 v61, v71, v72 offset1:1
	v_lshlrev_b32_e32 v71, 2, v80
	v_lshlrev_b32_e32 v72, 2, v76
	s_waitcnt lgkmcnt(0)
	s_barrier
	ds_read_b32 v71, v71
	ds_read_b32 v72, v72
	s_add_i32 s31, s31, 1
	v_cndmask_b32_e64 v73, v78, v81, s[18:19]
	s_cmp_eq_u32 s31, 10
	v_cndmask_b32_e64 v74, v74, v75, s[16:17]
	s_cbranch_scc1 .LBB33_74
.LBB33_2:                               ; =>This Loop Header: Depth=1
                                        ;     Child Loop BB33_4 Depth 2
                                        ;     Child Loop BB33_12 Depth 2
	;; [unrolled: 1-line block ×9, first 2 shown]
	v_cmp_lt_i32_e64 s[16:17], v73, v74
	v_cndmask_b32_e64 v75, v73, v74, s[16:17]
	v_cndmask_b32_e64 v73, v74, v73, s[16:17]
	v_mov_b32_e32 v74, v25
	s_waitcnt lgkmcnt(0)
	s_barrier
	ds_write2_b32 v61, v73, v75 offset1:1
	s_waitcnt lgkmcnt(0)
	s_barrier
	s_and_saveexec_b64 s[20:21], vcc
	s_cbranch_execz .LBB33_6
; %bb.3:                                ;   in Loop: Header=BB33_2 Depth=1
	s_mov_b64 s[22:23], 0
	v_mov_b32_e32 v74, v25
	v_mov_b32_e32 v73, v26
.LBB33_4:                               ;   Parent Loop BB33_2 Depth=1
                                        ; =>  This Inner Loop Header: Depth=2
	v_sub_u32_e32 v75, v73, v74
	v_lshrrev_b32_e32 v75, 1, v75
	v_add_u32_e32 v75, v75, v74
	v_not_b32_e32 v77, v75
	v_lshl_add_u32 v76, v75, 2, v62
	v_lshl_add_u32 v77, v77, 2, v46
	ds_read_b32 v76, v76
	ds_read_b32 v77, v77
	v_add_u32_e32 v78, 1, v75
	s_waitcnt lgkmcnt(0)
	v_cmp_lt_i32_e64 s[18:19], v77, v76
	v_cndmask_b32_e64 v73, v73, v75, s[18:19]
	v_cndmask_b32_e64 v74, v78, v74, s[18:19]
	v_cmp_ge_i32_e64 s[18:19], v74, v73
	s_or_b64 s[22:23], s[18:19], s[22:23]
	s_andn2_b64 exec, exec, s[22:23]
	s_cbranch_execnz .LBB33_4
; %bb.5:                                ;   in Loop: Header=BB33_2 Depth=1
	s_or_b64 exec, exec, s[22:23]
.LBB33_6:                               ;   in Loop: Header=BB33_2 Depth=1
	s_or_b64 exec, exec, s[20:21]
	v_sub_u32_e32 v73, v45, v74
	v_lshl_add_u32 v79, v74, 2, v62
	v_lshlrev_b32_e32 v78, 2, v73
	ds_read_b32 v75, v79
	ds_read_b32 v77, v78
	v_add_u32_e32 v74, v74, v1
	v_cmp_le_i32_e64 s[20:21], v2, v74
	v_cmp_gt_i32_e64 s[18:19], v3, v73
                                        ; implicit-def: $vgpr76
	s_waitcnt lgkmcnt(0)
	v_cmp_lt_i32_e64 s[22:23], v77, v75
	s_or_b64 s[20:21], s[20:21], s[22:23]
	s_and_b64 s[18:19], s[18:19], s[20:21]
	s_xor_b64 s[20:21], s[18:19], -1
	s_and_saveexec_b64 s[22:23], s[20:21]
	s_xor_b64 s[20:21], exec, s[22:23]
; %bb.7:                                ;   in Loop: Header=BB33_2 Depth=1
	ds_read_b32 v76, v79 offset:4
                                        ; implicit-def: $vgpr78
; %bb.8:                                ;   in Loop: Header=BB33_2 Depth=1
	s_or_saveexec_b64 s[20:21], s[20:21]
	v_mov_b32_e32 v79, v77
	s_xor_b64 exec, exec, s[20:21]
	s_cbranch_execz .LBB33_10
; %bb.9:                                ;   in Loop: Header=BB33_2 Depth=1
	ds_read_b32 v79, v78 offset:4
	s_waitcnt lgkmcnt(1)
	v_mov_b32_e32 v76, v75
.LBB33_10:                              ;   in Loop: Header=BB33_2 Depth=1
	s_or_b64 exec, exec, s[20:21]
	v_add_u32_e32 v78, 1, v74
	v_cndmask_b32_e64 v75, v75, v77, s[18:19]
	v_add_u32_e32 v77, 1, v73
	v_cndmask_b32_e64 v78, v78, v74, s[18:19]
	v_cndmask_b32_e64 v77, v73, v77, s[18:19]
	;; [unrolled: 1-line block ×3, first 2 shown]
	v_cmp_ge_i32_e64 s[18:19], v78, v2
	s_waitcnt lgkmcnt(0)
	v_cmp_lt_i32_e64 s[20:21], v79, v76
	v_cndmask_b32_e64 v74, v72, v71, s[16:17]
	v_cndmask_b32_e64 v71, v71, v72, s[16:17]
	v_cmp_lt_i32_e64 s[16:17], v77, v3
	s_or_b64 s[18:19], s[18:19], s[20:21]
	s_and_b64 s[16:17], s[16:17], s[18:19]
	v_cndmask_b32_e64 v72, v78, v77, s[16:17]
	s_barrier
	ds_write2_b32 v61, v71, v74 offset1:1
	v_lshlrev_b32_e32 v71, 2, v73
	v_lshlrev_b32_e32 v72, 2, v72
	s_waitcnt lgkmcnt(0)
	s_barrier
	ds_read_b32 v71, v71
	ds_read_b32 v72, v72
	v_cndmask_b32_e64 v76, v76, v79, s[16:17]
	v_mov_b32_e32 v74, v27
	s_waitcnt lgkmcnt(0)
	s_barrier
	ds_write2_b32 v61, v75, v76 offset1:1
	s_waitcnt lgkmcnt(0)
	s_barrier
	s_and_saveexec_b64 s[18:19], s[0:1]
	s_cbranch_execz .LBB33_14
; %bb.11:                               ;   in Loop: Header=BB33_2 Depth=1
	s_mov_b64 s[20:21], 0
	v_mov_b32_e32 v74, v27
	v_mov_b32_e32 v73, v28
.LBB33_12:                              ;   Parent Loop BB33_2 Depth=1
                                        ; =>  This Inner Loop Header: Depth=2
	v_sub_u32_e32 v75, v73, v74
	v_lshrrev_b32_e32 v75, 1, v75
	v_add_u32_e32 v75, v75, v74
	v_not_b32_e32 v77, v75
	v_lshl_add_u32 v76, v75, 2, v63
	v_lshl_add_u32 v77, v77, 2, v48
	ds_read_b32 v76, v76
	ds_read_b32 v77, v77
	v_add_u32_e32 v78, 1, v75
	s_waitcnt lgkmcnt(0)
	v_cmp_lt_i32_e64 s[16:17], v77, v76
	v_cndmask_b32_e64 v73, v73, v75, s[16:17]
	v_cndmask_b32_e64 v74, v78, v74, s[16:17]
	v_cmp_ge_i32_e64 s[16:17], v74, v73
	s_or_b64 s[20:21], s[16:17], s[20:21]
	s_andn2_b64 exec, exec, s[20:21]
	s_cbranch_execnz .LBB33_12
; %bb.13:                               ;   in Loop: Header=BB33_2 Depth=1
	s_or_b64 exec, exec, s[20:21]
.LBB33_14:                              ;   in Loop: Header=BB33_2 Depth=1
	s_or_b64 exec, exec, s[18:19]
	v_sub_u32_e32 v73, v47, v74
	v_lshl_add_u32 v79, v74, 2, v63
	v_lshlrev_b32_e32 v78, 2, v73
	ds_read_b32 v75, v79
	ds_read_b32 v76, v78
	v_add_u32_e32 v74, v74, v4
	v_cmp_le_i32_e64 s[18:19], v5, v74
	v_cmp_gt_i32_e64 s[16:17], v6, v73
                                        ; implicit-def: $vgpr77
	s_waitcnt lgkmcnt(0)
	v_cmp_lt_i32_e64 s[20:21], v76, v75
	s_or_b64 s[18:19], s[18:19], s[20:21]
	s_and_b64 s[16:17], s[16:17], s[18:19]
	s_xor_b64 s[18:19], s[16:17], -1
	s_and_saveexec_b64 s[20:21], s[18:19]
	s_xor_b64 s[18:19], exec, s[20:21]
; %bb.15:                               ;   in Loop: Header=BB33_2 Depth=1
	ds_read_b32 v77, v79 offset:4
                                        ; implicit-def: $vgpr78
; %bb.16:                               ;   in Loop: Header=BB33_2 Depth=1
	s_or_saveexec_b64 s[18:19], s[18:19]
	v_mov_b32_e32 v79, v76
	s_xor_b64 exec, exec, s[18:19]
	s_cbranch_execz .LBB33_18
; %bb.17:                               ;   in Loop: Header=BB33_2 Depth=1
	ds_read_b32 v79, v78 offset:4
	s_waitcnt lgkmcnt(1)
	v_mov_b32_e32 v77, v75
.LBB33_18:                              ;   in Loop: Header=BB33_2 Depth=1
	s_or_b64 exec, exec, s[18:19]
	v_add_u32_e32 v78, 1, v74
	v_cndmask_b32_e64 v75, v75, v76, s[16:17]
	v_add_u32_e32 v76, 1, v73
	v_cndmask_b32_e64 v78, v78, v74, s[16:17]
	v_cndmask_b32_e64 v76, v73, v76, s[16:17]
	v_cmp_ge_i32_e64 s[18:19], v78, v5
	s_waitcnt lgkmcnt(0)
	v_cmp_lt_i32_e64 s[20:21], v79, v77
	v_cndmask_b32_e64 v73, v74, v73, s[16:17]
	v_cmp_lt_i32_e64 s[16:17], v76, v6
	s_or_b64 s[18:19], s[18:19], s[20:21]
	s_and_b64 s[16:17], s[16:17], s[18:19]
	v_cndmask_b32_e64 v76, v78, v76, s[16:17]
	s_barrier
	ds_write2_b32 v61, v71, v72 offset1:1
	v_lshlrev_b32_e32 v71, 2, v73
	v_lshlrev_b32_e32 v72, 2, v76
	s_waitcnt lgkmcnt(0)
	s_barrier
	ds_read_b32 v71, v71
	ds_read_b32 v72, v72
	v_cndmask_b32_e64 v74, v77, v79, s[16:17]
	s_waitcnt lgkmcnt(0)
	s_barrier
	ds_write2_b32 v61, v75, v74 offset1:1
	v_mov_b32_e32 v74, v29
	s_waitcnt lgkmcnt(0)
	s_barrier
	s_and_saveexec_b64 s[18:19], s[2:3]
	s_cbranch_execz .LBB33_22
; %bb.19:                               ;   in Loop: Header=BB33_2 Depth=1
	s_mov_b64 s[20:21], 0
	v_mov_b32_e32 v74, v29
	v_mov_b32_e32 v73, v30
.LBB33_20:                              ;   Parent Loop BB33_2 Depth=1
                                        ; =>  This Inner Loop Header: Depth=2
	v_sub_u32_e32 v75, v73, v74
	v_lshrrev_b32_e32 v75, 1, v75
	v_add_u32_e32 v75, v75, v74
	v_not_b32_e32 v77, v75
	v_lshl_add_u32 v76, v75, 2, v64
	v_lshl_add_u32 v77, v77, 2, v50
	ds_read_b32 v76, v76
	ds_read_b32 v77, v77
	v_add_u32_e32 v78, 1, v75
	s_waitcnt lgkmcnt(0)
	v_cmp_lt_i32_e64 s[16:17], v77, v76
	v_cndmask_b32_e64 v73, v73, v75, s[16:17]
	v_cndmask_b32_e64 v74, v78, v74, s[16:17]
	v_cmp_ge_i32_e64 s[16:17], v74, v73
	s_or_b64 s[20:21], s[16:17], s[20:21]
	s_andn2_b64 exec, exec, s[20:21]
	s_cbranch_execnz .LBB33_20
; %bb.21:                               ;   in Loop: Header=BB33_2 Depth=1
	s_or_b64 exec, exec, s[20:21]
.LBB33_22:                              ;   in Loop: Header=BB33_2 Depth=1
	s_or_b64 exec, exec, s[18:19]
	v_sub_u32_e32 v73, v49, v74
	v_lshl_add_u32 v79, v74, 2, v64
	v_lshlrev_b32_e32 v78, 2, v73
	ds_read_b32 v75, v79
	ds_read_b32 v76, v78
	v_add_u32_e32 v74, v74, v7
	v_cmp_le_i32_e64 s[18:19], v8, v74
	v_cmp_gt_i32_e64 s[16:17], v9, v73
                                        ; implicit-def: $vgpr77
	s_waitcnt lgkmcnt(0)
	v_cmp_lt_i32_e64 s[20:21], v76, v75
	s_or_b64 s[18:19], s[18:19], s[20:21]
	s_and_b64 s[16:17], s[16:17], s[18:19]
	s_xor_b64 s[18:19], s[16:17], -1
	s_and_saveexec_b64 s[20:21], s[18:19]
	s_xor_b64 s[18:19], exec, s[20:21]
; %bb.23:                               ;   in Loop: Header=BB33_2 Depth=1
	ds_read_b32 v77, v79 offset:4
                                        ; implicit-def: $vgpr78
; %bb.24:                               ;   in Loop: Header=BB33_2 Depth=1
	s_or_saveexec_b64 s[18:19], s[18:19]
	v_mov_b32_e32 v79, v76
	s_xor_b64 exec, exec, s[18:19]
	s_cbranch_execz .LBB33_26
; %bb.25:                               ;   in Loop: Header=BB33_2 Depth=1
	ds_read_b32 v79, v78 offset:4
	s_waitcnt lgkmcnt(1)
	v_mov_b32_e32 v77, v75
.LBB33_26:                              ;   in Loop: Header=BB33_2 Depth=1
	s_or_b64 exec, exec, s[18:19]
	v_add_u32_e32 v78, 1, v74
	v_cndmask_b32_e64 v75, v75, v76, s[16:17]
	v_add_u32_e32 v76, 1, v73
	v_cndmask_b32_e64 v78, v78, v74, s[16:17]
	v_cndmask_b32_e64 v76, v73, v76, s[16:17]
	v_cmp_ge_i32_e64 s[18:19], v78, v8
	s_waitcnt lgkmcnt(0)
	v_cmp_lt_i32_e64 s[20:21], v79, v77
	v_cndmask_b32_e64 v73, v74, v73, s[16:17]
	v_cmp_lt_i32_e64 s[16:17], v76, v9
	s_or_b64 s[18:19], s[18:19], s[20:21]
	s_and_b64 s[16:17], s[16:17], s[18:19]
	v_cndmask_b32_e64 v76, v78, v76, s[16:17]
	s_barrier
	ds_write2_b32 v61, v71, v72 offset1:1
	v_lshlrev_b32_e32 v71, 2, v73
	v_lshlrev_b32_e32 v72, 2, v76
	s_waitcnt lgkmcnt(0)
	s_barrier
	ds_read_b32 v71, v71
	ds_read_b32 v72, v72
	v_cndmask_b32_e64 v74, v77, v79, s[16:17]
	s_waitcnt lgkmcnt(0)
	s_barrier
	ds_write2_b32 v61, v75, v74 offset1:1
	v_mov_b32_e32 v74, v31
	s_waitcnt lgkmcnt(0)
	s_barrier
	s_and_saveexec_b64 s[18:19], s[4:5]
	s_cbranch_execz .LBB33_30
; %bb.27:                               ;   in Loop: Header=BB33_2 Depth=1
	s_mov_b64 s[20:21], 0
	v_mov_b32_e32 v74, v31
	v_mov_b32_e32 v73, v32
.LBB33_28:                              ;   Parent Loop BB33_2 Depth=1
                                        ; =>  This Inner Loop Header: Depth=2
	v_sub_u32_e32 v75, v73, v74
	v_lshrrev_b32_e32 v75, 1, v75
	v_add_u32_e32 v75, v75, v74
	v_not_b32_e32 v77, v75
	v_lshl_add_u32 v76, v75, 2, v65
	v_lshl_add_u32 v77, v77, 2, v52
	ds_read_b32 v76, v76
	ds_read_b32 v77, v77
	v_add_u32_e32 v78, 1, v75
	s_waitcnt lgkmcnt(0)
	v_cmp_lt_i32_e64 s[16:17], v77, v76
	v_cndmask_b32_e64 v73, v73, v75, s[16:17]
	v_cndmask_b32_e64 v74, v78, v74, s[16:17]
	v_cmp_ge_i32_e64 s[16:17], v74, v73
	s_or_b64 s[20:21], s[16:17], s[20:21]
	s_andn2_b64 exec, exec, s[20:21]
	s_cbranch_execnz .LBB33_28
; %bb.29:                               ;   in Loop: Header=BB33_2 Depth=1
	s_or_b64 exec, exec, s[20:21]
.LBB33_30:                              ;   in Loop: Header=BB33_2 Depth=1
	s_or_b64 exec, exec, s[18:19]
	v_sub_u32_e32 v73, v51, v74
	v_lshl_add_u32 v79, v74, 2, v65
	v_lshlrev_b32_e32 v78, 2, v73
	ds_read_b32 v75, v79
	ds_read_b32 v76, v78
	v_add_u32_e32 v74, v74, v10
	v_cmp_le_i32_e64 s[18:19], v11, v74
	v_cmp_gt_i32_e64 s[16:17], v12, v73
                                        ; implicit-def: $vgpr77
	s_waitcnt lgkmcnt(0)
	v_cmp_lt_i32_e64 s[20:21], v76, v75
	s_or_b64 s[18:19], s[18:19], s[20:21]
	s_and_b64 s[16:17], s[16:17], s[18:19]
	s_xor_b64 s[18:19], s[16:17], -1
	s_and_saveexec_b64 s[20:21], s[18:19]
	s_xor_b64 s[18:19], exec, s[20:21]
; %bb.31:                               ;   in Loop: Header=BB33_2 Depth=1
	ds_read_b32 v77, v79 offset:4
                                        ; implicit-def: $vgpr78
; %bb.32:                               ;   in Loop: Header=BB33_2 Depth=1
	s_or_saveexec_b64 s[18:19], s[18:19]
	v_mov_b32_e32 v79, v76
	s_xor_b64 exec, exec, s[18:19]
	s_cbranch_execz .LBB33_34
; %bb.33:                               ;   in Loop: Header=BB33_2 Depth=1
	ds_read_b32 v79, v78 offset:4
	s_waitcnt lgkmcnt(1)
	v_mov_b32_e32 v77, v75
.LBB33_34:                              ;   in Loop: Header=BB33_2 Depth=1
	s_or_b64 exec, exec, s[18:19]
	v_add_u32_e32 v78, 1, v74
	v_cndmask_b32_e64 v75, v75, v76, s[16:17]
	v_add_u32_e32 v76, 1, v73
	v_cndmask_b32_e64 v78, v78, v74, s[16:17]
	v_cndmask_b32_e64 v76, v73, v76, s[16:17]
	v_cmp_ge_i32_e64 s[18:19], v78, v11
	s_waitcnt lgkmcnt(0)
	v_cmp_lt_i32_e64 s[20:21], v79, v77
	v_cndmask_b32_e64 v73, v74, v73, s[16:17]
	v_cmp_lt_i32_e64 s[16:17], v76, v12
	s_or_b64 s[18:19], s[18:19], s[20:21]
	s_and_b64 s[16:17], s[16:17], s[18:19]
	v_cndmask_b32_e64 v76, v78, v76, s[16:17]
	s_barrier
	ds_write2_b32 v61, v71, v72 offset1:1
	v_lshlrev_b32_e32 v71, 2, v73
	v_lshlrev_b32_e32 v72, 2, v76
	s_waitcnt lgkmcnt(0)
	s_barrier
	ds_read_b32 v71, v71
	ds_read_b32 v72, v72
	v_cndmask_b32_e64 v74, v77, v79, s[16:17]
	s_waitcnt lgkmcnt(0)
	s_barrier
	ds_write2_b32 v61, v75, v74 offset1:1
	v_mov_b32_e32 v74, v33
	s_waitcnt lgkmcnt(0)
	s_barrier
	s_and_saveexec_b64 s[18:19], s[6:7]
	s_cbranch_execz .LBB33_38
; %bb.35:                               ;   in Loop: Header=BB33_2 Depth=1
	s_mov_b64 s[20:21], 0
	v_mov_b32_e32 v74, v33
	v_mov_b32_e32 v73, v34
.LBB33_36:                              ;   Parent Loop BB33_2 Depth=1
                                        ; =>  This Inner Loop Header: Depth=2
	v_sub_u32_e32 v75, v73, v74
	v_lshrrev_b32_e32 v75, 1, v75
	v_add_u32_e32 v75, v75, v74
	v_not_b32_e32 v77, v75
	v_lshl_add_u32 v76, v75, 2, v66
	v_lshl_add_u32 v77, v77, 2, v54
	ds_read_b32 v76, v76
	ds_read_b32 v77, v77
	v_add_u32_e32 v78, 1, v75
	s_waitcnt lgkmcnt(0)
	v_cmp_lt_i32_e64 s[16:17], v77, v76
	v_cndmask_b32_e64 v73, v73, v75, s[16:17]
	v_cndmask_b32_e64 v74, v78, v74, s[16:17]
	v_cmp_ge_i32_e64 s[16:17], v74, v73
	s_or_b64 s[20:21], s[16:17], s[20:21]
	s_andn2_b64 exec, exec, s[20:21]
	s_cbranch_execnz .LBB33_36
; %bb.37:                               ;   in Loop: Header=BB33_2 Depth=1
	s_or_b64 exec, exec, s[20:21]
.LBB33_38:                              ;   in Loop: Header=BB33_2 Depth=1
	s_or_b64 exec, exec, s[18:19]
	v_sub_u32_e32 v73, v53, v74
	v_lshl_add_u32 v79, v74, 2, v66
	v_lshlrev_b32_e32 v78, 2, v73
	ds_read_b32 v75, v79
	ds_read_b32 v76, v78
	v_add_u32_e32 v74, v74, v13
	v_cmp_le_i32_e64 s[18:19], v14, v74
	v_cmp_gt_i32_e64 s[16:17], v15, v73
                                        ; implicit-def: $vgpr77
	s_waitcnt lgkmcnt(0)
	v_cmp_lt_i32_e64 s[20:21], v76, v75
	s_or_b64 s[18:19], s[18:19], s[20:21]
	s_and_b64 s[16:17], s[16:17], s[18:19]
	s_xor_b64 s[18:19], s[16:17], -1
	s_and_saveexec_b64 s[20:21], s[18:19]
	s_xor_b64 s[18:19], exec, s[20:21]
; %bb.39:                               ;   in Loop: Header=BB33_2 Depth=1
	ds_read_b32 v77, v79 offset:4
                                        ; implicit-def: $vgpr78
; %bb.40:                               ;   in Loop: Header=BB33_2 Depth=1
	s_or_saveexec_b64 s[18:19], s[18:19]
	v_mov_b32_e32 v79, v76
	s_xor_b64 exec, exec, s[18:19]
	s_cbranch_execz .LBB33_42
; %bb.41:                               ;   in Loop: Header=BB33_2 Depth=1
	ds_read_b32 v79, v78 offset:4
	s_waitcnt lgkmcnt(1)
	v_mov_b32_e32 v77, v75
.LBB33_42:                              ;   in Loop: Header=BB33_2 Depth=1
	s_or_b64 exec, exec, s[18:19]
	v_add_u32_e32 v78, 1, v74
	v_cndmask_b32_e64 v75, v75, v76, s[16:17]
	v_add_u32_e32 v76, 1, v73
	v_cndmask_b32_e64 v78, v78, v74, s[16:17]
	v_cndmask_b32_e64 v76, v73, v76, s[16:17]
	v_cmp_ge_i32_e64 s[18:19], v78, v14
	s_waitcnt lgkmcnt(0)
	v_cmp_lt_i32_e64 s[20:21], v79, v77
	v_cndmask_b32_e64 v73, v74, v73, s[16:17]
	v_cmp_lt_i32_e64 s[16:17], v76, v15
	s_or_b64 s[18:19], s[18:19], s[20:21]
	s_and_b64 s[16:17], s[16:17], s[18:19]
	v_cndmask_b32_e64 v76, v78, v76, s[16:17]
	s_barrier
	ds_write2_b32 v61, v71, v72 offset1:1
	v_lshlrev_b32_e32 v71, 2, v73
	v_lshlrev_b32_e32 v72, 2, v76
	s_waitcnt lgkmcnt(0)
	s_barrier
	ds_read_b32 v71, v71
	ds_read_b32 v72, v72
	v_cndmask_b32_e64 v74, v77, v79, s[16:17]
	s_waitcnt lgkmcnt(0)
	s_barrier
	ds_write2_b32 v61, v75, v74 offset1:1
	v_mov_b32_e32 v74, v35
	s_waitcnt lgkmcnt(0)
	s_barrier
	s_and_saveexec_b64 s[18:19], s[8:9]
	s_cbranch_execz .LBB33_46
; %bb.43:                               ;   in Loop: Header=BB33_2 Depth=1
	s_mov_b64 s[20:21], 0
	v_mov_b32_e32 v74, v35
	v_mov_b32_e32 v73, v36
.LBB33_44:                              ;   Parent Loop BB33_2 Depth=1
                                        ; =>  This Inner Loop Header: Depth=2
	v_sub_u32_e32 v75, v73, v74
	v_lshrrev_b32_e32 v75, 1, v75
	v_add_u32_e32 v75, v75, v74
	v_not_b32_e32 v77, v75
	v_lshl_add_u32 v76, v75, 2, v67
	v_lshl_add_u32 v77, v77, 2, v56
	ds_read_b32 v76, v76
	ds_read_b32 v77, v77
	v_add_u32_e32 v78, 1, v75
	s_waitcnt lgkmcnt(0)
	v_cmp_lt_i32_e64 s[16:17], v77, v76
	v_cndmask_b32_e64 v73, v73, v75, s[16:17]
	v_cndmask_b32_e64 v74, v78, v74, s[16:17]
	v_cmp_ge_i32_e64 s[16:17], v74, v73
	s_or_b64 s[20:21], s[16:17], s[20:21]
	s_andn2_b64 exec, exec, s[20:21]
	s_cbranch_execnz .LBB33_44
; %bb.45:                               ;   in Loop: Header=BB33_2 Depth=1
	s_or_b64 exec, exec, s[20:21]
.LBB33_46:                              ;   in Loop: Header=BB33_2 Depth=1
	s_or_b64 exec, exec, s[18:19]
	v_sub_u32_e32 v73, v55, v74
	v_lshl_add_u32 v79, v74, 2, v67
	v_lshlrev_b32_e32 v78, 2, v73
	ds_read_b32 v75, v79
	ds_read_b32 v76, v78
	v_add_u32_e32 v74, v74, v16
	v_cmp_le_i32_e64 s[18:19], v17, v74
	v_cmp_gt_i32_e64 s[16:17], v18, v73
                                        ; implicit-def: $vgpr77
	s_waitcnt lgkmcnt(0)
	v_cmp_lt_i32_e64 s[20:21], v76, v75
	s_or_b64 s[18:19], s[18:19], s[20:21]
	s_and_b64 s[16:17], s[16:17], s[18:19]
	s_xor_b64 s[18:19], s[16:17], -1
	s_and_saveexec_b64 s[20:21], s[18:19]
	s_xor_b64 s[18:19], exec, s[20:21]
; %bb.47:                               ;   in Loop: Header=BB33_2 Depth=1
	ds_read_b32 v77, v79 offset:4
                                        ; implicit-def: $vgpr78
; %bb.48:                               ;   in Loop: Header=BB33_2 Depth=1
	s_or_saveexec_b64 s[18:19], s[18:19]
	v_mov_b32_e32 v79, v76
	s_xor_b64 exec, exec, s[18:19]
	s_cbranch_execz .LBB33_50
; %bb.49:                               ;   in Loop: Header=BB33_2 Depth=1
	ds_read_b32 v79, v78 offset:4
	s_waitcnt lgkmcnt(1)
	v_mov_b32_e32 v77, v75
.LBB33_50:                              ;   in Loop: Header=BB33_2 Depth=1
	s_or_b64 exec, exec, s[18:19]
	v_add_u32_e32 v78, 1, v74
	v_cndmask_b32_e64 v75, v75, v76, s[16:17]
	v_add_u32_e32 v76, 1, v73
	v_cndmask_b32_e64 v78, v78, v74, s[16:17]
	v_cndmask_b32_e64 v76, v73, v76, s[16:17]
	v_cmp_ge_i32_e64 s[18:19], v78, v17
	s_waitcnt lgkmcnt(0)
	v_cmp_lt_i32_e64 s[20:21], v79, v77
	v_cndmask_b32_e64 v73, v74, v73, s[16:17]
	v_cmp_lt_i32_e64 s[16:17], v76, v18
	s_or_b64 s[18:19], s[18:19], s[20:21]
	s_and_b64 s[16:17], s[16:17], s[18:19]
	v_cndmask_b32_e64 v76, v78, v76, s[16:17]
	s_barrier
	ds_write2_b32 v61, v71, v72 offset1:1
	v_lshlrev_b32_e32 v71, 2, v73
	v_lshlrev_b32_e32 v72, 2, v76
	s_waitcnt lgkmcnt(0)
	s_barrier
	ds_read_b32 v71, v71
	ds_read_b32 v72, v72
	v_cndmask_b32_e64 v74, v77, v79, s[16:17]
	s_waitcnt lgkmcnt(0)
	s_barrier
	ds_write2_b32 v61, v75, v74 offset1:1
	v_mov_b32_e32 v74, v37
	s_waitcnt lgkmcnt(0)
	s_barrier
	s_and_saveexec_b64 s[18:19], s[10:11]
	s_cbranch_execz .LBB33_54
; %bb.51:                               ;   in Loop: Header=BB33_2 Depth=1
	s_mov_b64 s[20:21], 0
	v_mov_b32_e32 v74, v37
	v_mov_b32_e32 v73, v38
.LBB33_52:                              ;   Parent Loop BB33_2 Depth=1
                                        ; =>  This Inner Loop Header: Depth=2
	v_sub_u32_e32 v75, v73, v74
	v_lshrrev_b32_e32 v75, 1, v75
	v_add_u32_e32 v75, v75, v74
	v_not_b32_e32 v77, v75
	v_lshl_add_u32 v76, v75, 2, v68
	v_lshl_add_u32 v77, v77, 2, v58
	ds_read_b32 v76, v76
	ds_read_b32 v77, v77
	v_add_u32_e32 v78, 1, v75
	s_waitcnt lgkmcnt(0)
	v_cmp_lt_i32_e64 s[16:17], v77, v76
	v_cndmask_b32_e64 v73, v73, v75, s[16:17]
	v_cndmask_b32_e64 v74, v78, v74, s[16:17]
	v_cmp_ge_i32_e64 s[16:17], v74, v73
	s_or_b64 s[20:21], s[16:17], s[20:21]
	s_andn2_b64 exec, exec, s[20:21]
	s_cbranch_execnz .LBB33_52
; %bb.53:                               ;   in Loop: Header=BB33_2 Depth=1
	s_or_b64 exec, exec, s[20:21]
.LBB33_54:                              ;   in Loop: Header=BB33_2 Depth=1
	s_or_b64 exec, exec, s[18:19]
	v_sub_u32_e32 v73, v57, v74
	v_lshl_add_u32 v79, v74, 2, v68
	v_lshlrev_b32_e32 v78, 2, v73
	ds_read_b32 v75, v79
	ds_read_b32 v76, v78
	v_add_u32_e32 v74, v74, v19
	v_cmp_le_i32_e64 s[18:19], v20, v74
	v_cmp_gt_i32_e64 s[16:17], v21, v73
                                        ; implicit-def: $vgpr77
	s_waitcnt lgkmcnt(0)
	v_cmp_lt_i32_e64 s[20:21], v76, v75
	s_or_b64 s[18:19], s[18:19], s[20:21]
	s_and_b64 s[16:17], s[16:17], s[18:19]
	s_xor_b64 s[18:19], s[16:17], -1
	s_and_saveexec_b64 s[20:21], s[18:19]
	s_xor_b64 s[18:19], exec, s[20:21]
; %bb.55:                               ;   in Loop: Header=BB33_2 Depth=1
	ds_read_b32 v77, v79 offset:4
                                        ; implicit-def: $vgpr78
; %bb.56:                               ;   in Loop: Header=BB33_2 Depth=1
	s_or_saveexec_b64 s[18:19], s[18:19]
	v_mov_b32_e32 v79, v76
	s_xor_b64 exec, exec, s[18:19]
	s_cbranch_execz .LBB33_58
; %bb.57:                               ;   in Loop: Header=BB33_2 Depth=1
	ds_read_b32 v79, v78 offset:4
	s_waitcnt lgkmcnt(1)
	v_mov_b32_e32 v77, v75
.LBB33_58:                              ;   in Loop: Header=BB33_2 Depth=1
	s_or_b64 exec, exec, s[18:19]
	v_add_u32_e32 v78, 1, v74
	v_cndmask_b32_e64 v75, v75, v76, s[16:17]
	v_add_u32_e32 v76, 1, v73
	v_cndmask_b32_e64 v78, v78, v74, s[16:17]
	v_cndmask_b32_e64 v76, v73, v76, s[16:17]
	v_cmp_ge_i32_e64 s[18:19], v78, v20
	s_waitcnt lgkmcnt(0)
	v_cmp_lt_i32_e64 s[20:21], v79, v77
	v_cndmask_b32_e64 v73, v74, v73, s[16:17]
	v_cmp_lt_i32_e64 s[16:17], v76, v21
	s_or_b64 s[18:19], s[18:19], s[20:21]
	s_and_b64 s[16:17], s[16:17], s[18:19]
	v_cndmask_b32_e64 v76, v78, v76, s[16:17]
	s_barrier
	ds_write2_b32 v61, v71, v72 offset1:1
	v_lshlrev_b32_e32 v71, 2, v73
	v_lshlrev_b32_e32 v72, 2, v76
	s_waitcnt lgkmcnt(0)
	s_barrier
	ds_read_b32 v71, v71
	ds_read_b32 v72, v72
	v_cndmask_b32_e64 v74, v77, v79, s[16:17]
	s_waitcnt lgkmcnt(0)
	s_barrier
	ds_write2_b32 v61, v75, v74 offset1:1
	v_mov_b32_e32 v74, v39
	s_waitcnt lgkmcnt(0)
	s_barrier
	s_and_saveexec_b64 s[18:19], s[12:13]
	s_cbranch_execz .LBB33_62
; %bb.59:                               ;   in Loop: Header=BB33_2 Depth=1
	s_mov_b64 s[20:21], 0
	v_mov_b32_e32 v74, v39
	v_mov_b32_e32 v73, v40
.LBB33_60:                              ;   Parent Loop BB33_2 Depth=1
                                        ; =>  This Inner Loop Header: Depth=2
	v_sub_u32_e32 v75, v73, v74
	v_lshrrev_b32_e32 v75, 1, v75
	v_add_u32_e32 v75, v75, v74
	v_not_b32_e32 v77, v75
	v_lshl_add_u32 v76, v75, 2, v69
	v_lshl_add_u32 v77, v77, 2, v60
	ds_read_b32 v76, v76
	ds_read_b32 v77, v77
	v_add_u32_e32 v78, 1, v75
	s_waitcnt lgkmcnt(0)
	v_cmp_lt_i32_e64 s[16:17], v77, v76
	v_cndmask_b32_e64 v73, v73, v75, s[16:17]
	v_cndmask_b32_e64 v74, v78, v74, s[16:17]
	v_cmp_ge_i32_e64 s[16:17], v74, v73
	s_or_b64 s[20:21], s[16:17], s[20:21]
	s_andn2_b64 exec, exec, s[20:21]
	s_cbranch_execnz .LBB33_60
; %bb.61:                               ;   in Loop: Header=BB33_2 Depth=1
	s_or_b64 exec, exec, s[20:21]
.LBB33_62:                              ;   in Loop: Header=BB33_2 Depth=1
	s_or_b64 exec, exec, s[18:19]
	v_sub_u32_e32 v73, v59, v74
	v_lshl_add_u32 v79, v74, 2, v69
	v_lshlrev_b32_e32 v78, 2, v73
	ds_read_b32 v75, v79
	ds_read_b32 v76, v78
	v_add_u32_e32 v74, v74, v22
	v_cmp_le_i32_e64 s[18:19], v23, v74
	v_cmp_gt_i32_e64 s[16:17], v24, v73
                                        ; implicit-def: $vgpr77
	s_waitcnt lgkmcnt(0)
	v_cmp_lt_i32_e64 s[20:21], v76, v75
	s_or_b64 s[18:19], s[18:19], s[20:21]
	s_and_b64 s[16:17], s[16:17], s[18:19]
	s_xor_b64 s[18:19], s[16:17], -1
	s_and_saveexec_b64 s[20:21], s[18:19]
	s_xor_b64 s[18:19], exec, s[20:21]
; %bb.63:                               ;   in Loop: Header=BB33_2 Depth=1
	ds_read_b32 v77, v79 offset:4
                                        ; implicit-def: $vgpr78
; %bb.64:                               ;   in Loop: Header=BB33_2 Depth=1
	s_or_saveexec_b64 s[18:19], s[18:19]
	v_mov_b32_e32 v79, v76
	s_xor_b64 exec, exec, s[18:19]
	s_cbranch_execz .LBB33_66
; %bb.65:                               ;   in Loop: Header=BB33_2 Depth=1
	ds_read_b32 v79, v78 offset:4
	s_waitcnt lgkmcnt(1)
	v_mov_b32_e32 v77, v75
.LBB33_66:                              ;   in Loop: Header=BB33_2 Depth=1
	s_or_b64 exec, exec, s[18:19]
	v_add_u32_e32 v78, 1, v74
	v_cndmask_b32_e64 v75, v75, v76, s[16:17]
	v_add_u32_e32 v76, 1, v73
	v_cndmask_b32_e64 v78, v78, v74, s[16:17]
	v_cndmask_b32_e64 v76, v73, v76, s[16:17]
	v_cmp_ge_i32_e64 s[18:19], v78, v23
	s_waitcnt lgkmcnt(0)
	v_cmp_lt_i32_e64 s[20:21], v79, v77
	v_cndmask_b32_e64 v73, v74, v73, s[16:17]
	v_cmp_lt_i32_e64 s[16:17], v76, v24
	s_or_b64 s[18:19], s[18:19], s[20:21]
	s_and_b64 s[16:17], s[16:17], s[18:19]
	v_cndmask_b32_e64 v76, v78, v76, s[16:17]
	s_barrier
	ds_write2_b32 v61, v71, v72 offset1:1
	v_lshlrev_b32_e32 v71, 2, v73
	v_lshlrev_b32_e32 v72, 2, v76
	s_waitcnt lgkmcnt(0)
	s_barrier
	ds_read_b32 v71, v71
	ds_read_b32 v72, v72
	v_cndmask_b32_e64 v74, v77, v79, s[16:17]
	v_mov_b32_e32 v73, v42
	s_waitcnt lgkmcnt(0)
	s_barrier
	ds_write2_b32 v61, v75, v74 offset1:1
	s_waitcnt lgkmcnt(0)
	s_barrier
	s_and_saveexec_b64 s[18:19], s[14:15]
	s_cbranch_execz .LBB33_70
; %bb.67:                               ;   in Loop: Header=BB33_2 Depth=1
	s_mov_b64 s[20:21], 0
	v_mov_b32_e32 v73, v42
	v_mov_b32_e32 v74, v43
.LBB33_68:                              ;   Parent Loop BB33_2 Depth=1
                                        ; =>  This Inner Loop Header: Depth=2
	v_sub_u32_e32 v75, v74, v73
	v_lshrrev_b32_e32 v75, 1, v75
	v_add_u32_e32 v75, v75, v73
	v_not_b32_e32 v77, v75
	v_lshlrev_b32_e32 v76, 2, v75
	v_lshl_add_u32 v77, v77, 2, v70
	ds_read_b32 v76, v76
	ds_read_b32 v77, v77
	v_add_u32_e32 v78, 1, v75
	s_waitcnt lgkmcnt(0)
	v_cmp_lt_i32_e64 s[16:17], v77, v76
	v_cndmask_b32_e64 v74, v74, v75, s[16:17]
	v_cndmask_b32_e64 v73, v78, v73, s[16:17]
	v_cmp_ge_i32_e64 s[16:17], v73, v74
	s_or_b64 s[20:21], s[16:17], s[20:21]
	s_andn2_b64 exec, exec, s[20:21]
	s_cbranch_execnz .LBB33_68
; %bb.69:                               ;   in Loop: Header=BB33_2 Depth=1
	s_or_b64 exec, exec, s[20:21]
.LBB33_70:                              ;   in Loop: Header=BB33_2 Depth=1
	s_or_b64 exec, exec, s[18:19]
	v_sub_u32_e32 v76, v44, v73
	v_lshlrev_b32_e32 v80, 2, v73
	v_lshlrev_b32_e32 v79, 2, v76
	ds_read_b32 v74, v80
	ds_read_b32 v75, v79
	v_cmp_le_i32_e64 s[18:19], v41, v73
	v_cmp_gt_i32_e64 s[16:17], s24, v76
                                        ; implicit-def: $vgpr78
                                        ; implicit-def: $vgpr77
	s_waitcnt lgkmcnt(0)
	v_cmp_lt_i32_e64 s[20:21], v75, v74
	s_or_b64 s[18:19], s[18:19], s[20:21]
	s_and_b64 s[16:17], s[16:17], s[18:19]
	s_xor_b64 s[18:19], s[16:17], -1
	s_and_saveexec_b64 s[20:21], s[18:19]
	s_xor_b64 s[18:19], exec, s[20:21]
; %bb.71:                               ;   in Loop: Header=BB33_2 Depth=1
	ds_read_b32 v78, v80 offset:4
	v_add_u32_e32 v77, 1, v73
                                        ; implicit-def: $vgpr79
; %bb.72:                               ;   in Loop: Header=BB33_2 Depth=1
	s_or_saveexec_b64 s[18:19], s[18:19]
	v_mov_b32_e32 v80, v73
	v_mov_b32_e32 v81, v75
	s_xor_b64 exec, exec, s[18:19]
	s_cbranch_execz .LBB33_1
; %bb.73:                               ;   in Loop: Header=BB33_2 Depth=1
	ds_read_b32 v81, v79 offset:4
	s_waitcnt lgkmcnt(1)
	v_add_u32_e32 v78, 1, v76
	v_mov_b32_e32 v80, v76
	v_mov_b32_e32 v77, v73
	;; [unrolled: 1-line block ×4, first 2 shown]
	s_branch .LBB33_1
.LBB33_74:
	s_add_u32 s0, s26, s28
	s_waitcnt lgkmcnt(1)
	v_add_u32_e32 v1, v74, v71
	s_addc_u32 s1, s27, s29
	v_lshlrev_b32_e32 v0, 2, v0
	s_waitcnt lgkmcnt(0)
	v_add_u32_e32 v2, v73, v72
	global_store_dword v0, v1, s[0:1]
	global_store_dword v0, v2, s[0:1] offset:2048
	s_endpgm
	.section	.rodata,"a",@progbits
	.p2align	6, 0x0
	.amdhsa_kernel _Z17sort_pairs_kernelIiLj512ELj2EN10test_utils4lessELj10EEvPKT_PS2_T2_
		.amdhsa_group_segment_fixed_size 4100
		.amdhsa_private_segment_fixed_size 0
		.amdhsa_kernarg_size 20
		.amdhsa_user_sgpr_count 6
		.amdhsa_user_sgpr_private_segment_buffer 1
		.amdhsa_user_sgpr_dispatch_ptr 0
		.amdhsa_user_sgpr_queue_ptr 0
		.amdhsa_user_sgpr_kernarg_segment_ptr 1
		.amdhsa_user_sgpr_dispatch_id 0
		.amdhsa_user_sgpr_flat_scratch_init 0
		.amdhsa_user_sgpr_private_segment_size 0
		.amdhsa_uses_dynamic_stack 0
		.amdhsa_system_sgpr_private_segment_wavefront_offset 0
		.amdhsa_system_sgpr_workgroup_id_x 1
		.amdhsa_system_sgpr_workgroup_id_y 0
		.amdhsa_system_sgpr_workgroup_id_z 0
		.amdhsa_system_sgpr_workgroup_info 0
		.amdhsa_system_vgpr_workitem_id 0
		.amdhsa_next_free_vgpr 82
		.amdhsa_next_free_sgpr 32
		.amdhsa_reserve_vcc 1
		.amdhsa_reserve_flat_scratch 0
		.amdhsa_float_round_mode_32 0
		.amdhsa_float_round_mode_16_64 0
		.amdhsa_float_denorm_mode_32 3
		.amdhsa_float_denorm_mode_16_64 3
		.amdhsa_dx10_clamp 1
		.amdhsa_ieee_mode 1
		.amdhsa_fp16_overflow 0
		.amdhsa_exception_fp_ieee_invalid_op 0
		.amdhsa_exception_fp_denorm_src 0
		.amdhsa_exception_fp_ieee_div_zero 0
		.amdhsa_exception_fp_ieee_overflow 0
		.amdhsa_exception_fp_ieee_underflow 0
		.amdhsa_exception_fp_ieee_inexact 0
		.amdhsa_exception_int_div_zero 0
	.end_amdhsa_kernel
	.section	.text._Z17sort_pairs_kernelIiLj512ELj2EN10test_utils4lessELj10EEvPKT_PS2_T2_,"axG",@progbits,_Z17sort_pairs_kernelIiLj512ELj2EN10test_utils4lessELj10EEvPKT_PS2_T2_,comdat
.Lfunc_end33:
	.size	_Z17sort_pairs_kernelIiLj512ELj2EN10test_utils4lessELj10EEvPKT_PS2_T2_, .Lfunc_end33-_Z17sort_pairs_kernelIiLj512ELj2EN10test_utils4lessELj10EEvPKT_PS2_T2_
                                        ; -- End function
	.set _Z17sort_pairs_kernelIiLj512ELj2EN10test_utils4lessELj10EEvPKT_PS2_T2_.num_vgpr, 82
	.set _Z17sort_pairs_kernelIiLj512ELj2EN10test_utils4lessELj10EEvPKT_PS2_T2_.num_agpr, 0
	.set _Z17sort_pairs_kernelIiLj512ELj2EN10test_utils4lessELj10EEvPKT_PS2_T2_.numbered_sgpr, 32
	.set _Z17sort_pairs_kernelIiLj512ELj2EN10test_utils4lessELj10EEvPKT_PS2_T2_.num_named_barrier, 0
	.set _Z17sort_pairs_kernelIiLj512ELj2EN10test_utils4lessELj10EEvPKT_PS2_T2_.private_seg_size, 0
	.set _Z17sort_pairs_kernelIiLj512ELj2EN10test_utils4lessELj10EEvPKT_PS2_T2_.uses_vcc, 1
	.set _Z17sort_pairs_kernelIiLj512ELj2EN10test_utils4lessELj10EEvPKT_PS2_T2_.uses_flat_scratch, 0
	.set _Z17sort_pairs_kernelIiLj512ELj2EN10test_utils4lessELj10EEvPKT_PS2_T2_.has_dyn_sized_stack, 0
	.set _Z17sort_pairs_kernelIiLj512ELj2EN10test_utils4lessELj10EEvPKT_PS2_T2_.has_recursion, 0
	.set _Z17sort_pairs_kernelIiLj512ELj2EN10test_utils4lessELj10EEvPKT_PS2_T2_.has_indirect_call, 0
	.section	.AMDGPU.csdata,"",@progbits
; Kernel info:
; codeLenInByte = 4656
; TotalNumSgprs: 36
; NumVgprs: 82
; ScratchSize: 0
; MemoryBound: 0
; FloatMode: 240
; IeeeMode: 1
; LDSByteSize: 4100 bytes/workgroup (compile time only)
; SGPRBlocks: 4
; VGPRBlocks: 20
; NumSGPRsForWavesPerEU: 36
; NumVGPRsForWavesPerEU: 82
; Occupancy: 3
; WaveLimiterHint : 1
; COMPUTE_PGM_RSRC2:SCRATCH_EN: 0
; COMPUTE_PGM_RSRC2:USER_SGPR: 6
; COMPUTE_PGM_RSRC2:TRAP_HANDLER: 0
; COMPUTE_PGM_RSRC2:TGID_X_EN: 1
; COMPUTE_PGM_RSRC2:TGID_Y_EN: 0
; COMPUTE_PGM_RSRC2:TGID_Z_EN: 0
; COMPUTE_PGM_RSRC2:TIDIG_COMP_CNT: 0
	.section	.text._Z16sort_keys_kernelIiLj512ELj3EN10test_utils4lessELj10EEvPKT_PS2_T2_,"axG",@progbits,_Z16sort_keys_kernelIiLj512ELj3EN10test_utils4lessELj10EEvPKT_PS2_T2_,comdat
	.protected	_Z16sort_keys_kernelIiLj512ELj3EN10test_utils4lessELj10EEvPKT_PS2_T2_ ; -- Begin function _Z16sort_keys_kernelIiLj512ELj3EN10test_utils4lessELj10EEvPKT_PS2_T2_
	.globl	_Z16sort_keys_kernelIiLj512ELj3EN10test_utils4lessELj10EEvPKT_PS2_T2_
	.p2align	8
	.type	_Z16sort_keys_kernelIiLj512ELj3EN10test_utils4lessELj10EEvPKT_PS2_T2_,@function
_Z16sort_keys_kernelIiLj512ELj3EN10test_utils4lessELj10EEvPKT_PS2_T2_: ; @_Z16sort_keys_kernelIiLj512ELj3EN10test_utils4lessELj10EEvPKT_PS2_T2_
; %bb.0:
	s_load_dwordx4 s[24:27], s[4:5], 0x0
	s_mul_i32 s28, s6, 0x600
	s_mov_b32 s29, 0
	s_lshl_b64 s[30:31], s[28:29], 2
	v_lshlrev_b32_e32 v19, 2, v0
	s_waitcnt lgkmcnt(0)
	s_add_u32 s0, s24, s30
	s_addc_u32 s1, s25, s31
	v_mov_b32_e32 v1, s1
	v_add_co_u32_e32 v2, vcc, s0, v19
	v_addc_co_u32_e32 v1, vcc, 0, v1, vcc
	s_movk_i32 s2, 0x1000
	v_add_co_u32_e32 v17, vcc, s2, v2
	v_addc_co_u32_e32 v18, vcc, 0, v1, vcc
	global_load_dword v80, v[17:18], off
	global_load_dword v81, v19, s[0:1]
	global_load_dword v82, v19, s[0:1] offset:2048
	v_and_b32_e32 v1, 0x1fe, v0
	v_and_b32_e32 v3, 0x1fc, v0
	;; [unrolled: 1-line block ×8, first 2 shown]
	v_mul_u32_u24_e32 v20, 3, v1
	v_mul_u32_u24_e32 v25, 3, v3
	;; [unrolled: 1-line block ×8, first 2 shown]
	v_and_b32_e32 v1, 1, v0
	v_min_u32_e32 v21, 0x5fd, v20
	v_min_u32_e32 v2, 0x5fa, v20
	;; [unrolled: 1-line block ×16, first 2 shown]
	v_cmp_eq_u32_e32 vcc, 1, v1
	v_add_u32_e32 v1, 3, v21
	v_add_u32_e32 v2, 6, v2
	v_and_b32_e32 v28, 3, v0
	v_add_u32_e32 v3, 6, v27
	v_add_u32_e32 v4, 12, v4
	v_and_b32_e32 v34, 7, v0
	v_add_u32_e32 v5, 24, v5
	v_add_u32_e32 v6, 12, v33
	;; [unrolled: 1-line block ×3, first 2 shown]
	v_and_b32_e32 v40, 15, v0
	v_add_u32_e32 v8, 24, v39
	v_add_u32_e32 v9, 0x60, v9
	v_and_b32_e32 v46, 31, v0
	v_add_u32_e32 v10, 48, v45
	v_add_u32_e32 v11, 0xc0, v11
	;; [unrolled: 3-line block ×4, first 2 shown]
	v_and_b32_e32 v64, 0xff, v0
	v_add_u32_e32 v16, 0x180, v63
	v_cndmask_b32_e64 v22, 0, 3, vcc
	v_sub_u32_e32 v23, v2, v1
	v_mul_u32_u24_e32 v26, 3, v28
	v_sub_u32_e32 v29, v4, v3
	v_mul_u32_u24_e32 v32, 3, v34
	;; [unrolled: 2-line block ×7, first 2 shown]
	v_sub_u32_e32 v65, v15, v16
	v_sub_u32_e32 v24, v22, v23
	;; [unrolled: 1-line block ×9, first 2 shown]
	v_min_u32_e32 v17, 0x600, v20
	v_cmp_ge_i32_e32 vcc, v22, v23
	v_min_u32_e32 v23, 0x600, v25
	v_cmp_ge_i32_e64 s[0:1], v26, v29
	v_min_u32_e32 v29, 0x600, v31
	v_cmp_ge_i32_e64 s[2:3], v32, v35
	;; [unrolled: 2-line block ×7, first 2 shown]
	v_cndmask_b32_e32 v18, 0, v24, vcc
	v_sub_u32_e32 v19, v1, v17
	v_cndmask_b32_e64 v24, 0, v30, s[0:1]
	v_sub_u32_e32 v25, v3, v23
	v_cndmask_b32_e64 v30, 0, v36, s[2:3]
	;; [unrolled: 2-line block ×7, first 2 shown]
	v_sub_u32_e32 v61, v16, v59
	v_mov_b32_e32 v65, 0x300
	v_mul_u32_u24_e32 v66, 3, v0
	v_min_i32_e32 v19, v22, v19
	v_lshlrev_b32_e32 v20, 2, v22
	v_min_i32_e32 v25, v26, v25
	v_lshlrev_b32_e32 v26, 2, v26
	v_min_i32_e32 v31, v32, v31
	v_lshlrev_b32_e32 v32, 2, v32
	v_min_i32_e32 v37, v38, v37
	v_lshlrev_b32_e32 v38, 2, v38
	v_min_i32_e32 v43, v44, v43
	v_lshlrev_b32_e32 v44, 2, v44
	v_min_i32_e32 v49, v50, v49
	v_lshlrev_b32_e32 v50, 2, v50
	v_min_i32_e32 v55, v56, v55
	v_lshlrev_b32_e32 v56, 2, v56
	v_min_i32_e32 v61, v62, v61
	v_lshlrev_b32_e32 v62, 2, v62
	v_sub_u32_e64 v67, v66, v65 clamp
	v_min_i32_e32 v68, 0x300, v66
	s_movk_i32 s24, 0x600
	v_cmp_lt_i32_e32 vcc, v18, v19
	v_lshl_add_u32 v20, v21, 2, v20
	v_add_u32_e32 v21, v21, v22
	v_add_u32_e32 v22, v1, v22
	v_cmp_lt_i32_e64 s[0:1], v24, v25
	v_lshl_add_u32 v26, v27, 2, v26
	v_mad_u32_u24 v27, v28, 3, v27
	v_mad_u32_u24 v28, v28, 3, v3
	v_cmp_lt_i32_e64 s[2:3], v30, v31
	v_lshl_add_u32 v32, v33, 2, v32
	v_mad_u32_u24 v33, v34, 3, v33
	v_mad_u32_u24 v34, v34, 3, v6
	;; [unrolled: 4-line block ×7, first 2 shown]
	v_cmp_lt_i32_e64 s[14:15], v67, v68
	v_mul_u32_u24_e32 v69, 12, v0
	v_lshlrev_b32_e32 v70, 2, v17
	v_lshlrev_b32_e32 v71, 2, v23
	;; [unrolled: 1-line block ×8, first 2 shown]
	v_mad_u32_u24 v78, v0, 3, v65
	v_lshlrev_b32_e32 v79, 2, v66
	s_branch .LBB34_2
.LBB34_1:                               ;   in Loop: Header=BB34_2 Depth=1
	s_or_b64 exec, exec, s[20:21]
	v_cndmask_b32_e64 v82, v83, v84, s[18:19]
	v_cmp_ge_i32_e64 s[18:19], v87, v65
	s_waitcnt lgkmcnt(0)
	v_cmp_lt_i32_e64 s[20:21], v88, v86
	v_cndmask_b32_e64 v81, v80, v81, s[16:17]
	v_cmp_gt_i32_e64 s[16:17], s24, v85
	s_or_b64 s[18:19], s[18:19], s[20:21]
	s_and_b64 s[16:17], s[16:17], s[18:19]
	s_add_i32 s29, s29, 1
	s_cmp_eq_u32 s29, 10
	v_cndmask_b32_e64 v80, v86, v88, s[16:17]
	s_cbranch_scc1 .LBB34_110
.LBB34_2:                               ; =>This Loop Header: Depth=1
                                        ;     Child Loop BB34_4 Depth 2
                                        ;     Child Loop BB34_16 Depth 2
                                        ;     Child Loop BB34_28 Depth 2
                                        ;     Child Loop BB34_40 Depth 2
                                        ;     Child Loop BB34_52 Depth 2
                                        ;     Child Loop BB34_64 Depth 2
                                        ;     Child Loop BB34_76 Depth 2
                                        ;     Child Loop BB34_88 Depth 2
                                        ;     Child Loop BB34_100 Depth 2
	s_waitcnt vmcnt(0)
	v_cmp_lt_i32_e64 s[16:17], v82, v81
	v_cndmask_b32_e64 v83, v81, v82, s[16:17]
	v_cndmask_b32_e64 v84, v82, v81, s[16:17]
	v_min_i32_e32 v85, v82, v81
	v_max_i32_e32 v81, v82, v81
	v_cmp_lt_i32_e64 s[16:17], v80, v81
	v_cndmask_b32_e64 v82, v80, v81, s[16:17]
	v_cndmask_b32_e64 v84, v84, v80, s[16:17]
	v_min_i32_e32 v81, v80, v81
	v_cmp_lt_i32_e64 s[16:17], v80, v85
	v_cndmask_b32_e64 v80, v83, v81, s[16:17]
	v_cndmask_b32_e64 v81, v84, v85, s[16:17]
	s_barrier
	ds_write2_b32 v69, v80, v81 offset1:1
	ds_write_b32 v69, v82 offset:8
	v_mov_b32_e32 v82, v18
	s_waitcnt lgkmcnt(0)
	s_barrier
	s_and_saveexec_b64 s[18:19], vcc
	s_cbranch_execz .LBB34_6
; %bb.3:                                ;   in Loop: Header=BB34_2 Depth=1
	s_mov_b64 s[20:21], 0
	v_mov_b32_e32 v82, v18
	v_mov_b32_e32 v80, v19
.LBB34_4:                               ;   Parent Loop BB34_2 Depth=1
                                        ; =>  This Inner Loop Header: Depth=2
	v_sub_u32_e32 v81, v80, v82
	v_lshrrev_b32_e32 v81, 1, v81
	v_add_u32_e32 v81, v81, v82
	v_not_b32_e32 v84, v81
	v_lshl_add_u32 v83, v81, 2, v70
	v_lshl_add_u32 v84, v84, 2, v20
	ds_read_b32 v83, v83
	ds_read_b32 v84, v84 offset:12
	v_add_u32_e32 v85, 1, v81
	s_waitcnt lgkmcnt(0)
	v_cmp_lt_i32_e64 s[16:17], v84, v83
	v_cndmask_b32_e64 v80, v80, v81, s[16:17]
	v_cndmask_b32_e64 v82, v85, v82, s[16:17]
	v_cmp_ge_i32_e64 s[16:17], v82, v80
	s_or_b64 s[20:21], s[16:17], s[20:21]
	s_andn2_b64 exec, exec, s[20:21]
	s_cbranch_execnz .LBB34_4
; %bb.5:                                ;   in Loop: Header=BB34_2 Depth=1
	s_or_b64 exec, exec, s[20:21]
.LBB34_6:                               ;   in Loop: Header=BB34_2 Depth=1
	s_or_b64 exec, exec, s[18:19]
	v_lshl_add_u32 v83, v82, 2, v70
	v_sub_u32_e32 v80, v21, v82
	v_lshlrev_b32_e32 v86, 2, v80
	ds_read_b32 v80, v83
	ds_read_b32 v81, v86 offset:12
	v_add_u32_e32 v84, v82, v17
	v_sub_u32_e32 v85, v22, v82
	v_cmp_le_i32_e64 s[18:19], v1, v84
	v_cmp_gt_i32_e64 s[16:17], v2, v85
	s_waitcnt lgkmcnt(0)
	v_cmp_lt_i32_e64 s[20:21], v81, v80
	s_or_b64 s[18:19], s[18:19], s[20:21]
	s_and_b64 s[16:17], s[16:17], s[18:19]
	s_xor_b64 s[18:19], s[16:17], -1
                                        ; implicit-def: $vgpr82
	s_and_saveexec_b64 s[20:21], s[18:19]
	s_xor_b64 s[18:19], exec, s[20:21]
; %bb.7:                                ;   in Loop: Header=BB34_2 Depth=1
	ds_read_b32 v82, v83 offset:4
                                        ; implicit-def: $vgpr86
; %bb.8:                                ;   in Loop: Header=BB34_2 Depth=1
	s_or_saveexec_b64 s[18:19], s[18:19]
	v_mov_b32_e32 v83, v81
	s_xor_b64 exec, exec, s[18:19]
	s_cbranch_execz .LBB34_10
; %bb.9:                                ;   in Loop: Header=BB34_2 Depth=1
	ds_read_b32 v83, v86 offset:16
	s_waitcnt lgkmcnt(1)
	v_mov_b32_e32 v82, v80
.LBB34_10:                              ;   in Loop: Header=BB34_2 Depth=1
	s_or_b64 exec, exec, s[18:19]
	v_add_u32_e32 v87, 1, v84
	v_add_u32_e32 v86, 1, v85
	v_cndmask_b32_e64 v84, v87, v84, s[16:17]
	v_cndmask_b32_e64 v85, v85, v86, s[16:17]
	v_cmp_ge_i32_e64 s[20:21], v84, v1
	s_waitcnt lgkmcnt(0)
	v_cmp_lt_i32_e64 s[22:23], v83, v82
	v_cmp_lt_i32_e64 s[18:19], v85, v2
	s_or_b64 s[20:21], s[20:21], s[22:23]
	s_and_b64 s[18:19], s[18:19], s[20:21]
	s_xor_b64 s[20:21], s[18:19], -1
                                        ; implicit-def: $vgpr86
	s_and_saveexec_b64 s[22:23], s[20:21]
	s_xor_b64 s[20:21], exec, s[22:23]
; %bb.11:                               ;   in Loop: Header=BB34_2 Depth=1
	v_lshlrev_b32_e32 v86, 2, v84
	ds_read_b32 v86, v86 offset:4
; %bb.12:                               ;   in Loop: Header=BB34_2 Depth=1
	s_or_saveexec_b64 s[20:21], s[20:21]
	v_mov_b32_e32 v87, v83
	s_xor_b64 exec, exec, s[20:21]
	s_cbranch_execz .LBB34_14
; %bb.13:                               ;   in Loop: Header=BB34_2 Depth=1
	s_waitcnt lgkmcnt(0)
	v_lshlrev_b32_e32 v86, 2, v85
	ds_read_b32 v87, v86 offset:4
	v_mov_b32_e32 v86, v82
.LBB34_14:                              ;   in Loop: Header=BB34_2 Depth=1
	s_or_b64 exec, exec, s[20:21]
	v_add_u32_e32 v88, 1, v84
	v_cndmask_b32_e64 v82, v82, v83, s[18:19]
	v_add_u32_e32 v83, 1, v85
	v_cndmask_b32_e64 v84, v88, v84, s[18:19]
	v_cndmask_b32_e64 v83, v85, v83, s[18:19]
	v_cmp_ge_i32_e64 s[18:19], v84, v1
	s_waitcnt lgkmcnt(0)
	v_cmp_lt_i32_e64 s[20:21], v87, v86
	v_cndmask_b32_e64 v80, v80, v81, s[16:17]
	v_cmp_lt_i32_e64 s[16:17], v83, v2
	s_or_b64 s[18:19], s[18:19], s[20:21]
	s_and_b64 s[16:17], s[16:17], s[18:19]
	v_cndmask_b32_e64 v81, v86, v87, s[16:17]
	s_barrier
	ds_write2_b32 v69, v80, v82 offset1:1
	ds_write_b32 v69, v81 offset:8
	v_mov_b32_e32 v82, v24
	s_waitcnt lgkmcnt(0)
	s_barrier
	s_and_saveexec_b64 s[18:19], s[0:1]
	s_cbranch_execz .LBB34_18
; %bb.15:                               ;   in Loop: Header=BB34_2 Depth=1
	s_mov_b64 s[20:21], 0
	v_mov_b32_e32 v82, v24
	v_mov_b32_e32 v80, v25
.LBB34_16:                              ;   Parent Loop BB34_2 Depth=1
                                        ; =>  This Inner Loop Header: Depth=2
	v_sub_u32_e32 v81, v80, v82
	v_lshrrev_b32_e32 v81, 1, v81
	v_add_u32_e32 v81, v81, v82
	v_not_b32_e32 v84, v81
	v_lshl_add_u32 v83, v81, 2, v71
	v_lshl_add_u32 v84, v84, 2, v26
	ds_read_b32 v83, v83
	ds_read_b32 v84, v84 offset:24
	v_add_u32_e32 v85, 1, v81
	s_waitcnt lgkmcnt(0)
	v_cmp_lt_i32_e64 s[16:17], v84, v83
	v_cndmask_b32_e64 v80, v80, v81, s[16:17]
	v_cndmask_b32_e64 v82, v85, v82, s[16:17]
	v_cmp_ge_i32_e64 s[16:17], v82, v80
	s_or_b64 s[20:21], s[16:17], s[20:21]
	s_andn2_b64 exec, exec, s[20:21]
	s_cbranch_execnz .LBB34_16
; %bb.17:                               ;   in Loop: Header=BB34_2 Depth=1
	s_or_b64 exec, exec, s[20:21]
.LBB34_18:                              ;   in Loop: Header=BB34_2 Depth=1
	s_or_b64 exec, exec, s[18:19]
	v_lshl_add_u32 v83, v82, 2, v71
	v_sub_u32_e32 v80, v27, v82
	v_lshlrev_b32_e32 v86, 2, v80
	ds_read_b32 v80, v83
	ds_read_b32 v81, v86 offset:24
	v_add_u32_e32 v84, v82, v23
	v_sub_u32_e32 v85, v28, v82
	v_cmp_le_i32_e64 s[18:19], v3, v84
	v_cmp_gt_i32_e64 s[16:17], v4, v85
	s_waitcnt lgkmcnt(0)
	v_cmp_lt_i32_e64 s[20:21], v81, v80
	s_or_b64 s[18:19], s[18:19], s[20:21]
	s_and_b64 s[16:17], s[16:17], s[18:19]
	s_xor_b64 s[18:19], s[16:17], -1
                                        ; implicit-def: $vgpr82
	s_and_saveexec_b64 s[20:21], s[18:19]
	s_xor_b64 s[18:19], exec, s[20:21]
; %bb.19:                               ;   in Loop: Header=BB34_2 Depth=1
	ds_read_b32 v82, v83 offset:4
                                        ; implicit-def: $vgpr86
; %bb.20:                               ;   in Loop: Header=BB34_2 Depth=1
	s_or_saveexec_b64 s[18:19], s[18:19]
	v_mov_b32_e32 v83, v81
	s_xor_b64 exec, exec, s[18:19]
	s_cbranch_execz .LBB34_22
; %bb.21:                               ;   in Loop: Header=BB34_2 Depth=1
	ds_read_b32 v83, v86 offset:28
	s_waitcnt lgkmcnt(1)
	v_mov_b32_e32 v82, v80
.LBB34_22:                              ;   in Loop: Header=BB34_2 Depth=1
	s_or_b64 exec, exec, s[18:19]
	v_add_u32_e32 v87, 1, v84
	v_add_u32_e32 v86, 1, v85
	v_cndmask_b32_e64 v84, v87, v84, s[16:17]
	v_cndmask_b32_e64 v85, v85, v86, s[16:17]
	v_cmp_ge_i32_e64 s[20:21], v84, v3
	s_waitcnt lgkmcnt(0)
	v_cmp_lt_i32_e64 s[22:23], v83, v82
	v_cmp_lt_i32_e64 s[18:19], v85, v4
	s_or_b64 s[20:21], s[20:21], s[22:23]
	s_and_b64 s[18:19], s[18:19], s[20:21]
	s_xor_b64 s[20:21], s[18:19], -1
                                        ; implicit-def: $vgpr86
	s_and_saveexec_b64 s[22:23], s[20:21]
	s_xor_b64 s[20:21], exec, s[22:23]
; %bb.23:                               ;   in Loop: Header=BB34_2 Depth=1
	v_lshlrev_b32_e32 v86, 2, v84
	ds_read_b32 v86, v86 offset:4
; %bb.24:                               ;   in Loop: Header=BB34_2 Depth=1
	s_or_saveexec_b64 s[20:21], s[20:21]
	v_mov_b32_e32 v87, v83
	s_xor_b64 exec, exec, s[20:21]
	s_cbranch_execz .LBB34_26
; %bb.25:                               ;   in Loop: Header=BB34_2 Depth=1
	s_waitcnt lgkmcnt(0)
	v_lshlrev_b32_e32 v86, 2, v85
	ds_read_b32 v87, v86 offset:4
	v_mov_b32_e32 v86, v82
.LBB34_26:                              ;   in Loop: Header=BB34_2 Depth=1
	s_or_b64 exec, exec, s[20:21]
	v_add_u32_e32 v88, 1, v84
	v_cndmask_b32_e64 v82, v82, v83, s[18:19]
	v_add_u32_e32 v83, 1, v85
	v_cndmask_b32_e64 v84, v88, v84, s[18:19]
	v_cndmask_b32_e64 v83, v85, v83, s[18:19]
	v_cmp_ge_i32_e64 s[18:19], v84, v3
	s_waitcnt lgkmcnt(0)
	v_cmp_lt_i32_e64 s[20:21], v87, v86
	v_cndmask_b32_e64 v80, v80, v81, s[16:17]
	v_cmp_lt_i32_e64 s[16:17], v83, v4
	s_or_b64 s[18:19], s[18:19], s[20:21]
	s_and_b64 s[16:17], s[16:17], s[18:19]
	v_cndmask_b32_e64 v81, v86, v87, s[16:17]
	s_barrier
	ds_write2_b32 v69, v80, v82 offset1:1
	ds_write_b32 v69, v81 offset:8
	v_mov_b32_e32 v82, v30
	s_waitcnt lgkmcnt(0)
	s_barrier
	s_and_saveexec_b64 s[18:19], s[2:3]
	s_cbranch_execz .LBB34_30
; %bb.27:                               ;   in Loop: Header=BB34_2 Depth=1
	s_mov_b64 s[20:21], 0
	v_mov_b32_e32 v82, v30
	v_mov_b32_e32 v80, v31
.LBB34_28:                              ;   Parent Loop BB34_2 Depth=1
                                        ; =>  This Inner Loop Header: Depth=2
	v_sub_u32_e32 v81, v80, v82
	v_lshrrev_b32_e32 v81, 1, v81
	v_add_u32_e32 v81, v81, v82
	v_not_b32_e32 v84, v81
	v_lshl_add_u32 v83, v81, 2, v72
	v_lshl_add_u32 v84, v84, 2, v32
	ds_read_b32 v83, v83
	ds_read_b32 v84, v84 offset:48
	v_add_u32_e32 v85, 1, v81
	s_waitcnt lgkmcnt(0)
	v_cmp_lt_i32_e64 s[16:17], v84, v83
	v_cndmask_b32_e64 v80, v80, v81, s[16:17]
	v_cndmask_b32_e64 v82, v85, v82, s[16:17]
	v_cmp_ge_i32_e64 s[16:17], v82, v80
	s_or_b64 s[20:21], s[16:17], s[20:21]
	s_andn2_b64 exec, exec, s[20:21]
	s_cbranch_execnz .LBB34_28
; %bb.29:                               ;   in Loop: Header=BB34_2 Depth=1
	s_or_b64 exec, exec, s[20:21]
.LBB34_30:                              ;   in Loop: Header=BB34_2 Depth=1
	s_or_b64 exec, exec, s[18:19]
	v_lshl_add_u32 v83, v82, 2, v72
	v_sub_u32_e32 v80, v33, v82
	v_lshlrev_b32_e32 v86, 2, v80
	ds_read_b32 v80, v83
	ds_read_b32 v81, v86 offset:48
	v_add_u32_e32 v84, v82, v29
	v_sub_u32_e32 v85, v34, v82
	v_cmp_le_i32_e64 s[18:19], v6, v84
	v_cmp_gt_i32_e64 s[16:17], v5, v85
	s_waitcnt lgkmcnt(0)
	v_cmp_lt_i32_e64 s[20:21], v81, v80
	s_or_b64 s[18:19], s[18:19], s[20:21]
	s_and_b64 s[16:17], s[16:17], s[18:19]
	s_xor_b64 s[18:19], s[16:17], -1
                                        ; implicit-def: $vgpr82
	s_and_saveexec_b64 s[20:21], s[18:19]
	s_xor_b64 s[18:19], exec, s[20:21]
; %bb.31:                               ;   in Loop: Header=BB34_2 Depth=1
	ds_read_b32 v82, v83 offset:4
                                        ; implicit-def: $vgpr86
; %bb.32:                               ;   in Loop: Header=BB34_2 Depth=1
	s_or_saveexec_b64 s[18:19], s[18:19]
	v_mov_b32_e32 v83, v81
	s_xor_b64 exec, exec, s[18:19]
	s_cbranch_execz .LBB34_34
; %bb.33:                               ;   in Loop: Header=BB34_2 Depth=1
	ds_read_b32 v83, v86 offset:52
	s_waitcnt lgkmcnt(1)
	v_mov_b32_e32 v82, v80
.LBB34_34:                              ;   in Loop: Header=BB34_2 Depth=1
	s_or_b64 exec, exec, s[18:19]
	v_add_u32_e32 v87, 1, v84
	v_add_u32_e32 v86, 1, v85
	v_cndmask_b32_e64 v84, v87, v84, s[16:17]
	v_cndmask_b32_e64 v85, v85, v86, s[16:17]
	v_cmp_ge_i32_e64 s[20:21], v84, v6
	s_waitcnt lgkmcnt(0)
	v_cmp_lt_i32_e64 s[22:23], v83, v82
	v_cmp_lt_i32_e64 s[18:19], v85, v5
	s_or_b64 s[20:21], s[20:21], s[22:23]
	s_and_b64 s[18:19], s[18:19], s[20:21]
	s_xor_b64 s[20:21], s[18:19], -1
                                        ; implicit-def: $vgpr86
	s_and_saveexec_b64 s[22:23], s[20:21]
	s_xor_b64 s[20:21], exec, s[22:23]
; %bb.35:                               ;   in Loop: Header=BB34_2 Depth=1
	v_lshlrev_b32_e32 v86, 2, v84
	ds_read_b32 v86, v86 offset:4
; %bb.36:                               ;   in Loop: Header=BB34_2 Depth=1
	s_or_saveexec_b64 s[20:21], s[20:21]
	v_mov_b32_e32 v87, v83
	s_xor_b64 exec, exec, s[20:21]
	s_cbranch_execz .LBB34_38
; %bb.37:                               ;   in Loop: Header=BB34_2 Depth=1
	s_waitcnt lgkmcnt(0)
	v_lshlrev_b32_e32 v86, 2, v85
	ds_read_b32 v87, v86 offset:4
	v_mov_b32_e32 v86, v82
.LBB34_38:                              ;   in Loop: Header=BB34_2 Depth=1
	s_or_b64 exec, exec, s[20:21]
	v_add_u32_e32 v88, 1, v84
	v_cndmask_b32_e64 v82, v82, v83, s[18:19]
	v_add_u32_e32 v83, 1, v85
	v_cndmask_b32_e64 v84, v88, v84, s[18:19]
	v_cndmask_b32_e64 v83, v85, v83, s[18:19]
	v_cmp_ge_i32_e64 s[18:19], v84, v6
	s_waitcnt lgkmcnt(0)
	v_cmp_lt_i32_e64 s[20:21], v87, v86
	v_cndmask_b32_e64 v80, v80, v81, s[16:17]
	v_cmp_lt_i32_e64 s[16:17], v83, v5
	s_or_b64 s[18:19], s[18:19], s[20:21]
	s_and_b64 s[16:17], s[16:17], s[18:19]
	v_cndmask_b32_e64 v81, v86, v87, s[16:17]
	s_barrier
	ds_write2_b32 v69, v80, v82 offset1:1
	ds_write_b32 v69, v81 offset:8
	v_mov_b32_e32 v82, v36
	s_waitcnt lgkmcnt(0)
	s_barrier
	s_and_saveexec_b64 s[18:19], s[4:5]
	s_cbranch_execz .LBB34_42
; %bb.39:                               ;   in Loop: Header=BB34_2 Depth=1
	s_mov_b64 s[20:21], 0
	v_mov_b32_e32 v82, v36
	v_mov_b32_e32 v80, v37
.LBB34_40:                              ;   Parent Loop BB34_2 Depth=1
                                        ; =>  This Inner Loop Header: Depth=2
	v_sub_u32_e32 v81, v80, v82
	v_lshrrev_b32_e32 v81, 1, v81
	v_add_u32_e32 v81, v81, v82
	v_not_b32_e32 v84, v81
	v_lshl_add_u32 v83, v81, 2, v73
	v_lshl_add_u32 v84, v84, 2, v38
	ds_read_b32 v83, v83
	ds_read_b32 v84, v84 offset:96
	v_add_u32_e32 v85, 1, v81
	s_waitcnt lgkmcnt(0)
	v_cmp_lt_i32_e64 s[16:17], v84, v83
	v_cndmask_b32_e64 v80, v80, v81, s[16:17]
	v_cndmask_b32_e64 v82, v85, v82, s[16:17]
	v_cmp_ge_i32_e64 s[16:17], v82, v80
	s_or_b64 s[20:21], s[16:17], s[20:21]
	s_andn2_b64 exec, exec, s[20:21]
	s_cbranch_execnz .LBB34_40
; %bb.41:                               ;   in Loop: Header=BB34_2 Depth=1
	s_or_b64 exec, exec, s[20:21]
.LBB34_42:                              ;   in Loop: Header=BB34_2 Depth=1
	s_or_b64 exec, exec, s[18:19]
	v_lshl_add_u32 v83, v82, 2, v73
	v_sub_u32_e32 v80, v39, v82
	v_lshlrev_b32_e32 v86, 2, v80
	ds_read_b32 v80, v83
	ds_read_b32 v81, v86 offset:96
	v_add_u32_e32 v84, v82, v35
	v_sub_u32_e32 v85, v40, v82
	v_cmp_le_i32_e64 s[18:19], v8, v84
	v_cmp_gt_i32_e64 s[16:17], v7, v85
	s_waitcnt lgkmcnt(0)
	v_cmp_lt_i32_e64 s[20:21], v81, v80
	s_or_b64 s[18:19], s[18:19], s[20:21]
	s_and_b64 s[16:17], s[16:17], s[18:19]
	s_xor_b64 s[18:19], s[16:17], -1
                                        ; implicit-def: $vgpr82
	s_and_saveexec_b64 s[20:21], s[18:19]
	s_xor_b64 s[18:19], exec, s[20:21]
; %bb.43:                               ;   in Loop: Header=BB34_2 Depth=1
	ds_read_b32 v82, v83 offset:4
                                        ; implicit-def: $vgpr86
; %bb.44:                               ;   in Loop: Header=BB34_2 Depth=1
	s_or_saveexec_b64 s[18:19], s[18:19]
	v_mov_b32_e32 v83, v81
	s_xor_b64 exec, exec, s[18:19]
	s_cbranch_execz .LBB34_46
; %bb.45:                               ;   in Loop: Header=BB34_2 Depth=1
	ds_read_b32 v83, v86 offset:100
	s_waitcnt lgkmcnt(1)
	v_mov_b32_e32 v82, v80
.LBB34_46:                              ;   in Loop: Header=BB34_2 Depth=1
	s_or_b64 exec, exec, s[18:19]
	v_add_u32_e32 v87, 1, v84
	v_add_u32_e32 v86, 1, v85
	v_cndmask_b32_e64 v84, v87, v84, s[16:17]
	v_cndmask_b32_e64 v85, v85, v86, s[16:17]
	v_cmp_ge_i32_e64 s[20:21], v84, v8
	s_waitcnt lgkmcnt(0)
	v_cmp_lt_i32_e64 s[22:23], v83, v82
	v_cmp_lt_i32_e64 s[18:19], v85, v7
	s_or_b64 s[20:21], s[20:21], s[22:23]
	s_and_b64 s[18:19], s[18:19], s[20:21]
	s_xor_b64 s[20:21], s[18:19], -1
                                        ; implicit-def: $vgpr86
	s_and_saveexec_b64 s[22:23], s[20:21]
	s_xor_b64 s[20:21], exec, s[22:23]
; %bb.47:                               ;   in Loop: Header=BB34_2 Depth=1
	v_lshlrev_b32_e32 v86, 2, v84
	ds_read_b32 v86, v86 offset:4
; %bb.48:                               ;   in Loop: Header=BB34_2 Depth=1
	s_or_saveexec_b64 s[20:21], s[20:21]
	v_mov_b32_e32 v87, v83
	s_xor_b64 exec, exec, s[20:21]
	s_cbranch_execz .LBB34_50
; %bb.49:                               ;   in Loop: Header=BB34_2 Depth=1
	s_waitcnt lgkmcnt(0)
	v_lshlrev_b32_e32 v86, 2, v85
	ds_read_b32 v87, v86 offset:4
	v_mov_b32_e32 v86, v82
.LBB34_50:                              ;   in Loop: Header=BB34_2 Depth=1
	s_or_b64 exec, exec, s[20:21]
	v_add_u32_e32 v88, 1, v84
	v_cndmask_b32_e64 v82, v82, v83, s[18:19]
	v_add_u32_e32 v83, 1, v85
	v_cndmask_b32_e64 v84, v88, v84, s[18:19]
	v_cndmask_b32_e64 v83, v85, v83, s[18:19]
	v_cmp_ge_i32_e64 s[18:19], v84, v8
	s_waitcnt lgkmcnt(0)
	v_cmp_lt_i32_e64 s[20:21], v87, v86
	v_cndmask_b32_e64 v80, v80, v81, s[16:17]
	v_cmp_lt_i32_e64 s[16:17], v83, v7
	s_or_b64 s[18:19], s[18:19], s[20:21]
	s_and_b64 s[16:17], s[16:17], s[18:19]
	v_cndmask_b32_e64 v81, v86, v87, s[16:17]
	s_barrier
	ds_write2_b32 v69, v80, v82 offset1:1
	ds_write_b32 v69, v81 offset:8
	v_mov_b32_e32 v82, v42
	s_waitcnt lgkmcnt(0)
	s_barrier
	s_and_saveexec_b64 s[18:19], s[6:7]
	s_cbranch_execz .LBB34_54
; %bb.51:                               ;   in Loop: Header=BB34_2 Depth=1
	s_mov_b64 s[20:21], 0
	v_mov_b32_e32 v82, v42
	v_mov_b32_e32 v80, v43
.LBB34_52:                              ;   Parent Loop BB34_2 Depth=1
                                        ; =>  This Inner Loop Header: Depth=2
	v_sub_u32_e32 v81, v80, v82
	v_lshrrev_b32_e32 v81, 1, v81
	v_add_u32_e32 v81, v81, v82
	v_not_b32_e32 v84, v81
	v_lshl_add_u32 v83, v81, 2, v74
	v_lshl_add_u32 v84, v84, 2, v44
	ds_read_b32 v83, v83
	ds_read_b32 v84, v84 offset:192
	v_add_u32_e32 v85, 1, v81
	s_waitcnt lgkmcnt(0)
	v_cmp_lt_i32_e64 s[16:17], v84, v83
	v_cndmask_b32_e64 v80, v80, v81, s[16:17]
	v_cndmask_b32_e64 v82, v85, v82, s[16:17]
	v_cmp_ge_i32_e64 s[16:17], v82, v80
	s_or_b64 s[20:21], s[16:17], s[20:21]
	s_andn2_b64 exec, exec, s[20:21]
	s_cbranch_execnz .LBB34_52
; %bb.53:                               ;   in Loop: Header=BB34_2 Depth=1
	s_or_b64 exec, exec, s[20:21]
.LBB34_54:                              ;   in Loop: Header=BB34_2 Depth=1
	s_or_b64 exec, exec, s[18:19]
	v_lshl_add_u32 v83, v82, 2, v74
	v_sub_u32_e32 v80, v45, v82
	v_lshlrev_b32_e32 v86, 2, v80
	ds_read_b32 v80, v83
	ds_read_b32 v81, v86 offset:192
	v_add_u32_e32 v84, v82, v41
	v_sub_u32_e32 v85, v46, v82
	v_cmp_le_i32_e64 s[18:19], v10, v84
	v_cmp_gt_i32_e64 s[16:17], v9, v85
	s_waitcnt lgkmcnt(0)
	v_cmp_lt_i32_e64 s[20:21], v81, v80
	s_or_b64 s[18:19], s[18:19], s[20:21]
	s_and_b64 s[16:17], s[16:17], s[18:19]
	s_xor_b64 s[18:19], s[16:17], -1
                                        ; implicit-def: $vgpr82
	s_and_saveexec_b64 s[20:21], s[18:19]
	s_xor_b64 s[18:19], exec, s[20:21]
; %bb.55:                               ;   in Loop: Header=BB34_2 Depth=1
	ds_read_b32 v82, v83 offset:4
                                        ; implicit-def: $vgpr86
; %bb.56:                               ;   in Loop: Header=BB34_2 Depth=1
	s_or_saveexec_b64 s[18:19], s[18:19]
	v_mov_b32_e32 v83, v81
	s_xor_b64 exec, exec, s[18:19]
	s_cbranch_execz .LBB34_58
; %bb.57:                               ;   in Loop: Header=BB34_2 Depth=1
	ds_read_b32 v83, v86 offset:196
	s_waitcnt lgkmcnt(1)
	v_mov_b32_e32 v82, v80
.LBB34_58:                              ;   in Loop: Header=BB34_2 Depth=1
	s_or_b64 exec, exec, s[18:19]
	v_add_u32_e32 v87, 1, v84
	v_add_u32_e32 v86, 1, v85
	v_cndmask_b32_e64 v84, v87, v84, s[16:17]
	v_cndmask_b32_e64 v85, v85, v86, s[16:17]
	v_cmp_ge_i32_e64 s[20:21], v84, v10
	s_waitcnt lgkmcnt(0)
	v_cmp_lt_i32_e64 s[22:23], v83, v82
	v_cmp_lt_i32_e64 s[18:19], v85, v9
	s_or_b64 s[20:21], s[20:21], s[22:23]
	s_and_b64 s[18:19], s[18:19], s[20:21]
	s_xor_b64 s[20:21], s[18:19], -1
                                        ; implicit-def: $vgpr86
	s_and_saveexec_b64 s[22:23], s[20:21]
	s_xor_b64 s[20:21], exec, s[22:23]
; %bb.59:                               ;   in Loop: Header=BB34_2 Depth=1
	v_lshlrev_b32_e32 v86, 2, v84
	ds_read_b32 v86, v86 offset:4
; %bb.60:                               ;   in Loop: Header=BB34_2 Depth=1
	s_or_saveexec_b64 s[20:21], s[20:21]
	v_mov_b32_e32 v87, v83
	s_xor_b64 exec, exec, s[20:21]
	s_cbranch_execz .LBB34_62
; %bb.61:                               ;   in Loop: Header=BB34_2 Depth=1
	s_waitcnt lgkmcnt(0)
	v_lshlrev_b32_e32 v86, 2, v85
	ds_read_b32 v87, v86 offset:4
	v_mov_b32_e32 v86, v82
.LBB34_62:                              ;   in Loop: Header=BB34_2 Depth=1
	s_or_b64 exec, exec, s[20:21]
	v_add_u32_e32 v88, 1, v84
	v_cndmask_b32_e64 v82, v82, v83, s[18:19]
	v_add_u32_e32 v83, 1, v85
	v_cndmask_b32_e64 v84, v88, v84, s[18:19]
	v_cndmask_b32_e64 v83, v85, v83, s[18:19]
	v_cmp_ge_i32_e64 s[18:19], v84, v10
	s_waitcnt lgkmcnt(0)
	v_cmp_lt_i32_e64 s[20:21], v87, v86
	v_cndmask_b32_e64 v80, v80, v81, s[16:17]
	v_cmp_lt_i32_e64 s[16:17], v83, v9
	s_or_b64 s[18:19], s[18:19], s[20:21]
	s_and_b64 s[16:17], s[16:17], s[18:19]
	v_cndmask_b32_e64 v81, v86, v87, s[16:17]
	s_barrier
	ds_write2_b32 v69, v80, v82 offset1:1
	ds_write_b32 v69, v81 offset:8
	v_mov_b32_e32 v82, v48
	s_waitcnt lgkmcnt(0)
	s_barrier
	s_and_saveexec_b64 s[18:19], s[8:9]
	s_cbranch_execz .LBB34_66
; %bb.63:                               ;   in Loop: Header=BB34_2 Depth=1
	s_mov_b64 s[20:21], 0
	v_mov_b32_e32 v82, v48
	v_mov_b32_e32 v80, v49
.LBB34_64:                              ;   Parent Loop BB34_2 Depth=1
                                        ; =>  This Inner Loop Header: Depth=2
	v_sub_u32_e32 v81, v80, v82
	v_lshrrev_b32_e32 v81, 1, v81
	v_add_u32_e32 v81, v81, v82
	v_not_b32_e32 v84, v81
	v_lshl_add_u32 v83, v81, 2, v75
	v_lshl_add_u32 v84, v84, 2, v50
	ds_read_b32 v83, v83
	ds_read_b32 v84, v84 offset:384
	v_add_u32_e32 v85, 1, v81
	s_waitcnt lgkmcnt(0)
	v_cmp_lt_i32_e64 s[16:17], v84, v83
	v_cndmask_b32_e64 v80, v80, v81, s[16:17]
	v_cndmask_b32_e64 v82, v85, v82, s[16:17]
	v_cmp_ge_i32_e64 s[16:17], v82, v80
	s_or_b64 s[20:21], s[16:17], s[20:21]
	s_andn2_b64 exec, exec, s[20:21]
	s_cbranch_execnz .LBB34_64
; %bb.65:                               ;   in Loop: Header=BB34_2 Depth=1
	s_or_b64 exec, exec, s[20:21]
.LBB34_66:                              ;   in Loop: Header=BB34_2 Depth=1
	s_or_b64 exec, exec, s[18:19]
	v_lshl_add_u32 v83, v82, 2, v75
	v_sub_u32_e32 v80, v51, v82
	v_lshlrev_b32_e32 v86, 2, v80
	ds_read_b32 v80, v83
	ds_read_b32 v81, v86 offset:384
	v_add_u32_e32 v84, v82, v47
	v_sub_u32_e32 v85, v52, v82
	v_cmp_le_i32_e64 s[18:19], v12, v84
	v_cmp_gt_i32_e64 s[16:17], v11, v85
	s_waitcnt lgkmcnt(0)
	v_cmp_lt_i32_e64 s[20:21], v81, v80
	s_or_b64 s[18:19], s[18:19], s[20:21]
	s_and_b64 s[16:17], s[16:17], s[18:19]
	s_xor_b64 s[18:19], s[16:17], -1
                                        ; implicit-def: $vgpr82
	s_and_saveexec_b64 s[20:21], s[18:19]
	s_xor_b64 s[18:19], exec, s[20:21]
; %bb.67:                               ;   in Loop: Header=BB34_2 Depth=1
	ds_read_b32 v82, v83 offset:4
                                        ; implicit-def: $vgpr86
; %bb.68:                               ;   in Loop: Header=BB34_2 Depth=1
	s_or_saveexec_b64 s[18:19], s[18:19]
	v_mov_b32_e32 v83, v81
	s_xor_b64 exec, exec, s[18:19]
	s_cbranch_execz .LBB34_70
; %bb.69:                               ;   in Loop: Header=BB34_2 Depth=1
	ds_read_b32 v83, v86 offset:388
	s_waitcnt lgkmcnt(1)
	v_mov_b32_e32 v82, v80
.LBB34_70:                              ;   in Loop: Header=BB34_2 Depth=1
	s_or_b64 exec, exec, s[18:19]
	v_add_u32_e32 v87, 1, v84
	v_add_u32_e32 v86, 1, v85
	v_cndmask_b32_e64 v84, v87, v84, s[16:17]
	v_cndmask_b32_e64 v85, v85, v86, s[16:17]
	v_cmp_ge_i32_e64 s[20:21], v84, v12
	s_waitcnt lgkmcnt(0)
	v_cmp_lt_i32_e64 s[22:23], v83, v82
	v_cmp_lt_i32_e64 s[18:19], v85, v11
	s_or_b64 s[20:21], s[20:21], s[22:23]
	s_and_b64 s[18:19], s[18:19], s[20:21]
	s_xor_b64 s[20:21], s[18:19], -1
                                        ; implicit-def: $vgpr86
	s_and_saveexec_b64 s[22:23], s[20:21]
	s_xor_b64 s[20:21], exec, s[22:23]
; %bb.71:                               ;   in Loop: Header=BB34_2 Depth=1
	v_lshlrev_b32_e32 v86, 2, v84
	ds_read_b32 v86, v86 offset:4
; %bb.72:                               ;   in Loop: Header=BB34_2 Depth=1
	s_or_saveexec_b64 s[20:21], s[20:21]
	v_mov_b32_e32 v87, v83
	s_xor_b64 exec, exec, s[20:21]
	s_cbranch_execz .LBB34_74
; %bb.73:                               ;   in Loop: Header=BB34_2 Depth=1
	s_waitcnt lgkmcnt(0)
	v_lshlrev_b32_e32 v86, 2, v85
	ds_read_b32 v87, v86 offset:4
	v_mov_b32_e32 v86, v82
.LBB34_74:                              ;   in Loop: Header=BB34_2 Depth=1
	s_or_b64 exec, exec, s[20:21]
	v_add_u32_e32 v88, 1, v84
	v_cndmask_b32_e64 v82, v82, v83, s[18:19]
	v_add_u32_e32 v83, 1, v85
	v_cndmask_b32_e64 v84, v88, v84, s[18:19]
	v_cndmask_b32_e64 v83, v85, v83, s[18:19]
	v_cmp_ge_i32_e64 s[18:19], v84, v12
	s_waitcnt lgkmcnt(0)
	v_cmp_lt_i32_e64 s[20:21], v87, v86
	v_cndmask_b32_e64 v80, v80, v81, s[16:17]
	v_cmp_lt_i32_e64 s[16:17], v83, v11
	s_or_b64 s[18:19], s[18:19], s[20:21]
	s_and_b64 s[16:17], s[16:17], s[18:19]
	v_cndmask_b32_e64 v81, v86, v87, s[16:17]
	s_barrier
	ds_write2_b32 v69, v80, v82 offset1:1
	ds_write_b32 v69, v81 offset:8
	v_mov_b32_e32 v82, v54
	s_waitcnt lgkmcnt(0)
	s_barrier
	s_and_saveexec_b64 s[18:19], s[10:11]
	s_cbranch_execz .LBB34_78
; %bb.75:                               ;   in Loop: Header=BB34_2 Depth=1
	s_mov_b64 s[20:21], 0
	v_mov_b32_e32 v82, v54
	v_mov_b32_e32 v80, v55
.LBB34_76:                              ;   Parent Loop BB34_2 Depth=1
                                        ; =>  This Inner Loop Header: Depth=2
	v_sub_u32_e32 v81, v80, v82
	v_lshrrev_b32_e32 v81, 1, v81
	v_add_u32_e32 v81, v81, v82
	v_not_b32_e32 v84, v81
	v_lshl_add_u32 v83, v81, 2, v76
	v_lshl_add_u32 v84, v84, 2, v56
	ds_read_b32 v83, v83
	ds_read_b32 v84, v84 offset:768
	v_add_u32_e32 v85, 1, v81
	s_waitcnt lgkmcnt(0)
	v_cmp_lt_i32_e64 s[16:17], v84, v83
	v_cndmask_b32_e64 v80, v80, v81, s[16:17]
	v_cndmask_b32_e64 v82, v85, v82, s[16:17]
	v_cmp_ge_i32_e64 s[16:17], v82, v80
	s_or_b64 s[20:21], s[16:17], s[20:21]
	s_andn2_b64 exec, exec, s[20:21]
	s_cbranch_execnz .LBB34_76
; %bb.77:                               ;   in Loop: Header=BB34_2 Depth=1
	s_or_b64 exec, exec, s[20:21]
.LBB34_78:                              ;   in Loop: Header=BB34_2 Depth=1
	s_or_b64 exec, exec, s[18:19]
	v_lshl_add_u32 v83, v82, 2, v76
	v_sub_u32_e32 v80, v57, v82
	v_lshlrev_b32_e32 v86, 2, v80
	ds_read_b32 v80, v83
	ds_read_b32 v81, v86 offset:768
	v_add_u32_e32 v84, v82, v53
	v_sub_u32_e32 v85, v58, v82
	v_cmp_le_i32_e64 s[18:19], v14, v84
	v_cmp_gt_i32_e64 s[16:17], v13, v85
	s_waitcnt lgkmcnt(0)
	v_cmp_lt_i32_e64 s[20:21], v81, v80
	s_or_b64 s[18:19], s[18:19], s[20:21]
	s_and_b64 s[16:17], s[16:17], s[18:19]
	s_xor_b64 s[18:19], s[16:17], -1
                                        ; implicit-def: $vgpr82
	s_and_saveexec_b64 s[20:21], s[18:19]
	s_xor_b64 s[18:19], exec, s[20:21]
; %bb.79:                               ;   in Loop: Header=BB34_2 Depth=1
	ds_read_b32 v82, v83 offset:4
                                        ; implicit-def: $vgpr86
; %bb.80:                               ;   in Loop: Header=BB34_2 Depth=1
	s_or_saveexec_b64 s[18:19], s[18:19]
	v_mov_b32_e32 v83, v81
	s_xor_b64 exec, exec, s[18:19]
	s_cbranch_execz .LBB34_82
; %bb.81:                               ;   in Loop: Header=BB34_2 Depth=1
	ds_read_b32 v83, v86 offset:772
	s_waitcnt lgkmcnt(1)
	v_mov_b32_e32 v82, v80
.LBB34_82:                              ;   in Loop: Header=BB34_2 Depth=1
	s_or_b64 exec, exec, s[18:19]
	v_add_u32_e32 v87, 1, v84
	v_add_u32_e32 v86, 1, v85
	v_cndmask_b32_e64 v84, v87, v84, s[16:17]
	v_cndmask_b32_e64 v85, v85, v86, s[16:17]
	v_cmp_ge_i32_e64 s[20:21], v84, v14
	s_waitcnt lgkmcnt(0)
	v_cmp_lt_i32_e64 s[22:23], v83, v82
	v_cmp_lt_i32_e64 s[18:19], v85, v13
	s_or_b64 s[20:21], s[20:21], s[22:23]
	s_and_b64 s[18:19], s[18:19], s[20:21]
	s_xor_b64 s[20:21], s[18:19], -1
                                        ; implicit-def: $vgpr86
	s_and_saveexec_b64 s[22:23], s[20:21]
	s_xor_b64 s[20:21], exec, s[22:23]
; %bb.83:                               ;   in Loop: Header=BB34_2 Depth=1
	v_lshlrev_b32_e32 v86, 2, v84
	ds_read_b32 v86, v86 offset:4
; %bb.84:                               ;   in Loop: Header=BB34_2 Depth=1
	s_or_saveexec_b64 s[20:21], s[20:21]
	v_mov_b32_e32 v87, v83
	s_xor_b64 exec, exec, s[20:21]
	s_cbranch_execz .LBB34_86
; %bb.85:                               ;   in Loop: Header=BB34_2 Depth=1
	s_waitcnt lgkmcnt(0)
	v_lshlrev_b32_e32 v86, 2, v85
	ds_read_b32 v87, v86 offset:4
	v_mov_b32_e32 v86, v82
.LBB34_86:                              ;   in Loop: Header=BB34_2 Depth=1
	s_or_b64 exec, exec, s[20:21]
	v_add_u32_e32 v88, 1, v84
	v_cndmask_b32_e64 v82, v82, v83, s[18:19]
	v_add_u32_e32 v83, 1, v85
	v_cndmask_b32_e64 v84, v88, v84, s[18:19]
	v_cndmask_b32_e64 v83, v85, v83, s[18:19]
	v_cmp_ge_i32_e64 s[18:19], v84, v14
	s_waitcnt lgkmcnt(0)
	v_cmp_lt_i32_e64 s[20:21], v87, v86
	v_cndmask_b32_e64 v80, v80, v81, s[16:17]
	v_cmp_lt_i32_e64 s[16:17], v83, v13
	s_or_b64 s[18:19], s[18:19], s[20:21]
	s_and_b64 s[16:17], s[16:17], s[18:19]
	v_cndmask_b32_e64 v81, v86, v87, s[16:17]
	s_barrier
	ds_write2_b32 v69, v80, v82 offset1:1
	ds_write_b32 v69, v81 offset:8
	v_mov_b32_e32 v82, v60
	s_waitcnt lgkmcnt(0)
	s_barrier
	s_and_saveexec_b64 s[18:19], s[12:13]
	s_cbranch_execz .LBB34_90
; %bb.87:                               ;   in Loop: Header=BB34_2 Depth=1
	s_mov_b64 s[20:21], 0
	v_mov_b32_e32 v82, v60
	v_mov_b32_e32 v80, v61
.LBB34_88:                              ;   Parent Loop BB34_2 Depth=1
                                        ; =>  This Inner Loop Header: Depth=2
	v_sub_u32_e32 v81, v80, v82
	v_lshrrev_b32_e32 v81, 1, v81
	v_add_u32_e32 v81, v81, v82
	v_not_b32_e32 v84, v81
	v_lshl_add_u32 v83, v81, 2, v77
	v_lshl_add_u32 v84, v84, 2, v62
	ds_read_b32 v83, v83
	ds_read_b32 v84, v84 offset:1536
	v_add_u32_e32 v85, 1, v81
	s_waitcnt lgkmcnt(0)
	v_cmp_lt_i32_e64 s[16:17], v84, v83
	v_cndmask_b32_e64 v80, v80, v81, s[16:17]
	v_cndmask_b32_e64 v82, v85, v82, s[16:17]
	v_cmp_ge_i32_e64 s[16:17], v82, v80
	s_or_b64 s[20:21], s[16:17], s[20:21]
	s_andn2_b64 exec, exec, s[20:21]
	s_cbranch_execnz .LBB34_88
; %bb.89:                               ;   in Loop: Header=BB34_2 Depth=1
	s_or_b64 exec, exec, s[20:21]
.LBB34_90:                              ;   in Loop: Header=BB34_2 Depth=1
	s_or_b64 exec, exec, s[18:19]
	v_lshl_add_u32 v83, v82, 2, v77
	v_sub_u32_e32 v80, v63, v82
	v_lshlrev_b32_e32 v86, 2, v80
	ds_read_b32 v80, v83
	ds_read_b32 v81, v86 offset:1536
	v_add_u32_e32 v84, v82, v59
	v_sub_u32_e32 v85, v64, v82
	v_cmp_le_i32_e64 s[18:19], v16, v84
	v_cmp_gt_i32_e64 s[16:17], v15, v85
	s_waitcnt lgkmcnt(0)
	v_cmp_lt_i32_e64 s[20:21], v81, v80
	s_or_b64 s[18:19], s[18:19], s[20:21]
	s_and_b64 s[16:17], s[16:17], s[18:19]
	s_xor_b64 s[18:19], s[16:17], -1
                                        ; implicit-def: $vgpr82
	s_and_saveexec_b64 s[20:21], s[18:19]
	s_xor_b64 s[18:19], exec, s[20:21]
; %bb.91:                               ;   in Loop: Header=BB34_2 Depth=1
	ds_read_b32 v82, v83 offset:4
                                        ; implicit-def: $vgpr86
; %bb.92:                               ;   in Loop: Header=BB34_2 Depth=1
	s_or_saveexec_b64 s[18:19], s[18:19]
	v_mov_b32_e32 v83, v81
	s_xor_b64 exec, exec, s[18:19]
	s_cbranch_execz .LBB34_94
; %bb.93:                               ;   in Loop: Header=BB34_2 Depth=1
	ds_read_b32 v83, v86 offset:1540
	s_waitcnt lgkmcnt(1)
	v_mov_b32_e32 v82, v80
.LBB34_94:                              ;   in Loop: Header=BB34_2 Depth=1
	s_or_b64 exec, exec, s[18:19]
	v_add_u32_e32 v87, 1, v84
	v_add_u32_e32 v86, 1, v85
	v_cndmask_b32_e64 v84, v87, v84, s[16:17]
	v_cndmask_b32_e64 v85, v85, v86, s[16:17]
	v_cmp_ge_i32_e64 s[20:21], v84, v16
	s_waitcnt lgkmcnt(0)
	v_cmp_lt_i32_e64 s[22:23], v83, v82
	v_cmp_lt_i32_e64 s[18:19], v85, v15
	s_or_b64 s[20:21], s[20:21], s[22:23]
	s_and_b64 s[18:19], s[18:19], s[20:21]
	s_xor_b64 s[20:21], s[18:19], -1
                                        ; implicit-def: $vgpr86
	s_and_saveexec_b64 s[22:23], s[20:21]
	s_xor_b64 s[20:21], exec, s[22:23]
; %bb.95:                               ;   in Loop: Header=BB34_2 Depth=1
	v_lshlrev_b32_e32 v86, 2, v84
	ds_read_b32 v86, v86 offset:4
; %bb.96:                               ;   in Loop: Header=BB34_2 Depth=1
	s_or_saveexec_b64 s[20:21], s[20:21]
	v_mov_b32_e32 v87, v83
	s_xor_b64 exec, exec, s[20:21]
	s_cbranch_execz .LBB34_98
; %bb.97:                               ;   in Loop: Header=BB34_2 Depth=1
	s_waitcnt lgkmcnt(0)
	v_lshlrev_b32_e32 v86, 2, v85
	ds_read_b32 v87, v86 offset:4
	v_mov_b32_e32 v86, v82
.LBB34_98:                              ;   in Loop: Header=BB34_2 Depth=1
	s_or_b64 exec, exec, s[20:21]
	v_add_u32_e32 v88, 1, v84
	v_cndmask_b32_e64 v82, v82, v83, s[18:19]
	v_add_u32_e32 v83, 1, v85
	v_cndmask_b32_e64 v84, v88, v84, s[18:19]
	v_cndmask_b32_e64 v83, v85, v83, s[18:19]
	v_cmp_ge_i32_e64 s[18:19], v84, v16
	s_waitcnt lgkmcnt(0)
	v_cmp_lt_i32_e64 s[20:21], v87, v86
	v_cndmask_b32_e64 v80, v80, v81, s[16:17]
	v_cmp_lt_i32_e64 s[16:17], v83, v15
	s_or_b64 s[18:19], s[18:19], s[20:21]
	s_and_b64 s[16:17], s[16:17], s[18:19]
	v_cndmask_b32_e64 v81, v86, v87, s[16:17]
	s_barrier
	ds_write2_b32 v69, v80, v82 offset1:1
	ds_write_b32 v69, v81 offset:8
	v_mov_b32_e32 v82, v67
	s_waitcnt lgkmcnt(0)
	s_barrier
	s_and_saveexec_b64 s[18:19], s[14:15]
	s_cbranch_execz .LBB34_102
; %bb.99:                               ;   in Loop: Header=BB34_2 Depth=1
	s_mov_b64 s[20:21], 0
	v_mov_b32_e32 v82, v67
	v_mov_b32_e32 v80, v68
.LBB34_100:                             ;   Parent Loop BB34_2 Depth=1
                                        ; =>  This Inner Loop Header: Depth=2
	v_sub_u32_e32 v81, v80, v82
	v_lshrrev_b32_e32 v81, 1, v81
	v_add_u32_e32 v81, v81, v82
	v_not_b32_e32 v84, v81
	v_lshlrev_b32_e32 v83, 2, v81
	v_lshl_add_u32 v84, v84, 2, v79
	ds_read_b32 v83, v83
	ds_read_b32 v84, v84 offset:3072
	v_add_u32_e32 v85, 1, v81
	s_waitcnt lgkmcnt(0)
	v_cmp_lt_i32_e64 s[16:17], v84, v83
	v_cndmask_b32_e64 v80, v80, v81, s[16:17]
	v_cndmask_b32_e64 v82, v85, v82, s[16:17]
	v_cmp_ge_i32_e64 s[16:17], v82, v80
	s_or_b64 s[20:21], s[16:17], s[20:21]
	s_andn2_b64 exec, exec, s[20:21]
	s_cbranch_execnz .LBB34_100
; %bb.101:                              ;   in Loop: Header=BB34_2 Depth=1
	s_or_b64 exec, exec, s[20:21]
.LBB34_102:                             ;   in Loop: Header=BB34_2 Depth=1
	s_or_b64 exec, exec, s[18:19]
	v_lshlrev_b32_e32 v84, 2, v82
	v_sub_u32_e32 v80, v66, v82
	v_lshlrev_b32_e32 v86, 2, v80
	ds_read_b32 v80, v84
	ds_read_b32 v81, v86 offset:3072
	v_sub_u32_e32 v85, v78, v82
	v_cmp_le_i32_e64 s[18:19], v65, v82
	v_cmp_gt_i32_e64 s[16:17], s24, v85
                                        ; implicit-def: $vgpr83
	s_waitcnt lgkmcnt(0)
	v_cmp_lt_i32_e64 s[20:21], v81, v80
	s_or_b64 s[18:19], s[18:19], s[20:21]
	s_and_b64 s[16:17], s[16:17], s[18:19]
	s_xor_b64 s[18:19], s[16:17], -1
	s_and_saveexec_b64 s[20:21], s[18:19]
	s_xor_b64 s[18:19], exec, s[20:21]
; %bb.103:                              ;   in Loop: Header=BB34_2 Depth=1
	ds_read_b32 v83, v84 offset:4
                                        ; implicit-def: $vgpr86
; %bb.104:                              ;   in Loop: Header=BB34_2 Depth=1
	s_or_saveexec_b64 s[18:19], s[18:19]
	v_mov_b32_e32 v84, v81
	s_xor_b64 exec, exec, s[18:19]
	s_cbranch_execz .LBB34_106
; %bb.105:                              ;   in Loop: Header=BB34_2 Depth=1
	ds_read_b32 v84, v86 offset:3076
	s_waitcnt lgkmcnt(1)
	v_mov_b32_e32 v83, v80
.LBB34_106:                             ;   in Loop: Header=BB34_2 Depth=1
	s_or_b64 exec, exec, s[18:19]
	v_add_u32_e32 v87, 1, v82
	v_add_u32_e32 v86, 1, v85
	v_cndmask_b32_e64 v82, v87, v82, s[16:17]
	v_cndmask_b32_e64 v85, v85, v86, s[16:17]
	v_cmp_ge_i32_e64 s[20:21], v82, v65
	s_waitcnt lgkmcnt(0)
	v_cmp_lt_i32_e64 s[22:23], v84, v83
	v_cmp_gt_i32_e64 s[18:19], s24, v85
	s_or_b64 s[20:21], s[20:21], s[22:23]
	s_and_b64 s[18:19], s[18:19], s[20:21]
	s_xor_b64 s[20:21], s[18:19], -1
                                        ; implicit-def: $vgpr86
                                        ; implicit-def: $vgpr87
	s_and_saveexec_b64 s[22:23], s[20:21]
	s_xor_b64 s[20:21], exec, s[22:23]
; %bb.107:                              ;   in Loop: Header=BB34_2 Depth=1
	v_lshlrev_b32_e32 v86, 2, v82
	ds_read_b32 v86, v86 offset:4
	v_add_u32_e32 v87, 1, v82
                                        ; implicit-def: $vgpr82
; %bb.108:                              ;   in Loop: Header=BB34_2 Depth=1
	s_or_saveexec_b64 s[20:21], s[20:21]
	v_mov_b32_e32 v88, v84
	s_xor_b64 exec, exec, s[20:21]
	s_cbranch_execz .LBB34_1
; %bb.109:                              ;   in Loop: Header=BB34_2 Depth=1
	s_waitcnt lgkmcnt(0)
	v_lshlrev_b32_e32 v86, 2, v85
	ds_read_b32 v88, v86 offset:4
	v_add_u32_e32 v85, 1, v85
	v_mov_b32_e32 v87, v82
	v_mov_b32_e32 v86, v83
	s_branch .LBB34_1
.LBB34_110:
	s_add_u32 s0, s26, s30
	s_addc_u32 s1, s27, s31
	v_lshlrev_b32_e32 v0, 2, v0
	v_mov_b32_e32 v1, s1
	v_add_co_u32_e32 v2, vcc, s0, v0
	v_addc_co_u32_e32 v1, vcc, 0, v1, vcc
	global_store_dword v0, v81, s[0:1]
	global_store_dword v0, v82, s[0:1] offset:2048
	v_add_co_u32_e32 v0, vcc, 0x1000, v2
	v_addc_co_u32_e32 v1, vcc, 0, v1, vcc
	global_store_dword v[0:1], v80, off
	s_endpgm
	.section	.rodata,"a",@progbits
	.p2align	6, 0x0
	.amdhsa_kernel _Z16sort_keys_kernelIiLj512ELj3EN10test_utils4lessELj10EEvPKT_PS2_T2_
		.amdhsa_group_segment_fixed_size 6148
		.amdhsa_private_segment_fixed_size 0
		.amdhsa_kernarg_size 20
		.amdhsa_user_sgpr_count 6
		.amdhsa_user_sgpr_private_segment_buffer 1
		.amdhsa_user_sgpr_dispatch_ptr 0
		.amdhsa_user_sgpr_queue_ptr 0
		.amdhsa_user_sgpr_kernarg_segment_ptr 1
		.amdhsa_user_sgpr_dispatch_id 0
		.amdhsa_user_sgpr_flat_scratch_init 0
		.amdhsa_user_sgpr_private_segment_size 0
		.amdhsa_uses_dynamic_stack 0
		.amdhsa_system_sgpr_private_segment_wavefront_offset 0
		.amdhsa_system_sgpr_workgroup_id_x 1
		.amdhsa_system_sgpr_workgroup_id_y 0
		.amdhsa_system_sgpr_workgroup_id_z 0
		.amdhsa_system_sgpr_workgroup_info 0
		.amdhsa_system_vgpr_workitem_id 0
		.amdhsa_next_free_vgpr 89
		.amdhsa_next_free_sgpr 32
		.amdhsa_reserve_vcc 1
		.amdhsa_reserve_flat_scratch 0
		.amdhsa_float_round_mode_32 0
		.amdhsa_float_round_mode_16_64 0
		.amdhsa_float_denorm_mode_32 3
		.amdhsa_float_denorm_mode_16_64 3
		.amdhsa_dx10_clamp 1
		.amdhsa_ieee_mode 1
		.amdhsa_fp16_overflow 0
		.amdhsa_exception_fp_ieee_invalid_op 0
		.amdhsa_exception_fp_denorm_src 0
		.amdhsa_exception_fp_ieee_div_zero 0
		.amdhsa_exception_fp_ieee_overflow 0
		.amdhsa_exception_fp_ieee_underflow 0
		.amdhsa_exception_fp_ieee_inexact 0
		.amdhsa_exception_int_div_zero 0
	.end_amdhsa_kernel
	.section	.text._Z16sort_keys_kernelIiLj512ELj3EN10test_utils4lessELj10EEvPKT_PS2_T2_,"axG",@progbits,_Z16sort_keys_kernelIiLj512ELj3EN10test_utils4lessELj10EEvPKT_PS2_T2_,comdat
.Lfunc_end34:
	.size	_Z16sort_keys_kernelIiLj512ELj3EN10test_utils4lessELj10EEvPKT_PS2_T2_, .Lfunc_end34-_Z16sort_keys_kernelIiLj512ELj3EN10test_utils4lessELj10EEvPKT_PS2_T2_
                                        ; -- End function
	.set _Z16sort_keys_kernelIiLj512ELj3EN10test_utils4lessELj10EEvPKT_PS2_T2_.num_vgpr, 89
	.set _Z16sort_keys_kernelIiLj512ELj3EN10test_utils4lessELj10EEvPKT_PS2_T2_.num_agpr, 0
	.set _Z16sort_keys_kernelIiLj512ELj3EN10test_utils4lessELj10EEvPKT_PS2_T2_.numbered_sgpr, 32
	.set _Z16sort_keys_kernelIiLj512ELj3EN10test_utils4lessELj10EEvPKT_PS2_T2_.num_named_barrier, 0
	.set _Z16sort_keys_kernelIiLj512ELj3EN10test_utils4lessELj10EEvPKT_PS2_T2_.private_seg_size, 0
	.set _Z16sort_keys_kernelIiLj512ELj3EN10test_utils4lessELj10EEvPKT_PS2_T2_.uses_vcc, 1
	.set _Z16sort_keys_kernelIiLj512ELj3EN10test_utils4lessELj10EEvPKT_PS2_T2_.uses_flat_scratch, 0
	.set _Z16sort_keys_kernelIiLj512ELj3EN10test_utils4lessELj10EEvPKT_PS2_T2_.has_dyn_sized_stack, 0
	.set _Z16sort_keys_kernelIiLj512ELj3EN10test_utils4lessELj10EEvPKT_PS2_T2_.has_recursion, 0
	.set _Z16sort_keys_kernelIiLj512ELj3EN10test_utils4lessELj10EEvPKT_PS2_T2_.has_indirect_call, 0
	.section	.AMDGPU.csdata,"",@progbits
; Kernel info:
; codeLenInByte = 5808
; TotalNumSgprs: 36
; NumVgprs: 89
; ScratchSize: 0
; MemoryBound: 0
; FloatMode: 240
; IeeeMode: 1
; LDSByteSize: 6148 bytes/workgroup (compile time only)
; SGPRBlocks: 4
; VGPRBlocks: 22
; NumSGPRsForWavesPerEU: 36
; NumVGPRsForWavesPerEU: 89
; Occupancy: 2
; WaveLimiterHint : 1
; COMPUTE_PGM_RSRC2:SCRATCH_EN: 0
; COMPUTE_PGM_RSRC2:USER_SGPR: 6
; COMPUTE_PGM_RSRC2:TRAP_HANDLER: 0
; COMPUTE_PGM_RSRC2:TGID_X_EN: 1
; COMPUTE_PGM_RSRC2:TGID_Y_EN: 0
; COMPUTE_PGM_RSRC2:TGID_Z_EN: 0
; COMPUTE_PGM_RSRC2:TIDIG_COMP_CNT: 0
	.section	.text._Z17sort_pairs_kernelIiLj512ELj3EN10test_utils4lessELj10EEvPKT_PS2_T2_,"axG",@progbits,_Z17sort_pairs_kernelIiLj512ELj3EN10test_utils4lessELj10EEvPKT_PS2_T2_,comdat
	.protected	_Z17sort_pairs_kernelIiLj512ELj3EN10test_utils4lessELj10EEvPKT_PS2_T2_ ; -- Begin function _Z17sort_pairs_kernelIiLj512ELj3EN10test_utils4lessELj10EEvPKT_PS2_T2_
	.globl	_Z17sort_pairs_kernelIiLj512ELj3EN10test_utils4lessELj10EEvPKT_PS2_T2_
	.p2align	8
	.type	_Z17sort_pairs_kernelIiLj512ELj3EN10test_utils4lessELj10EEvPKT_PS2_T2_,@function
_Z17sort_pairs_kernelIiLj512ELj3EN10test_utils4lessELj10EEvPKT_PS2_T2_: ; @_Z17sort_pairs_kernelIiLj512ELj3EN10test_utils4lessELj10EEvPKT_PS2_T2_
; %bb.0:
	s_load_dwordx4 s[28:31], s[4:5], 0x0
	s_mul_i32 s36, s6, 0x600
	s_mov_b32 s37, 0
	s_lshl_b64 s[34:35], s[36:37], 2
	v_lshlrev_b32_e32 v19, 2, v0
	s_waitcnt lgkmcnt(0)
	s_add_u32 s0, s28, s34
	s_addc_u32 s1, s29, s35
	v_mov_b32_e32 v1, s1
	v_add_co_u32_e32 v2, vcc, s0, v19
	v_addc_co_u32_e32 v1, vcc, 0, v1, vcc
	s_movk_i32 s2, 0x1000
	v_add_co_u32_e32 v17, vcc, s2, v2
	v_addc_co_u32_e32 v18, vcc, 0, v1, vcc
	global_load_dword v83, v[17:18], off
	global_load_dword v84, v19, s[0:1]
	global_load_dword v85, v19, s[0:1] offset:2048
	v_and_b32_e32 v1, 0x1fe, v0
	v_and_b32_e32 v3, 0x1fc, v0
	;; [unrolled: 1-line block ×8, first 2 shown]
	v_mul_u32_u24_e32 v20, 3, v1
	v_mul_u32_u24_e32 v25, 3, v3
	v_mul_u32_u24_e32 v31, 3, v5
	v_mul_u32_u24_e32 v37, 3, v7
	v_mul_u32_u24_e32 v43, 3, v9
	v_mul_u32_u24_e32 v49, 3, v11
	v_mul_u32_u24_e32 v55, 3, v13
	v_mul_u32_u24_e32 v61, 3, v15
	v_and_b32_e32 v1, 1, v0
	v_min_u32_e32 v21, 0x5fd, v20
	v_min_u32_e32 v2, 0x5fa, v20
	;; [unrolled: 1-line block ×16, first 2 shown]
	v_cmp_eq_u32_e32 vcc, 1, v1
	v_add_u32_e32 v1, 3, v21
	v_add_u32_e32 v2, 6, v2
	v_and_b32_e32 v28, 3, v0
	v_add_u32_e32 v3, 6, v27
	v_add_u32_e32 v4, 12, v4
	v_and_b32_e32 v34, 7, v0
	v_add_u32_e32 v5, 24, v5
	v_add_u32_e32 v6, 12, v33
	;; [unrolled: 1-line block ×3, first 2 shown]
	v_and_b32_e32 v40, 15, v0
	v_add_u32_e32 v8, 24, v39
	v_add_u32_e32 v9, 0x60, v9
	v_and_b32_e32 v46, 31, v0
	v_add_u32_e32 v10, 48, v45
	v_add_u32_e32 v11, 0xc0, v11
	;; [unrolled: 3-line block ×4, first 2 shown]
	v_and_b32_e32 v64, 0xff, v0
	v_add_u32_e32 v16, 0x180, v63
	v_cndmask_b32_e64 v22, 0, 3, vcc
	v_sub_u32_e32 v23, v2, v1
	v_mul_u32_u24_e32 v26, 3, v28
	v_sub_u32_e32 v29, v4, v3
	v_mul_u32_u24_e32 v32, 3, v34
	;; [unrolled: 2-line block ×7, first 2 shown]
	v_sub_u32_e32 v65, v15, v16
	v_sub_u32_e32 v24, v22, v23
	;; [unrolled: 1-line block ×9, first 2 shown]
	v_min_u32_e32 v17, 0x600, v20
	v_cmp_ge_i32_e32 vcc, v22, v23
	v_min_u32_e32 v23, 0x600, v25
	v_cmp_ge_i32_e64 s[0:1], v26, v29
	v_min_u32_e32 v29, 0x600, v31
	v_cmp_ge_i32_e64 s[2:3], v32, v35
	;; [unrolled: 2-line block ×7, first 2 shown]
	v_cndmask_b32_e32 v18, 0, v24, vcc
	v_sub_u32_e32 v19, v1, v17
	v_cndmask_b32_e64 v24, 0, v30, s[0:1]
	v_sub_u32_e32 v25, v3, v23
	v_cndmask_b32_e64 v30, 0, v36, s[2:3]
	;; [unrolled: 2-line block ×7, first 2 shown]
	v_sub_u32_e32 v61, v16, v59
	v_mov_b32_e32 v65, 0x300
	v_mul_u32_u24_e32 v66, 3, v0
	v_min_i32_e32 v19, v22, v19
	v_lshlrev_b32_e32 v20, 2, v22
	v_min_i32_e32 v25, v26, v25
	v_lshlrev_b32_e32 v26, 2, v26
	;; [unrolled: 2-line block ×8, first 2 shown]
	v_sub_u32_e64 v67, v66, v65 clamp
	v_min_i32_e32 v68, 0x300, v66
	s_movk_i32 s33, 0x600
	v_cmp_lt_i32_e32 vcc, v18, v19
	v_lshl_add_u32 v20, v21, 2, v20
	v_add_u32_e32 v21, v21, v22
	v_add_u32_e32 v22, v1, v22
	v_cmp_lt_i32_e64 s[0:1], v24, v25
	v_lshl_add_u32 v26, v27, 2, v26
	v_mad_u32_u24 v27, v28, 3, v27
	v_mad_u32_u24 v28, v28, 3, v3
	v_cmp_lt_i32_e64 s[2:3], v30, v31
	v_lshl_add_u32 v32, v33, 2, v32
	v_mad_u32_u24 v33, v34, 3, v33
	v_mad_u32_u24 v34, v34, 3, v6
	;; [unrolled: 4-line block ×7, first 2 shown]
	v_cmp_lt_i32_e64 s[14:15], v67, v68
	s_waitcnt vmcnt(1)
	v_add_u32_e32 v80, 1, v84
	s_waitcnt vmcnt(0)
	v_add_u32_e32 v82, 1, v85
	v_add_u32_e32 v81, 1, v83
	v_mul_u32_u24_e32 v69, 12, v0
	v_lshlrev_b32_e32 v70, 2, v17
	v_lshlrev_b32_e32 v71, 2, v23
	;; [unrolled: 1-line block ×8, first 2 shown]
	v_mad_u32_u24 v78, v0, 3, v65
	v_lshlrev_b32_e32 v79, 2, v66
	s_branch .LBB35_2
.LBB35_1:                               ;   in Loop: Header=BB35_2 Depth=1
	s_or_b64 exec, exec, s[20:21]
	v_cmp_ge_i32_e64 s[22:23], v90, v65
	s_waitcnt lgkmcnt(0)
	v_cmp_lt_i32_e64 s[24:25], v94, v91
	v_cmp_gt_i32_e64 s[20:21], s33, v89
	s_or_b64 s[22:23], s[22:23], s[24:25]
	v_cndmask_b32_e64 v87, v83, v87, s[16:17]
	s_and_b64 s[20:21], s[20:21], s[22:23]
	v_cndmask_b32_e64 v89, v90, v89, s[20:21]
	s_barrier
	ds_write2_b32 v69, v80, v81 offset1:1
	ds_write_b32 v69, v82 offset:8
	v_lshlrev_b32_e32 v80, 2, v87
	v_lshlrev_b32_e32 v81, 2, v92
	s_waitcnt lgkmcnt(0)
	s_barrier
	v_lshlrev_b32_e32 v87, 2, v89
	ds_read_b32 v80, v80
	ds_read_b32 v82, v81
	;; [unrolled: 1-line block ×3, first 2 shown]
	s_add_i32 s37, s37, 1
	v_cndmask_b32_e64 v83, v91, v94, s[20:21]
	v_cndmask_b32_e64 v84, v84, v85, s[16:17]
	s_cmp_eq_u32 s37, 10
	v_cndmask_b32_e64 v85, v86, v88, s[18:19]
	s_cbranch_scc1 .LBB35_110
.LBB35_2:                               ; =>This Loop Header: Depth=1
                                        ;     Child Loop BB35_4 Depth 2
                                        ;     Child Loop BB35_16 Depth 2
	;; [unrolled: 1-line block ×9, first 2 shown]
	v_cmp_lt_i32_e64 s[16:17], v85, v84
	v_cndmask_b32_e64 v86, v84, v85, s[16:17]
	v_cndmask_b32_e64 v87, v85, v84, s[16:17]
	v_max_i32_e32 v84, v85, v84
	v_cmp_lt_i32_e64 s[18:19], v83, v84
	v_cndmask_b32_e64 v85, v83, v84, s[18:19]
	v_cndmask_b32_e64 v87, v87, v83, s[18:19]
	v_min_i32_e32 v83, v83, v84
	v_cmp_lt_i32_e64 s[20:21], v83, v86
	v_cndmask_b32_e64 v84, v87, v86, s[20:21]
	v_cndmask_b32_e64 v83, v86, v83, s[20:21]
	v_mov_b32_e32 v86, v18
	s_waitcnt lgkmcnt(0)
	s_barrier
	ds_write2_b32 v69, v83, v84 offset1:1
	ds_write_b32 v69, v85 offset:8
	s_waitcnt lgkmcnt(0)
	s_barrier
	s_and_saveexec_b64 s[24:25], vcc
	s_cbranch_execz .LBB35_6
; %bb.3:                                ;   in Loop: Header=BB35_2 Depth=1
	s_mov_b64 s[26:27], 0
	v_mov_b32_e32 v86, v18
	v_mov_b32_e32 v83, v19
.LBB35_4:                               ;   Parent Loop BB35_2 Depth=1
                                        ; =>  This Inner Loop Header: Depth=2
	v_sub_u32_e32 v84, v83, v86
	v_lshrrev_b32_e32 v84, 1, v84
	v_add_u32_e32 v84, v84, v86
	v_not_b32_e32 v87, v84
	v_lshl_add_u32 v85, v84, 2, v70
	v_lshl_add_u32 v87, v87, 2, v20
	ds_read_b32 v85, v85
	ds_read_b32 v87, v87 offset:12
	v_add_u32_e32 v88, 1, v84
	s_waitcnt lgkmcnt(0)
	v_cmp_lt_i32_e64 s[22:23], v87, v85
	v_cndmask_b32_e64 v83, v83, v84, s[22:23]
	v_cndmask_b32_e64 v86, v88, v86, s[22:23]
	v_cmp_ge_i32_e64 s[22:23], v86, v83
	s_or_b64 s[26:27], s[22:23], s[26:27]
	s_andn2_b64 exec, exec, s[26:27]
	s_cbranch_execnz .LBB35_4
; %bb.5:                                ;   in Loop: Header=BB35_2 Depth=1
	s_or_b64 exec, exec, s[26:27]
.LBB35_6:                               ;   in Loop: Header=BB35_2 Depth=1
	s_or_b64 exec, exec, s[24:25]
	v_lshl_add_u32 v88, v86, 2, v70
	v_sub_u32_e32 v83, v21, v86
	v_lshlrev_b32_e32 v89, 2, v83
	ds_read_b32 v83, v88
	ds_read_b32 v85, v89 offset:12
	v_add_u32_e32 v84, v86, v17
	v_sub_u32_e32 v86, v22, v86
	v_cmp_le_i32_e64 s[24:25], v1, v84
	v_cmp_gt_i32_e64 s[22:23], v2, v86
	s_waitcnt lgkmcnt(0)
	v_cmp_lt_i32_e64 s[26:27], v85, v83
	s_or_b64 s[24:25], s[24:25], s[26:27]
	s_and_b64 s[22:23], s[22:23], s[24:25]
	s_xor_b64 s[24:25], s[22:23], -1
                                        ; implicit-def: $vgpr87
	s_and_saveexec_b64 s[26:27], s[24:25]
	s_xor_b64 s[24:25], exec, s[26:27]
; %bb.7:                                ;   in Loop: Header=BB35_2 Depth=1
	ds_read_b32 v87, v88 offset:4
                                        ; implicit-def: $vgpr89
; %bb.8:                                ;   in Loop: Header=BB35_2 Depth=1
	s_or_saveexec_b64 s[24:25], s[24:25]
	v_mov_b32_e32 v88, v85
	s_xor_b64 exec, exec, s[24:25]
	s_cbranch_execz .LBB35_10
; %bb.9:                                ;   in Loop: Header=BB35_2 Depth=1
	ds_read_b32 v88, v89 offset:16
	s_waitcnt lgkmcnt(1)
	v_mov_b32_e32 v87, v83
.LBB35_10:                              ;   in Loop: Header=BB35_2 Depth=1
	s_or_b64 exec, exec, s[24:25]
	v_add_u32_e32 v91, 1, v84
	v_add_u32_e32 v89, 1, v86
	v_cndmask_b32_e64 v91, v91, v84, s[22:23]
	v_cndmask_b32_e64 v90, v86, v89, s[22:23]
	v_cmp_ge_i32_e64 s[26:27], v91, v1
	s_waitcnt lgkmcnt(0)
	v_cmp_lt_i32_e64 s[28:29], v88, v87
	v_cmp_lt_i32_e64 s[24:25], v90, v2
	s_or_b64 s[26:27], s[26:27], s[28:29]
	s_and_b64 s[24:25], s[24:25], s[26:27]
	s_xor_b64 s[26:27], s[24:25], -1
                                        ; implicit-def: $vgpr89
	s_and_saveexec_b64 s[28:29], s[26:27]
	s_xor_b64 s[26:27], exec, s[28:29]
; %bb.11:                               ;   in Loop: Header=BB35_2 Depth=1
	v_lshlrev_b32_e32 v89, 2, v91
	ds_read_b32 v89, v89 offset:4
; %bb.12:                               ;   in Loop: Header=BB35_2 Depth=1
	s_or_saveexec_b64 s[26:27], s[26:27]
	v_mov_b32_e32 v92, v88
	s_xor_b64 exec, exec, s[26:27]
	s_cbranch_execz .LBB35_14
; %bb.13:                               ;   in Loop: Header=BB35_2 Depth=1
	s_waitcnt lgkmcnt(0)
	v_lshlrev_b32_e32 v89, 2, v90
	ds_read_b32 v92, v89 offset:4
	v_mov_b32_e32 v89, v87
.LBB35_14:                              ;   in Loop: Header=BB35_2 Depth=1
	s_or_b64 exec, exec, s[26:27]
	v_add_u32_e32 v93, 1, v91
	v_cndmask_b32_e64 v83, v83, v85, s[22:23]
	v_cndmask_b32_e64 v85, v80, v82, s[16:17]
	v_cndmask_b32_e64 v80, v82, v80, s[16:17]
	v_cndmask_b32_e64 v87, v87, v88, s[24:25]
	v_add_u32_e32 v88, 1, v90
	v_cndmask_b32_e64 v93, v93, v91, s[24:25]
	v_cndmask_b32_e64 v82, v81, v80, s[18:19]
	;; [unrolled: 1-line block ×6, first 2 shown]
	v_cmp_ge_i32_e64 s[18:19], v93, v1
	s_waitcnt lgkmcnt(0)
	v_cmp_lt_i32_e64 s[20:21], v92, v89
	v_cmp_lt_i32_e64 s[16:17], v88, v2
	s_or_b64 s[18:19], s[18:19], s[20:21]
	s_and_b64 s[16:17], s[16:17], s[18:19]
	v_cndmask_b32_e64 v90, v91, v90, s[24:25]
	v_cndmask_b32_e64 v84, v84, v86, s[22:23]
	;; [unrolled: 1-line block ×3, first 2 shown]
	s_barrier
	ds_write2_b32 v69, v80, v81 offset1:1
	ds_write_b32 v69, v82 offset:8
	v_lshlrev_b32_e32 v80, 2, v84
	v_lshlrev_b32_e32 v81, 2, v90
	;; [unrolled: 1-line block ×3, first 2 shown]
	s_waitcnt lgkmcnt(0)
	s_barrier
	ds_read_b32 v80, v80
	ds_read_b32 v81, v81
	;; [unrolled: 1-line block ×3, first 2 shown]
	v_mov_b32_e32 v86, v24
	v_cndmask_b32_e64 v85, v89, v92, s[16:17]
	s_waitcnt lgkmcnt(0)
	s_barrier
	ds_write2_b32 v69, v83, v87 offset1:1
	ds_write_b32 v69, v85 offset:8
	s_waitcnt lgkmcnt(0)
	s_barrier
	s_and_saveexec_b64 s[18:19], s[0:1]
	s_cbranch_execz .LBB35_18
; %bb.15:                               ;   in Loop: Header=BB35_2 Depth=1
	s_mov_b64 s[20:21], 0
	v_mov_b32_e32 v86, v24
	v_mov_b32_e32 v83, v25
.LBB35_16:                              ;   Parent Loop BB35_2 Depth=1
                                        ; =>  This Inner Loop Header: Depth=2
	v_sub_u32_e32 v84, v83, v86
	v_lshrrev_b32_e32 v84, 1, v84
	v_add_u32_e32 v84, v84, v86
	v_not_b32_e32 v87, v84
	v_lshl_add_u32 v85, v84, 2, v71
	v_lshl_add_u32 v87, v87, 2, v26
	ds_read_b32 v85, v85
	ds_read_b32 v87, v87 offset:24
	v_add_u32_e32 v88, 1, v84
	s_waitcnt lgkmcnt(0)
	v_cmp_lt_i32_e64 s[16:17], v87, v85
	v_cndmask_b32_e64 v83, v83, v84, s[16:17]
	v_cndmask_b32_e64 v86, v88, v86, s[16:17]
	v_cmp_ge_i32_e64 s[16:17], v86, v83
	s_or_b64 s[20:21], s[16:17], s[20:21]
	s_andn2_b64 exec, exec, s[20:21]
	s_cbranch_execnz .LBB35_16
; %bb.17:                               ;   in Loop: Header=BB35_2 Depth=1
	s_or_b64 exec, exec, s[20:21]
.LBB35_18:                              ;   in Loop: Header=BB35_2 Depth=1
	s_or_b64 exec, exec, s[18:19]
	v_lshl_add_u32 v88, v86, 2, v71
	v_sub_u32_e32 v83, v27, v86
	v_lshlrev_b32_e32 v89, 2, v83
	ds_read_b32 v83, v88
	ds_read_b32 v85, v89 offset:24
	v_add_u32_e32 v84, v86, v23
	v_sub_u32_e32 v86, v28, v86
	v_cmp_le_i32_e64 s[18:19], v3, v84
	v_cmp_gt_i32_e64 s[16:17], v4, v86
	s_waitcnt lgkmcnt(0)
	v_cmp_lt_i32_e64 s[20:21], v85, v83
	s_or_b64 s[18:19], s[18:19], s[20:21]
	s_and_b64 s[16:17], s[16:17], s[18:19]
	s_xor_b64 s[18:19], s[16:17], -1
                                        ; implicit-def: $vgpr87
	s_and_saveexec_b64 s[20:21], s[18:19]
	s_xor_b64 s[18:19], exec, s[20:21]
; %bb.19:                               ;   in Loop: Header=BB35_2 Depth=1
	ds_read_b32 v87, v88 offset:4
                                        ; implicit-def: $vgpr89
; %bb.20:                               ;   in Loop: Header=BB35_2 Depth=1
	s_or_saveexec_b64 s[18:19], s[18:19]
	v_mov_b32_e32 v88, v85
	s_xor_b64 exec, exec, s[18:19]
	s_cbranch_execz .LBB35_22
; %bb.21:                               ;   in Loop: Header=BB35_2 Depth=1
	ds_read_b32 v88, v89 offset:28
	s_waitcnt lgkmcnt(1)
	v_mov_b32_e32 v87, v83
.LBB35_22:                              ;   in Loop: Header=BB35_2 Depth=1
	s_or_b64 exec, exec, s[18:19]
	v_add_u32_e32 v90, 1, v84
	v_add_u32_e32 v89, 1, v86
	v_cndmask_b32_e64 v90, v90, v84, s[16:17]
	v_cndmask_b32_e64 v89, v86, v89, s[16:17]
	v_cmp_ge_i32_e64 s[20:21], v90, v3
	s_waitcnt lgkmcnt(0)
	v_cmp_lt_i32_e64 s[22:23], v88, v87
	v_cmp_lt_i32_e64 s[18:19], v89, v4
	s_or_b64 s[20:21], s[20:21], s[22:23]
	s_and_b64 s[18:19], s[18:19], s[20:21]
	s_xor_b64 s[20:21], s[18:19], -1
                                        ; implicit-def: $vgpr91
	s_and_saveexec_b64 s[22:23], s[20:21]
	s_xor_b64 s[20:21], exec, s[22:23]
; %bb.23:                               ;   in Loop: Header=BB35_2 Depth=1
	v_lshlrev_b32_e32 v91, 2, v90
	ds_read_b32 v91, v91 offset:4
; %bb.24:                               ;   in Loop: Header=BB35_2 Depth=1
	s_or_saveexec_b64 s[20:21], s[20:21]
	v_mov_b32_e32 v92, v88
	s_xor_b64 exec, exec, s[20:21]
	s_cbranch_execz .LBB35_26
; %bb.25:                               ;   in Loop: Header=BB35_2 Depth=1
	s_waitcnt lgkmcnt(0)
	v_lshlrev_b32_e32 v91, 2, v89
	ds_read_b32 v92, v91 offset:4
	v_mov_b32_e32 v91, v87
.LBB35_26:                              ;   in Loop: Header=BB35_2 Depth=1
	s_or_b64 exec, exec, s[20:21]
	v_add_u32_e32 v93, 1, v90
	v_cndmask_b32_e64 v87, v87, v88, s[18:19]
	v_add_u32_e32 v88, 1, v89
	v_cndmask_b32_e64 v93, v93, v90, s[18:19]
	v_cndmask_b32_e64 v88, v89, v88, s[18:19]
	;; [unrolled: 1-line block ×3, first 2 shown]
	v_cmp_ge_i32_e64 s[18:19], v93, v3
	s_waitcnt lgkmcnt(0)
	v_cmp_lt_i32_e64 s[20:21], v92, v91
	v_cndmask_b32_e64 v83, v83, v85, s[16:17]
	v_cndmask_b32_e64 v84, v84, v86, s[16:17]
	v_cmp_lt_i32_e64 s[16:17], v88, v4
	s_or_b64 s[18:19], s[18:19], s[20:21]
	s_and_b64 s[16:17], s[16:17], s[18:19]
	v_cndmask_b32_e64 v86, v93, v88, s[16:17]
	s_barrier
	ds_write2_b32 v69, v80, v81 offset1:1
	ds_write_b32 v69, v82 offset:8
	v_lshlrev_b32_e32 v80, 2, v84
	v_lshlrev_b32_e32 v81, 2, v89
	;; [unrolled: 1-line block ×3, first 2 shown]
	s_waitcnt lgkmcnt(0)
	s_barrier
	ds_read_b32 v80, v80
	ds_read_b32 v81, v81
	;; [unrolled: 1-line block ×3, first 2 shown]
	v_mov_b32_e32 v86, v30
	v_cndmask_b32_e64 v85, v91, v92, s[16:17]
	s_waitcnt lgkmcnt(0)
	s_barrier
	ds_write2_b32 v69, v83, v87 offset1:1
	ds_write_b32 v69, v85 offset:8
	s_waitcnt lgkmcnt(0)
	s_barrier
	s_and_saveexec_b64 s[18:19], s[2:3]
	s_cbranch_execz .LBB35_30
; %bb.27:                               ;   in Loop: Header=BB35_2 Depth=1
	s_mov_b64 s[20:21], 0
	v_mov_b32_e32 v86, v30
	v_mov_b32_e32 v83, v31
.LBB35_28:                              ;   Parent Loop BB35_2 Depth=1
                                        ; =>  This Inner Loop Header: Depth=2
	v_sub_u32_e32 v84, v83, v86
	v_lshrrev_b32_e32 v84, 1, v84
	v_add_u32_e32 v84, v84, v86
	v_not_b32_e32 v87, v84
	v_lshl_add_u32 v85, v84, 2, v72
	v_lshl_add_u32 v87, v87, 2, v32
	ds_read_b32 v85, v85
	ds_read_b32 v87, v87 offset:48
	v_add_u32_e32 v88, 1, v84
	s_waitcnt lgkmcnt(0)
	v_cmp_lt_i32_e64 s[16:17], v87, v85
	v_cndmask_b32_e64 v83, v83, v84, s[16:17]
	v_cndmask_b32_e64 v86, v88, v86, s[16:17]
	v_cmp_ge_i32_e64 s[16:17], v86, v83
	s_or_b64 s[20:21], s[16:17], s[20:21]
	s_andn2_b64 exec, exec, s[20:21]
	s_cbranch_execnz .LBB35_28
; %bb.29:                               ;   in Loop: Header=BB35_2 Depth=1
	s_or_b64 exec, exec, s[20:21]
.LBB35_30:                              ;   in Loop: Header=BB35_2 Depth=1
	s_or_b64 exec, exec, s[18:19]
	v_lshl_add_u32 v88, v86, 2, v72
	v_sub_u32_e32 v83, v33, v86
	v_lshlrev_b32_e32 v89, 2, v83
	ds_read_b32 v83, v88
	ds_read_b32 v85, v89 offset:48
	v_add_u32_e32 v84, v86, v29
	v_sub_u32_e32 v86, v34, v86
	v_cmp_le_i32_e64 s[18:19], v6, v84
	v_cmp_gt_i32_e64 s[16:17], v5, v86
	s_waitcnt lgkmcnt(0)
	v_cmp_lt_i32_e64 s[20:21], v85, v83
	s_or_b64 s[18:19], s[18:19], s[20:21]
	s_and_b64 s[16:17], s[16:17], s[18:19]
	s_xor_b64 s[18:19], s[16:17], -1
                                        ; implicit-def: $vgpr87
	s_and_saveexec_b64 s[20:21], s[18:19]
	s_xor_b64 s[18:19], exec, s[20:21]
; %bb.31:                               ;   in Loop: Header=BB35_2 Depth=1
	ds_read_b32 v87, v88 offset:4
                                        ; implicit-def: $vgpr89
; %bb.32:                               ;   in Loop: Header=BB35_2 Depth=1
	s_or_saveexec_b64 s[18:19], s[18:19]
	v_mov_b32_e32 v88, v85
	s_xor_b64 exec, exec, s[18:19]
	s_cbranch_execz .LBB35_34
; %bb.33:                               ;   in Loop: Header=BB35_2 Depth=1
	ds_read_b32 v88, v89 offset:52
	s_waitcnt lgkmcnt(1)
	v_mov_b32_e32 v87, v83
.LBB35_34:                              ;   in Loop: Header=BB35_2 Depth=1
	s_or_b64 exec, exec, s[18:19]
	v_add_u32_e32 v90, 1, v84
	v_add_u32_e32 v89, 1, v86
	v_cndmask_b32_e64 v90, v90, v84, s[16:17]
	v_cndmask_b32_e64 v89, v86, v89, s[16:17]
	v_cmp_ge_i32_e64 s[20:21], v90, v6
	s_waitcnt lgkmcnt(0)
	v_cmp_lt_i32_e64 s[22:23], v88, v87
	v_cmp_lt_i32_e64 s[18:19], v89, v5
	s_or_b64 s[20:21], s[20:21], s[22:23]
	s_and_b64 s[18:19], s[18:19], s[20:21]
	s_xor_b64 s[20:21], s[18:19], -1
                                        ; implicit-def: $vgpr91
	s_and_saveexec_b64 s[22:23], s[20:21]
	s_xor_b64 s[20:21], exec, s[22:23]
; %bb.35:                               ;   in Loop: Header=BB35_2 Depth=1
	v_lshlrev_b32_e32 v91, 2, v90
	ds_read_b32 v91, v91 offset:4
; %bb.36:                               ;   in Loop: Header=BB35_2 Depth=1
	s_or_saveexec_b64 s[20:21], s[20:21]
	v_mov_b32_e32 v92, v88
	s_xor_b64 exec, exec, s[20:21]
	s_cbranch_execz .LBB35_38
; %bb.37:                               ;   in Loop: Header=BB35_2 Depth=1
	s_waitcnt lgkmcnt(0)
	v_lshlrev_b32_e32 v91, 2, v89
	ds_read_b32 v92, v91 offset:4
	v_mov_b32_e32 v91, v87
.LBB35_38:                              ;   in Loop: Header=BB35_2 Depth=1
	s_or_b64 exec, exec, s[20:21]
	v_add_u32_e32 v93, 1, v90
	v_cndmask_b32_e64 v87, v87, v88, s[18:19]
	v_add_u32_e32 v88, 1, v89
	v_cndmask_b32_e64 v93, v93, v90, s[18:19]
	v_cndmask_b32_e64 v88, v89, v88, s[18:19]
	;; [unrolled: 1-line block ×3, first 2 shown]
	v_cmp_ge_i32_e64 s[18:19], v93, v6
	s_waitcnt lgkmcnt(0)
	v_cmp_lt_i32_e64 s[20:21], v92, v91
	v_cndmask_b32_e64 v83, v83, v85, s[16:17]
	v_cndmask_b32_e64 v84, v84, v86, s[16:17]
	v_cmp_lt_i32_e64 s[16:17], v88, v5
	s_or_b64 s[18:19], s[18:19], s[20:21]
	s_and_b64 s[16:17], s[16:17], s[18:19]
	v_cndmask_b32_e64 v86, v93, v88, s[16:17]
	s_barrier
	ds_write2_b32 v69, v80, v81 offset1:1
	ds_write_b32 v69, v82 offset:8
	v_lshlrev_b32_e32 v80, 2, v84
	v_lshlrev_b32_e32 v81, 2, v89
	;; [unrolled: 1-line block ×3, first 2 shown]
	s_waitcnt lgkmcnt(0)
	s_barrier
	ds_read_b32 v80, v80
	ds_read_b32 v81, v81
	;; [unrolled: 1-line block ×3, first 2 shown]
	v_mov_b32_e32 v86, v36
	v_cndmask_b32_e64 v85, v91, v92, s[16:17]
	s_waitcnt lgkmcnt(0)
	s_barrier
	ds_write2_b32 v69, v83, v87 offset1:1
	ds_write_b32 v69, v85 offset:8
	s_waitcnt lgkmcnt(0)
	s_barrier
	s_and_saveexec_b64 s[18:19], s[4:5]
	s_cbranch_execz .LBB35_42
; %bb.39:                               ;   in Loop: Header=BB35_2 Depth=1
	s_mov_b64 s[20:21], 0
	v_mov_b32_e32 v86, v36
	v_mov_b32_e32 v83, v37
.LBB35_40:                              ;   Parent Loop BB35_2 Depth=1
                                        ; =>  This Inner Loop Header: Depth=2
	v_sub_u32_e32 v84, v83, v86
	v_lshrrev_b32_e32 v84, 1, v84
	v_add_u32_e32 v84, v84, v86
	v_not_b32_e32 v87, v84
	v_lshl_add_u32 v85, v84, 2, v73
	v_lshl_add_u32 v87, v87, 2, v38
	ds_read_b32 v85, v85
	ds_read_b32 v87, v87 offset:96
	v_add_u32_e32 v88, 1, v84
	s_waitcnt lgkmcnt(0)
	v_cmp_lt_i32_e64 s[16:17], v87, v85
	v_cndmask_b32_e64 v83, v83, v84, s[16:17]
	v_cndmask_b32_e64 v86, v88, v86, s[16:17]
	v_cmp_ge_i32_e64 s[16:17], v86, v83
	s_or_b64 s[20:21], s[16:17], s[20:21]
	s_andn2_b64 exec, exec, s[20:21]
	s_cbranch_execnz .LBB35_40
; %bb.41:                               ;   in Loop: Header=BB35_2 Depth=1
	s_or_b64 exec, exec, s[20:21]
.LBB35_42:                              ;   in Loop: Header=BB35_2 Depth=1
	s_or_b64 exec, exec, s[18:19]
	v_lshl_add_u32 v88, v86, 2, v73
	v_sub_u32_e32 v83, v39, v86
	v_lshlrev_b32_e32 v89, 2, v83
	ds_read_b32 v83, v88
	ds_read_b32 v85, v89 offset:96
	v_add_u32_e32 v84, v86, v35
	v_sub_u32_e32 v86, v40, v86
	v_cmp_le_i32_e64 s[18:19], v8, v84
	v_cmp_gt_i32_e64 s[16:17], v7, v86
	s_waitcnt lgkmcnt(0)
	v_cmp_lt_i32_e64 s[20:21], v85, v83
	s_or_b64 s[18:19], s[18:19], s[20:21]
	s_and_b64 s[16:17], s[16:17], s[18:19]
	s_xor_b64 s[18:19], s[16:17], -1
                                        ; implicit-def: $vgpr87
	s_and_saveexec_b64 s[20:21], s[18:19]
	s_xor_b64 s[18:19], exec, s[20:21]
; %bb.43:                               ;   in Loop: Header=BB35_2 Depth=1
	ds_read_b32 v87, v88 offset:4
                                        ; implicit-def: $vgpr89
; %bb.44:                               ;   in Loop: Header=BB35_2 Depth=1
	s_or_saveexec_b64 s[18:19], s[18:19]
	v_mov_b32_e32 v88, v85
	s_xor_b64 exec, exec, s[18:19]
	s_cbranch_execz .LBB35_46
; %bb.45:                               ;   in Loop: Header=BB35_2 Depth=1
	ds_read_b32 v88, v89 offset:100
	s_waitcnt lgkmcnt(1)
	v_mov_b32_e32 v87, v83
.LBB35_46:                              ;   in Loop: Header=BB35_2 Depth=1
	s_or_b64 exec, exec, s[18:19]
	v_add_u32_e32 v90, 1, v84
	v_add_u32_e32 v89, 1, v86
	v_cndmask_b32_e64 v90, v90, v84, s[16:17]
	v_cndmask_b32_e64 v89, v86, v89, s[16:17]
	v_cmp_ge_i32_e64 s[20:21], v90, v8
	s_waitcnt lgkmcnt(0)
	v_cmp_lt_i32_e64 s[22:23], v88, v87
	v_cmp_lt_i32_e64 s[18:19], v89, v7
	s_or_b64 s[20:21], s[20:21], s[22:23]
	s_and_b64 s[18:19], s[18:19], s[20:21]
	s_xor_b64 s[20:21], s[18:19], -1
                                        ; implicit-def: $vgpr91
	s_and_saveexec_b64 s[22:23], s[20:21]
	s_xor_b64 s[20:21], exec, s[22:23]
; %bb.47:                               ;   in Loop: Header=BB35_2 Depth=1
	v_lshlrev_b32_e32 v91, 2, v90
	ds_read_b32 v91, v91 offset:4
; %bb.48:                               ;   in Loop: Header=BB35_2 Depth=1
	s_or_saveexec_b64 s[20:21], s[20:21]
	v_mov_b32_e32 v92, v88
	s_xor_b64 exec, exec, s[20:21]
	s_cbranch_execz .LBB35_50
; %bb.49:                               ;   in Loop: Header=BB35_2 Depth=1
	s_waitcnt lgkmcnt(0)
	v_lshlrev_b32_e32 v91, 2, v89
	ds_read_b32 v92, v91 offset:4
	v_mov_b32_e32 v91, v87
.LBB35_50:                              ;   in Loop: Header=BB35_2 Depth=1
	s_or_b64 exec, exec, s[20:21]
	v_add_u32_e32 v93, 1, v90
	v_cndmask_b32_e64 v87, v87, v88, s[18:19]
	v_add_u32_e32 v88, 1, v89
	v_cndmask_b32_e64 v93, v93, v90, s[18:19]
	v_cndmask_b32_e64 v88, v89, v88, s[18:19]
	v_cndmask_b32_e64 v89, v90, v89, s[18:19]
	v_cmp_ge_i32_e64 s[18:19], v93, v8
	s_waitcnt lgkmcnt(0)
	v_cmp_lt_i32_e64 s[20:21], v92, v91
	v_cndmask_b32_e64 v83, v83, v85, s[16:17]
	v_cndmask_b32_e64 v84, v84, v86, s[16:17]
	v_cmp_lt_i32_e64 s[16:17], v88, v7
	s_or_b64 s[18:19], s[18:19], s[20:21]
	s_and_b64 s[16:17], s[16:17], s[18:19]
	v_cndmask_b32_e64 v86, v93, v88, s[16:17]
	s_barrier
	ds_write2_b32 v69, v80, v81 offset1:1
	ds_write_b32 v69, v82 offset:8
	v_lshlrev_b32_e32 v80, 2, v84
	v_lshlrev_b32_e32 v81, 2, v89
	;; [unrolled: 1-line block ×3, first 2 shown]
	s_waitcnt lgkmcnt(0)
	s_barrier
	ds_read_b32 v80, v80
	ds_read_b32 v81, v81
	;; [unrolled: 1-line block ×3, first 2 shown]
	v_mov_b32_e32 v86, v42
	v_cndmask_b32_e64 v85, v91, v92, s[16:17]
	s_waitcnt lgkmcnt(0)
	s_barrier
	ds_write2_b32 v69, v83, v87 offset1:1
	ds_write_b32 v69, v85 offset:8
	s_waitcnt lgkmcnt(0)
	s_barrier
	s_and_saveexec_b64 s[18:19], s[6:7]
	s_cbranch_execz .LBB35_54
; %bb.51:                               ;   in Loop: Header=BB35_2 Depth=1
	s_mov_b64 s[20:21], 0
	v_mov_b32_e32 v86, v42
	v_mov_b32_e32 v83, v43
.LBB35_52:                              ;   Parent Loop BB35_2 Depth=1
                                        ; =>  This Inner Loop Header: Depth=2
	v_sub_u32_e32 v84, v83, v86
	v_lshrrev_b32_e32 v84, 1, v84
	v_add_u32_e32 v84, v84, v86
	v_not_b32_e32 v87, v84
	v_lshl_add_u32 v85, v84, 2, v74
	v_lshl_add_u32 v87, v87, 2, v44
	ds_read_b32 v85, v85
	ds_read_b32 v87, v87 offset:192
	v_add_u32_e32 v88, 1, v84
	s_waitcnt lgkmcnt(0)
	v_cmp_lt_i32_e64 s[16:17], v87, v85
	v_cndmask_b32_e64 v83, v83, v84, s[16:17]
	v_cndmask_b32_e64 v86, v88, v86, s[16:17]
	v_cmp_ge_i32_e64 s[16:17], v86, v83
	s_or_b64 s[20:21], s[16:17], s[20:21]
	s_andn2_b64 exec, exec, s[20:21]
	s_cbranch_execnz .LBB35_52
; %bb.53:                               ;   in Loop: Header=BB35_2 Depth=1
	s_or_b64 exec, exec, s[20:21]
.LBB35_54:                              ;   in Loop: Header=BB35_2 Depth=1
	s_or_b64 exec, exec, s[18:19]
	v_lshl_add_u32 v88, v86, 2, v74
	v_sub_u32_e32 v83, v45, v86
	v_lshlrev_b32_e32 v89, 2, v83
	ds_read_b32 v83, v88
	ds_read_b32 v85, v89 offset:192
	v_add_u32_e32 v84, v86, v41
	v_sub_u32_e32 v86, v46, v86
	v_cmp_le_i32_e64 s[18:19], v10, v84
	v_cmp_gt_i32_e64 s[16:17], v9, v86
	s_waitcnt lgkmcnt(0)
	v_cmp_lt_i32_e64 s[20:21], v85, v83
	s_or_b64 s[18:19], s[18:19], s[20:21]
	s_and_b64 s[16:17], s[16:17], s[18:19]
	s_xor_b64 s[18:19], s[16:17], -1
                                        ; implicit-def: $vgpr87
	s_and_saveexec_b64 s[20:21], s[18:19]
	s_xor_b64 s[18:19], exec, s[20:21]
; %bb.55:                               ;   in Loop: Header=BB35_2 Depth=1
	ds_read_b32 v87, v88 offset:4
                                        ; implicit-def: $vgpr89
; %bb.56:                               ;   in Loop: Header=BB35_2 Depth=1
	s_or_saveexec_b64 s[18:19], s[18:19]
	v_mov_b32_e32 v88, v85
	s_xor_b64 exec, exec, s[18:19]
	s_cbranch_execz .LBB35_58
; %bb.57:                               ;   in Loop: Header=BB35_2 Depth=1
	ds_read_b32 v88, v89 offset:196
	s_waitcnt lgkmcnt(1)
	v_mov_b32_e32 v87, v83
.LBB35_58:                              ;   in Loop: Header=BB35_2 Depth=1
	s_or_b64 exec, exec, s[18:19]
	v_add_u32_e32 v90, 1, v84
	v_add_u32_e32 v89, 1, v86
	v_cndmask_b32_e64 v90, v90, v84, s[16:17]
	v_cndmask_b32_e64 v89, v86, v89, s[16:17]
	v_cmp_ge_i32_e64 s[20:21], v90, v10
	s_waitcnt lgkmcnt(0)
	v_cmp_lt_i32_e64 s[22:23], v88, v87
	v_cmp_lt_i32_e64 s[18:19], v89, v9
	s_or_b64 s[20:21], s[20:21], s[22:23]
	s_and_b64 s[18:19], s[18:19], s[20:21]
	s_xor_b64 s[20:21], s[18:19], -1
                                        ; implicit-def: $vgpr91
	s_and_saveexec_b64 s[22:23], s[20:21]
	s_xor_b64 s[20:21], exec, s[22:23]
; %bb.59:                               ;   in Loop: Header=BB35_2 Depth=1
	v_lshlrev_b32_e32 v91, 2, v90
	ds_read_b32 v91, v91 offset:4
; %bb.60:                               ;   in Loop: Header=BB35_2 Depth=1
	s_or_saveexec_b64 s[20:21], s[20:21]
	v_mov_b32_e32 v92, v88
	s_xor_b64 exec, exec, s[20:21]
	s_cbranch_execz .LBB35_62
; %bb.61:                               ;   in Loop: Header=BB35_2 Depth=1
	s_waitcnt lgkmcnt(0)
	v_lshlrev_b32_e32 v91, 2, v89
	ds_read_b32 v92, v91 offset:4
	v_mov_b32_e32 v91, v87
.LBB35_62:                              ;   in Loop: Header=BB35_2 Depth=1
	s_or_b64 exec, exec, s[20:21]
	v_add_u32_e32 v93, 1, v90
	v_cndmask_b32_e64 v87, v87, v88, s[18:19]
	v_add_u32_e32 v88, 1, v89
	v_cndmask_b32_e64 v93, v93, v90, s[18:19]
	v_cndmask_b32_e64 v88, v89, v88, s[18:19]
	;; [unrolled: 1-line block ×3, first 2 shown]
	v_cmp_ge_i32_e64 s[18:19], v93, v10
	s_waitcnt lgkmcnt(0)
	v_cmp_lt_i32_e64 s[20:21], v92, v91
	v_cndmask_b32_e64 v83, v83, v85, s[16:17]
	v_cndmask_b32_e64 v84, v84, v86, s[16:17]
	v_cmp_lt_i32_e64 s[16:17], v88, v9
	s_or_b64 s[18:19], s[18:19], s[20:21]
	s_and_b64 s[16:17], s[16:17], s[18:19]
	v_cndmask_b32_e64 v86, v93, v88, s[16:17]
	s_barrier
	ds_write2_b32 v69, v80, v81 offset1:1
	ds_write_b32 v69, v82 offset:8
	v_lshlrev_b32_e32 v80, 2, v84
	v_lshlrev_b32_e32 v81, 2, v89
	;; [unrolled: 1-line block ×3, first 2 shown]
	s_waitcnt lgkmcnt(0)
	s_barrier
	ds_read_b32 v80, v80
	ds_read_b32 v81, v81
	;; [unrolled: 1-line block ×3, first 2 shown]
	v_mov_b32_e32 v86, v48
	v_cndmask_b32_e64 v85, v91, v92, s[16:17]
	s_waitcnt lgkmcnt(0)
	s_barrier
	ds_write2_b32 v69, v83, v87 offset1:1
	ds_write_b32 v69, v85 offset:8
	s_waitcnt lgkmcnt(0)
	s_barrier
	s_and_saveexec_b64 s[18:19], s[8:9]
	s_cbranch_execz .LBB35_66
; %bb.63:                               ;   in Loop: Header=BB35_2 Depth=1
	s_mov_b64 s[20:21], 0
	v_mov_b32_e32 v86, v48
	v_mov_b32_e32 v83, v49
.LBB35_64:                              ;   Parent Loop BB35_2 Depth=1
                                        ; =>  This Inner Loop Header: Depth=2
	v_sub_u32_e32 v84, v83, v86
	v_lshrrev_b32_e32 v84, 1, v84
	v_add_u32_e32 v84, v84, v86
	v_not_b32_e32 v87, v84
	v_lshl_add_u32 v85, v84, 2, v75
	v_lshl_add_u32 v87, v87, 2, v50
	ds_read_b32 v85, v85
	ds_read_b32 v87, v87 offset:384
	v_add_u32_e32 v88, 1, v84
	s_waitcnt lgkmcnt(0)
	v_cmp_lt_i32_e64 s[16:17], v87, v85
	v_cndmask_b32_e64 v83, v83, v84, s[16:17]
	v_cndmask_b32_e64 v86, v88, v86, s[16:17]
	v_cmp_ge_i32_e64 s[16:17], v86, v83
	s_or_b64 s[20:21], s[16:17], s[20:21]
	s_andn2_b64 exec, exec, s[20:21]
	s_cbranch_execnz .LBB35_64
; %bb.65:                               ;   in Loop: Header=BB35_2 Depth=1
	s_or_b64 exec, exec, s[20:21]
.LBB35_66:                              ;   in Loop: Header=BB35_2 Depth=1
	s_or_b64 exec, exec, s[18:19]
	v_lshl_add_u32 v88, v86, 2, v75
	v_sub_u32_e32 v83, v51, v86
	v_lshlrev_b32_e32 v89, 2, v83
	ds_read_b32 v83, v88
	ds_read_b32 v85, v89 offset:384
	v_add_u32_e32 v84, v86, v47
	v_sub_u32_e32 v86, v52, v86
	v_cmp_le_i32_e64 s[18:19], v12, v84
	v_cmp_gt_i32_e64 s[16:17], v11, v86
	s_waitcnt lgkmcnt(0)
	v_cmp_lt_i32_e64 s[20:21], v85, v83
	s_or_b64 s[18:19], s[18:19], s[20:21]
	s_and_b64 s[16:17], s[16:17], s[18:19]
	s_xor_b64 s[18:19], s[16:17], -1
                                        ; implicit-def: $vgpr87
	s_and_saveexec_b64 s[20:21], s[18:19]
	s_xor_b64 s[18:19], exec, s[20:21]
; %bb.67:                               ;   in Loop: Header=BB35_2 Depth=1
	ds_read_b32 v87, v88 offset:4
                                        ; implicit-def: $vgpr89
; %bb.68:                               ;   in Loop: Header=BB35_2 Depth=1
	s_or_saveexec_b64 s[18:19], s[18:19]
	v_mov_b32_e32 v88, v85
	s_xor_b64 exec, exec, s[18:19]
	s_cbranch_execz .LBB35_70
; %bb.69:                               ;   in Loop: Header=BB35_2 Depth=1
	ds_read_b32 v88, v89 offset:388
	s_waitcnt lgkmcnt(1)
	v_mov_b32_e32 v87, v83
.LBB35_70:                              ;   in Loop: Header=BB35_2 Depth=1
	s_or_b64 exec, exec, s[18:19]
	v_add_u32_e32 v90, 1, v84
	v_add_u32_e32 v89, 1, v86
	v_cndmask_b32_e64 v90, v90, v84, s[16:17]
	v_cndmask_b32_e64 v89, v86, v89, s[16:17]
	v_cmp_ge_i32_e64 s[20:21], v90, v12
	s_waitcnt lgkmcnt(0)
	v_cmp_lt_i32_e64 s[22:23], v88, v87
	v_cmp_lt_i32_e64 s[18:19], v89, v11
	s_or_b64 s[20:21], s[20:21], s[22:23]
	s_and_b64 s[18:19], s[18:19], s[20:21]
	s_xor_b64 s[20:21], s[18:19], -1
                                        ; implicit-def: $vgpr91
	s_and_saveexec_b64 s[22:23], s[20:21]
	s_xor_b64 s[20:21], exec, s[22:23]
; %bb.71:                               ;   in Loop: Header=BB35_2 Depth=1
	v_lshlrev_b32_e32 v91, 2, v90
	ds_read_b32 v91, v91 offset:4
; %bb.72:                               ;   in Loop: Header=BB35_2 Depth=1
	s_or_saveexec_b64 s[20:21], s[20:21]
	v_mov_b32_e32 v92, v88
	s_xor_b64 exec, exec, s[20:21]
	s_cbranch_execz .LBB35_74
; %bb.73:                               ;   in Loop: Header=BB35_2 Depth=1
	s_waitcnt lgkmcnt(0)
	v_lshlrev_b32_e32 v91, 2, v89
	ds_read_b32 v92, v91 offset:4
	v_mov_b32_e32 v91, v87
.LBB35_74:                              ;   in Loop: Header=BB35_2 Depth=1
	s_or_b64 exec, exec, s[20:21]
	v_add_u32_e32 v93, 1, v90
	v_cndmask_b32_e64 v87, v87, v88, s[18:19]
	v_add_u32_e32 v88, 1, v89
	v_cndmask_b32_e64 v93, v93, v90, s[18:19]
	v_cndmask_b32_e64 v88, v89, v88, s[18:19]
	;; [unrolled: 1-line block ×3, first 2 shown]
	v_cmp_ge_i32_e64 s[18:19], v93, v12
	s_waitcnt lgkmcnt(0)
	v_cmp_lt_i32_e64 s[20:21], v92, v91
	v_cndmask_b32_e64 v83, v83, v85, s[16:17]
	v_cndmask_b32_e64 v84, v84, v86, s[16:17]
	v_cmp_lt_i32_e64 s[16:17], v88, v11
	s_or_b64 s[18:19], s[18:19], s[20:21]
	s_and_b64 s[16:17], s[16:17], s[18:19]
	v_cndmask_b32_e64 v86, v93, v88, s[16:17]
	s_barrier
	ds_write2_b32 v69, v80, v81 offset1:1
	ds_write_b32 v69, v82 offset:8
	v_lshlrev_b32_e32 v80, 2, v84
	v_lshlrev_b32_e32 v81, 2, v89
	;; [unrolled: 1-line block ×3, first 2 shown]
	s_waitcnt lgkmcnt(0)
	s_barrier
	ds_read_b32 v80, v80
	ds_read_b32 v81, v81
	;; [unrolled: 1-line block ×3, first 2 shown]
	v_mov_b32_e32 v86, v54
	v_cndmask_b32_e64 v85, v91, v92, s[16:17]
	s_waitcnt lgkmcnt(0)
	s_barrier
	ds_write2_b32 v69, v83, v87 offset1:1
	ds_write_b32 v69, v85 offset:8
	s_waitcnt lgkmcnt(0)
	s_barrier
	s_and_saveexec_b64 s[18:19], s[10:11]
	s_cbranch_execz .LBB35_78
; %bb.75:                               ;   in Loop: Header=BB35_2 Depth=1
	s_mov_b64 s[20:21], 0
	v_mov_b32_e32 v86, v54
	v_mov_b32_e32 v83, v55
.LBB35_76:                              ;   Parent Loop BB35_2 Depth=1
                                        ; =>  This Inner Loop Header: Depth=2
	v_sub_u32_e32 v84, v83, v86
	v_lshrrev_b32_e32 v84, 1, v84
	v_add_u32_e32 v84, v84, v86
	v_not_b32_e32 v87, v84
	v_lshl_add_u32 v85, v84, 2, v76
	v_lshl_add_u32 v87, v87, 2, v56
	ds_read_b32 v85, v85
	ds_read_b32 v87, v87 offset:768
	v_add_u32_e32 v88, 1, v84
	s_waitcnt lgkmcnt(0)
	v_cmp_lt_i32_e64 s[16:17], v87, v85
	v_cndmask_b32_e64 v83, v83, v84, s[16:17]
	v_cndmask_b32_e64 v86, v88, v86, s[16:17]
	v_cmp_ge_i32_e64 s[16:17], v86, v83
	s_or_b64 s[20:21], s[16:17], s[20:21]
	s_andn2_b64 exec, exec, s[20:21]
	s_cbranch_execnz .LBB35_76
; %bb.77:                               ;   in Loop: Header=BB35_2 Depth=1
	s_or_b64 exec, exec, s[20:21]
.LBB35_78:                              ;   in Loop: Header=BB35_2 Depth=1
	s_or_b64 exec, exec, s[18:19]
	v_lshl_add_u32 v88, v86, 2, v76
	v_sub_u32_e32 v83, v57, v86
	v_lshlrev_b32_e32 v89, 2, v83
	ds_read_b32 v83, v88
	ds_read_b32 v85, v89 offset:768
	v_add_u32_e32 v84, v86, v53
	v_sub_u32_e32 v86, v58, v86
	v_cmp_le_i32_e64 s[18:19], v14, v84
	v_cmp_gt_i32_e64 s[16:17], v13, v86
	s_waitcnt lgkmcnt(0)
	v_cmp_lt_i32_e64 s[20:21], v85, v83
	s_or_b64 s[18:19], s[18:19], s[20:21]
	s_and_b64 s[16:17], s[16:17], s[18:19]
	s_xor_b64 s[18:19], s[16:17], -1
                                        ; implicit-def: $vgpr87
	s_and_saveexec_b64 s[20:21], s[18:19]
	s_xor_b64 s[18:19], exec, s[20:21]
; %bb.79:                               ;   in Loop: Header=BB35_2 Depth=1
	ds_read_b32 v87, v88 offset:4
                                        ; implicit-def: $vgpr89
; %bb.80:                               ;   in Loop: Header=BB35_2 Depth=1
	s_or_saveexec_b64 s[18:19], s[18:19]
	v_mov_b32_e32 v88, v85
	s_xor_b64 exec, exec, s[18:19]
	s_cbranch_execz .LBB35_82
; %bb.81:                               ;   in Loop: Header=BB35_2 Depth=1
	ds_read_b32 v88, v89 offset:772
	s_waitcnt lgkmcnt(1)
	v_mov_b32_e32 v87, v83
.LBB35_82:                              ;   in Loop: Header=BB35_2 Depth=1
	s_or_b64 exec, exec, s[18:19]
	v_add_u32_e32 v90, 1, v84
	v_add_u32_e32 v89, 1, v86
	v_cndmask_b32_e64 v90, v90, v84, s[16:17]
	v_cndmask_b32_e64 v89, v86, v89, s[16:17]
	v_cmp_ge_i32_e64 s[20:21], v90, v14
	s_waitcnt lgkmcnt(0)
	v_cmp_lt_i32_e64 s[22:23], v88, v87
	v_cmp_lt_i32_e64 s[18:19], v89, v13
	s_or_b64 s[20:21], s[20:21], s[22:23]
	s_and_b64 s[18:19], s[18:19], s[20:21]
	s_xor_b64 s[20:21], s[18:19], -1
                                        ; implicit-def: $vgpr91
	s_and_saveexec_b64 s[22:23], s[20:21]
	s_xor_b64 s[20:21], exec, s[22:23]
; %bb.83:                               ;   in Loop: Header=BB35_2 Depth=1
	v_lshlrev_b32_e32 v91, 2, v90
	ds_read_b32 v91, v91 offset:4
; %bb.84:                               ;   in Loop: Header=BB35_2 Depth=1
	s_or_saveexec_b64 s[20:21], s[20:21]
	v_mov_b32_e32 v92, v88
	s_xor_b64 exec, exec, s[20:21]
	s_cbranch_execz .LBB35_86
; %bb.85:                               ;   in Loop: Header=BB35_2 Depth=1
	s_waitcnt lgkmcnt(0)
	v_lshlrev_b32_e32 v91, 2, v89
	ds_read_b32 v92, v91 offset:4
	v_mov_b32_e32 v91, v87
.LBB35_86:                              ;   in Loop: Header=BB35_2 Depth=1
	s_or_b64 exec, exec, s[20:21]
	v_add_u32_e32 v93, 1, v90
	v_cndmask_b32_e64 v87, v87, v88, s[18:19]
	v_add_u32_e32 v88, 1, v89
	v_cndmask_b32_e64 v93, v93, v90, s[18:19]
	v_cndmask_b32_e64 v88, v89, v88, s[18:19]
	;; [unrolled: 1-line block ×3, first 2 shown]
	v_cmp_ge_i32_e64 s[18:19], v93, v14
	s_waitcnt lgkmcnt(0)
	v_cmp_lt_i32_e64 s[20:21], v92, v91
	v_cndmask_b32_e64 v83, v83, v85, s[16:17]
	v_cndmask_b32_e64 v84, v84, v86, s[16:17]
	v_cmp_lt_i32_e64 s[16:17], v88, v13
	s_or_b64 s[18:19], s[18:19], s[20:21]
	s_and_b64 s[16:17], s[16:17], s[18:19]
	v_cndmask_b32_e64 v86, v93, v88, s[16:17]
	s_barrier
	ds_write2_b32 v69, v80, v81 offset1:1
	ds_write_b32 v69, v82 offset:8
	v_lshlrev_b32_e32 v80, 2, v84
	v_lshlrev_b32_e32 v81, 2, v89
	;; [unrolled: 1-line block ×3, first 2 shown]
	s_waitcnt lgkmcnt(0)
	s_barrier
	ds_read_b32 v80, v80
	ds_read_b32 v81, v81
	;; [unrolled: 1-line block ×3, first 2 shown]
	v_mov_b32_e32 v86, v60
	v_cndmask_b32_e64 v85, v91, v92, s[16:17]
	s_waitcnt lgkmcnt(0)
	s_barrier
	ds_write2_b32 v69, v83, v87 offset1:1
	ds_write_b32 v69, v85 offset:8
	s_waitcnt lgkmcnt(0)
	s_barrier
	s_and_saveexec_b64 s[18:19], s[12:13]
	s_cbranch_execz .LBB35_90
; %bb.87:                               ;   in Loop: Header=BB35_2 Depth=1
	s_mov_b64 s[20:21], 0
	v_mov_b32_e32 v86, v60
	v_mov_b32_e32 v83, v61
.LBB35_88:                              ;   Parent Loop BB35_2 Depth=1
                                        ; =>  This Inner Loop Header: Depth=2
	v_sub_u32_e32 v84, v83, v86
	v_lshrrev_b32_e32 v84, 1, v84
	v_add_u32_e32 v84, v84, v86
	v_not_b32_e32 v87, v84
	v_lshl_add_u32 v85, v84, 2, v77
	v_lshl_add_u32 v87, v87, 2, v62
	ds_read_b32 v85, v85
	ds_read_b32 v87, v87 offset:1536
	v_add_u32_e32 v88, 1, v84
	s_waitcnt lgkmcnt(0)
	v_cmp_lt_i32_e64 s[16:17], v87, v85
	v_cndmask_b32_e64 v83, v83, v84, s[16:17]
	v_cndmask_b32_e64 v86, v88, v86, s[16:17]
	v_cmp_ge_i32_e64 s[16:17], v86, v83
	s_or_b64 s[20:21], s[16:17], s[20:21]
	s_andn2_b64 exec, exec, s[20:21]
	s_cbranch_execnz .LBB35_88
; %bb.89:                               ;   in Loop: Header=BB35_2 Depth=1
	s_or_b64 exec, exec, s[20:21]
.LBB35_90:                              ;   in Loop: Header=BB35_2 Depth=1
	s_or_b64 exec, exec, s[18:19]
	v_lshl_add_u32 v88, v86, 2, v77
	v_sub_u32_e32 v83, v63, v86
	v_lshlrev_b32_e32 v89, 2, v83
	ds_read_b32 v83, v88
	ds_read_b32 v85, v89 offset:1536
	v_add_u32_e32 v84, v86, v59
	v_sub_u32_e32 v86, v64, v86
	v_cmp_le_i32_e64 s[18:19], v16, v84
	v_cmp_gt_i32_e64 s[16:17], v15, v86
	s_waitcnt lgkmcnt(0)
	v_cmp_lt_i32_e64 s[20:21], v85, v83
	s_or_b64 s[18:19], s[18:19], s[20:21]
	s_and_b64 s[16:17], s[16:17], s[18:19]
	s_xor_b64 s[18:19], s[16:17], -1
                                        ; implicit-def: $vgpr87
	s_and_saveexec_b64 s[20:21], s[18:19]
	s_xor_b64 s[18:19], exec, s[20:21]
; %bb.91:                               ;   in Loop: Header=BB35_2 Depth=1
	ds_read_b32 v87, v88 offset:4
                                        ; implicit-def: $vgpr89
; %bb.92:                               ;   in Loop: Header=BB35_2 Depth=1
	s_or_saveexec_b64 s[18:19], s[18:19]
	v_mov_b32_e32 v88, v85
	s_xor_b64 exec, exec, s[18:19]
	s_cbranch_execz .LBB35_94
; %bb.93:                               ;   in Loop: Header=BB35_2 Depth=1
	ds_read_b32 v88, v89 offset:1540
	s_waitcnt lgkmcnt(1)
	v_mov_b32_e32 v87, v83
.LBB35_94:                              ;   in Loop: Header=BB35_2 Depth=1
	s_or_b64 exec, exec, s[18:19]
	v_add_u32_e32 v90, 1, v84
	v_add_u32_e32 v89, 1, v86
	v_cndmask_b32_e64 v90, v90, v84, s[16:17]
	v_cndmask_b32_e64 v89, v86, v89, s[16:17]
	v_cmp_ge_i32_e64 s[20:21], v90, v16
	s_waitcnt lgkmcnt(0)
	v_cmp_lt_i32_e64 s[22:23], v88, v87
	v_cmp_lt_i32_e64 s[18:19], v89, v15
	s_or_b64 s[20:21], s[20:21], s[22:23]
	s_and_b64 s[18:19], s[18:19], s[20:21]
	s_xor_b64 s[20:21], s[18:19], -1
                                        ; implicit-def: $vgpr91
	s_and_saveexec_b64 s[22:23], s[20:21]
	s_xor_b64 s[20:21], exec, s[22:23]
; %bb.95:                               ;   in Loop: Header=BB35_2 Depth=1
	v_lshlrev_b32_e32 v91, 2, v90
	ds_read_b32 v91, v91 offset:4
; %bb.96:                               ;   in Loop: Header=BB35_2 Depth=1
	s_or_saveexec_b64 s[20:21], s[20:21]
	v_mov_b32_e32 v92, v88
	s_xor_b64 exec, exec, s[20:21]
	s_cbranch_execz .LBB35_98
; %bb.97:                               ;   in Loop: Header=BB35_2 Depth=1
	s_waitcnt lgkmcnt(0)
	v_lshlrev_b32_e32 v91, 2, v89
	ds_read_b32 v92, v91 offset:4
	v_mov_b32_e32 v91, v87
.LBB35_98:                              ;   in Loop: Header=BB35_2 Depth=1
	s_or_b64 exec, exec, s[20:21]
	v_add_u32_e32 v93, 1, v90
	v_cndmask_b32_e64 v87, v87, v88, s[18:19]
	v_add_u32_e32 v88, 1, v89
	v_cndmask_b32_e64 v93, v93, v90, s[18:19]
	v_cndmask_b32_e64 v88, v89, v88, s[18:19]
	v_cndmask_b32_e64 v89, v90, v89, s[18:19]
	v_cmp_ge_i32_e64 s[18:19], v93, v16
	s_waitcnt lgkmcnt(0)
	v_cmp_lt_i32_e64 s[20:21], v92, v91
	v_cndmask_b32_e64 v83, v83, v85, s[16:17]
	v_cndmask_b32_e64 v84, v84, v86, s[16:17]
	v_cmp_lt_i32_e64 s[16:17], v88, v15
	s_or_b64 s[18:19], s[18:19], s[20:21]
	s_and_b64 s[16:17], s[16:17], s[18:19]
	v_cndmask_b32_e64 v86, v93, v88, s[16:17]
	s_barrier
	ds_write2_b32 v69, v80, v81 offset1:1
	ds_write_b32 v69, v82 offset:8
	v_lshlrev_b32_e32 v80, 2, v84
	v_lshlrev_b32_e32 v81, 2, v89
	;; [unrolled: 1-line block ×3, first 2 shown]
	s_waitcnt lgkmcnt(0)
	s_barrier
	ds_read_b32 v80, v80
	ds_read_b32 v81, v81
	;; [unrolled: 1-line block ×3, first 2 shown]
	v_cndmask_b32_e64 v85, v91, v92, s[16:17]
	s_waitcnt lgkmcnt(0)
	s_barrier
	ds_write2_b32 v69, v83, v87 offset1:1
	ds_write_b32 v69, v85 offset:8
	v_mov_b32_e32 v83, v67
	s_waitcnt lgkmcnt(0)
	s_barrier
	s_and_saveexec_b64 s[18:19], s[14:15]
	s_cbranch_execz .LBB35_102
; %bb.99:                               ;   in Loop: Header=BB35_2 Depth=1
	s_mov_b64 s[20:21], 0
	v_mov_b32_e32 v83, v67
	v_mov_b32_e32 v84, v68
.LBB35_100:                             ;   Parent Loop BB35_2 Depth=1
                                        ; =>  This Inner Loop Header: Depth=2
	v_sub_u32_e32 v85, v84, v83
	v_lshrrev_b32_e32 v85, 1, v85
	v_add_u32_e32 v85, v85, v83
	v_not_b32_e32 v87, v85
	v_lshlrev_b32_e32 v86, 2, v85
	v_lshl_add_u32 v87, v87, 2, v79
	ds_read_b32 v86, v86
	ds_read_b32 v87, v87 offset:3072
	v_add_u32_e32 v88, 1, v85
	s_waitcnt lgkmcnt(0)
	v_cmp_lt_i32_e64 s[16:17], v87, v86
	v_cndmask_b32_e64 v84, v84, v85, s[16:17]
	v_cndmask_b32_e64 v83, v88, v83, s[16:17]
	v_cmp_ge_i32_e64 s[16:17], v83, v84
	s_or_b64 s[20:21], s[16:17], s[20:21]
	s_andn2_b64 exec, exec, s[20:21]
	s_cbranch_execnz .LBB35_100
; %bb.101:                              ;   in Loop: Header=BB35_2 Depth=1
	s_or_b64 exec, exec, s[20:21]
.LBB35_102:                             ;   in Loop: Header=BB35_2 Depth=1
	s_or_b64 exec, exec, s[18:19]
	v_lshlrev_b32_e32 v88, 2, v83
	v_sub_u32_e32 v84, v66, v83
	v_lshlrev_b32_e32 v89, 2, v84
	ds_read_b32 v84, v88
	ds_read_b32 v85, v89 offset:3072
	v_sub_u32_e32 v87, v78, v83
	v_cmp_le_i32_e64 s[18:19], v65, v83
	v_cmp_gt_i32_e64 s[16:17], s33, v87
                                        ; implicit-def: $vgpr86
	s_waitcnt lgkmcnt(0)
	v_cmp_lt_i32_e64 s[20:21], v85, v84
	s_or_b64 s[18:19], s[18:19], s[20:21]
	s_and_b64 s[16:17], s[16:17], s[18:19]
	s_xor_b64 s[18:19], s[16:17], -1
	s_and_saveexec_b64 s[20:21], s[18:19]
	s_xor_b64 s[18:19], exec, s[20:21]
; %bb.103:                              ;   in Loop: Header=BB35_2 Depth=1
	ds_read_b32 v86, v88 offset:4
                                        ; implicit-def: $vgpr89
; %bb.104:                              ;   in Loop: Header=BB35_2 Depth=1
	s_or_saveexec_b64 s[18:19], s[18:19]
	v_mov_b32_e32 v88, v85
	s_xor_b64 exec, exec, s[18:19]
	s_cbranch_execz .LBB35_106
; %bb.105:                              ;   in Loop: Header=BB35_2 Depth=1
	ds_read_b32 v88, v89 offset:3076
	s_waitcnt lgkmcnt(1)
	v_mov_b32_e32 v86, v84
.LBB35_106:                             ;   in Loop: Header=BB35_2 Depth=1
	s_or_b64 exec, exec, s[18:19]
	v_add_u32_e32 v90, 1, v83
	v_add_u32_e32 v89, 1, v87
	v_cndmask_b32_e64 v93, v90, v83, s[16:17]
	v_cndmask_b32_e64 v89, v87, v89, s[16:17]
	v_cmp_ge_i32_e64 s[20:21], v93, v65
	s_waitcnt lgkmcnt(0)
	v_cmp_lt_i32_e64 s[22:23], v88, v86
	v_cmp_gt_i32_e64 s[18:19], s33, v89
	s_or_b64 s[20:21], s[20:21], s[22:23]
	s_and_b64 s[18:19], s[18:19], s[20:21]
	s_xor_b64 s[20:21], s[18:19], -1
                                        ; implicit-def: $vgpr91
                                        ; implicit-def: $vgpr90
	s_and_saveexec_b64 s[22:23], s[20:21]
	s_xor_b64 s[20:21], exec, s[22:23]
; %bb.107:                              ;   in Loop: Header=BB35_2 Depth=1
	v_lshlrev_b32_e32 v90, 2, v93
	ds_read_b32 v91, v90 offset:4
	v_add_u32_e32 v90, 1, v93
; %bb.108:                              ;   in Loop: Header=BB35_2 Depth=1
	s_or_saveexec_b64 s[20:21], s[20:21]
	v_mov_b32_e32 v92, v93
	v_mov_b32_e32 v94, v88
	s_xor_b64 exec, exec, s[20:21]
	s_cbranch_execz .LBB35_1
; %bb.109:                              ;   in Loop: Header=BB35_2 Depth=1
	v_lshlrev_b32_e32 v90, 2, v89
	ds_read_b32 v94, v90 offset:4
	s_waitcnt lgkmcnt(1)
	v_add_u32_e32 v91, 1, v89
	v_mov_b32_e32 v92, v89
	v_mov_b32_e32 v90, v93
	v_mov_b32_e32 v89, v91
	v_mov_b32_e32 v91, v86
	s_branch .LBB35_1
.LBB35_110:
	s_add_u32 s0, s30, s34
	s_addc_u32 s1, s31, s35
	v_lshlrev_b32_e32 v0, 2, v0
	v_mov_b32_e32 v4, s1
	v_add_co_u32_e32 v5, vcc, s0, v0
	s_waitcnt lgkmcnt(2)
	v_add_u32_e32 v1, v84, v80
	v_addc_co_u32_e32 v4, vcc, 0, v4, vcc
	s_waitcnt lgkmcnt(1)
	v_add_u32_e32 v2, v85, v82
	global_store_dword v0, v1, s[0:1]
	global_store_dword v0, v2, s[0:1] offset:2048
	v_add_co_u32_e32 v0, vcc, 0x1000, v5
	s_waitcnt lgkmcnt(0)
	v_add_u32_e32 v3, v83, v81
	v_addc_co_u32_e32 v1, vcc, 0, v4, vcc
	global_store_dword v[0:1], v3, off
	s_endpgm
	.section	.rodata,"a",@progbits
	.p2align	6, 0x0
	.amdhsa_kernel _Z17sort_pairs_kernelIiLj512ELj3EN10test_utils4lessELj10EEvPKT_PS2_T2_
		.amdhsa_group_segment_fixed_size 6148
		.amdhsa_private_segment_fixed_size 0
		.amdhsa_kernarg_size 20
		.amdhsa_user_sgpr_count 6
		.amdhsa_user_sgpr_private_segment_buffer 1
		.amdhsa_user_sgpr_dispatch_ptr 0
		.amdhsa_user_sgpr_queue_ptr 0
		.amdhsa_user_sgpr_kernarg_segment_ptr 1
		.amdhsa_user_sgpr_dispatch_id 0
		.amdhsa_user_sgpr_flat_scratch_init 0
		.amdhsa_user_sgpr_private_segment_size 0
		.amdhsa_uses_dynamic_stack 0
		.amdhsa_system_sgpr_private_segment_wavefront_offset 0
		.amdhsa_system_sgpr_workgroup_id_x 1
		.amdhsa_system_sgpr_workgroup_id_y 0
		.amdhsa_system_sgpr_workgroup_id_z 0
		.amdhsa_system_sgpr_workgroup_info 0
		.amdhsa_system_vgpr_workitem_id 0
		.amdhsa_next_free_vgpr 95
		.amdhsa_next_free_sgpr 38
		.amdhsa_reserve_vcc 1
		.amdhsa_reserve_flat_scratch 0
		.amdhsa_float_round_mode_32 0
		.amdhsa_float_round_mode_16_64 0
		.amdhsa_float_denorm_mode_32 3
		.amdhsa_float_denorm_mode_16_64 3
		.amdhsa_dx10_clamp 1
		.amdhsa_ieee_mode 1
		.amdhsa_fp16_overflow 0
		.amdhsa_exception_fp_ieee_invalid_op 0
		.amdhsa_exception_fp_denorm_src 0
		.amdhsa_exception_fp_ieee_div_zero 0
		.amdhsa_exception_fp_ieee_overflow 0
		.amdhsa_exception_fp_ieee_underflow 0
		.amdhsa_exception_fp_ieee_inexact 0
		.amdhsa_exception_int_div_zero 0
	.end_amdhsa_kernel
	.section	.text._Z17sort_pairs_kernelIiLj512ELj3EN10test_utils4lessELj10EEvPKT_PS2_T2_,"axG",@progbits,_Z17sort_pairs_kernelIiLj512ELj3EN10test_utils4lessELj10EEvPKT_PS2_T2_,comdat
.Lfunc_end35:
	.size	_Z17sort_pairs_kernelIiLj512ELj3EN10test_utils4lessELj10EEvPKT_PS2_T2_, .Lfunc_end35-_Z17sort_pairs_kernelIiLj512ELj3EN10test_utils4lessELj10EEvPKT_PS2_T2_
                                        ; -- End function
	.set _Z17sort_pairs_kernelIiLj512ELj3EN10test_utils4lessELj10EEvPKT_PS2_T2_.num_vgpr, 95
	.set _Z17sort_pairs_kernelIiLj512ELj3EN10test_utils4lessELj10EEvPKT_PS2_T2_.num_agpr, 0
	.set _Z17sort_pairs_kernelIiLj512ELj3EN10test_utils4lessELj10EEvPKT_PS2_T2_.numbered_sgpr, 38
	.set _Z17sort_pairs_kernelIiLj512ELj3EN10test_utils4lessELj10EEvPKT_PS2_T2_.num_named_barrier, 0
	.set _Z17sort_pairs_kernelIiLj512ELj3EN10test_utils4lessELj10EEvPKT_PS2_T2_.private_seg_size, 0
	.set _Z17sort_pairs_kernelIiLj512ELj3EN10test_utils4lessELj10EEvPKT_PS2_T2_.uses_vcc, 1
	.set _Z17sort_pairs_kernelIiLj512ELj3EN10test_utils4lessELj10EEvPKT_PS2_T2_.uses_flat_scratch, 0
	.set _Z17sort_pairs_kernelIiLj512ELj3EN10test_utils4lessELj10EEvPKT_PS2_T2_.has_dyn_sized_stack, 0
	.set _Z17sort_pairs_kernelIiLj512ELj3EN10test_utils4lessELj10EEvPKT_PS2_T2_.has_recursion, 0
	.set _Z17sort_pairs_kernelIiLj512ELj3EN10test_utils4lessELj10EEvPKT_PS2_T2_.has_indirect_call, 0
	.section	.AMDGPU.csdata,"",@progbits
; Kernel info:
; codeLenInByte = 6724
; TotalNumSgprs: 42
; NumVgprs: 95
; ScratchSize: 0
; MemoryBound: 0
; FloatMode: 240
; IeeeMode: 1
; LDSByteSize: 6148 bytes/workgroup (compile time only)
; SGPRBlocks: 5
; VGPRBlocks: 23
; NumSGPRsForWavesPerEU: 42
; NumVGPRsForWavesPerEU: 95
; Occupancy: 2
; WaveLimiterHint : 1
; COMPUTE_PGM_RSRC2:SCRATCH_EN: 0
; COMPUTE_PGM_RSRC2:USER_SGPR: 6
; COMPUTE_PGM_RSRC2:TRAP_HANDLER: 0
; COMPUTE_PGM_RSRC2:TGID_X_EN: 1
; COMPUTE_PGM_RSRC2:TGID_Y_EN: 0
; COMPUTE_PGM_RSRC2:TGID_Z_EN: 0
; COMPUTE_PGM_RSRC2:TIDIG_COMP_CNT: 0
	.section	.text._Z16sort_keys_kernelIiLj512ELj4EN10test_utils4lessELj10EEvPKT_PS2_T2_,"axG",@progbits,_Z16sort_keys_kernelIiLj512ELj4EN10test_utils4lessELj10EEvPKT_PS2_T2_,comdat
	.protected	_Z16sort_keys_kernelIiLj512ELj4EN10test_utils4lessELj10EEvPKT_PS2_T2_ ; -- Begin function _Z16sort_keys_kernelIiLj512ELj4EN10test_utils4lessELj10EEvPKT_PS2_T2_
	.globl	_Z16sort_keys_kernelIiLj512ELj4EN10test_utils4lessELj10EEvPKT_PS2_T2_
	.p2align	8
	.type	_Z16sort_keys_kernelIiLj512ELj4EN10test_utils4lessELj10EEvPKT_PS2_T2_,@function
_Z16sort_keys_kernelIiLj512ELj4EN10test_utils4lessELj10EEvPKT_PS2_T2_: ; @_Z16sort_keys_kernelIiLj512ELj4EN10test_utils4lessELj10EEvPKT_PS2_T2_
; %bb.0:
	s_load_dwordx4 s[24:27], s[4:5], 0x0
	s_lshl_b32 s28, s6, 11
	s_mov_b32 s29, 0
	s_lshl_b64 s[30:31], s[28:29], 2
	v_lshlrev_b32_e32 v44, 2, v0
	s_waitcnt lgkmcnt(0)
	s_add_u32 s0, s24, s30
	s_addc_u32 s1, s25, s31
	v_mov_b32_e32 v1, s1
	v_add_co_u32_e32 v2, vcc, s0, v44
	v_addc_co_u32_e32 v1, vcc, 0, v1, vcc
	s_movk_i32 s2, 0x1000
	v_add_co_u32_e32 v25, vcc, s2, v2
	v_addc_co_u32_e32 v26, vcc, 0, v1, vcc
	global_load_dword v71, v[25:26], off
	global_load_dword v72, v[25:26], off offset:2048
	global_load_dword v73, v44, s[0:1]
	global_load_dword v74, v44, s[0:1] offset:2048
	v_and_b32_e32 v1, 0x7f0, v44
	v_and_b32_e32 v4, 0x7e0, v44
	;; [unrolled: 1-line block ×7, first 2 shown]
	v_or_b32_e32 v2, 8, v1
	v_add_u32_e32 v3, 16, v1
	v_or_b32_e32 v5, 16, v4
	v_add_u32_e32 v6, 32, v4
	;; [unrolled: 2-line block ×7, first 2 shown]
	v_and_b32_e32 v22, 0x7f8, v44
	v_and_b32_e32 v48, 12, v44
	v_sub_u32_e32 v27, v3, v2
	v_and_b32_e32 v50, 28, v44
	v_sub_u32_e32 v29, v6, v5
	;; [unrolled: 2-line block ×7, first 2 shown]
	v_or_b32_e32 v23, 4, v22
	v_add_u32_e32 v24, 8, v22
	v_sub_u32_e32 v28, v48, v27
	v_sub_u32_e32 v30, v50, v29
	;; [unrolled: 1-line block ×7, first 2 shown]
	v_and_b32_e32 v46, 4, v44
	v_sub_u32_e32 v41, v24, v23
	v_cmp_ge_i32_e64 s[0:1], v48, v27
	v_cmp_ge_i32_e64 s[2:3], v50, v29
	;; [unrolled: 1-line block ×7, first 2 shown]
	v_sub_u32_e32 v42, v46, v41
	v_cmp_ge_i32_e32 vcc, v46, v41
	v_sub_u32_e32 v26, v23, v22
	v_cndmask_b32_e64 v27, 0, v28, s[0:1]
	v_sub_u32_e32 v28, v2, v1
	v_cndmask_b32_e64 v29, 0, v30, s[2:3]
	;; [unrolled: 2-line block ×7, first 2 shown]
	v_sub_u32_e32 v40, v20, v19
	v_mov_b32_e32 v41, 0x400
	v_cndmask_b32_e32 v25, 0, v42, vcc
	v_min_i32_e32 v26, v46, v26
	v_min_i32_e32 v28, v48, v28
	;; [unrolled: 1-line block ×8, first 2 shown]
	v_sub_u32_e64 v42, v44, v41 clamp
	v_min_i32_e32 v43, 0x400, v44
	v_add_u32_e32 v45, v23, v46
	v_lshlrev_b32_e32 v46, 2, v46
	v_add_u32_e32 v47, v2, v48
	v_lshlrev_b32_e32 v48, 2, v48
	;; [unrolled: 2-line block ×8, first 2 shown]
	v_lshlrev_b32_e32 v61, 4, v0
	v_cmp_lt_i32_e32 vcc, v25, v26
	v_cmp_lt_i32_e64 s[0:1], v27, v28
	v_cmp_lt_i32_e64 s[2:3], v29, v30
	v_cmp_lt_i32_e64 s[4:5], v31, v32
	v_cmp_lt_i32_e64 s[6:7], v33, v34
	v_cmp_lt_i32_e64 s[8:9], v35, v36
	v_cmp_lt_i32_e64 s[10:11], v37, v38
	v_cmp_lt_i32_e64 s[12:13], v39, v40
	v_cmp_lt_i32_e64 s[14:15], v42, v43
	v_add_u32_e32 v44, 0x400, v44
	v_lshl_add_u32 v46, v23, 2, v46
	v_lshl_add_u32 v48, v2, 2, v48
	;; [unrolled: 1-line block ×8, first 2 shown]
	s_movk_i32 s28, 0x800
	v_lshlrev_b32_e32 v62, 2, v22
	v_lshlrev_b32_e32 v63, 2, v1
	;; [unrolled: 1-line block ×8, first 2 shown]
	v_add_u32_e32 v70, 0x1000, v61
	s_branch .LBB36_2
.LBB36_1:                               ;   in Loop: Header=BB36_2 Depth=1
	s_or_b64 exec, exec, s[22:23]
	v_cndmask_b32_e64 v73, v71, v72, s[16:17]
	v_cndmask_b32_e64 v74, v74, v75, s[18:19]
	;; [unrolled: 1-line block ×3, first 2 shown]
	v_cmp_ge_i32_e64 s[18:19], v80, v41
	s_waitcnt lgkmcnt(0)
	v_cmp_lt_i32_e64 s[20:21], v81, v79
	v_cmp_gt_i32_e64 s[16:17], s28, v78
	s_or_b64 s[18:19], s[18:19], s[20:21]
	s_and_b64 s[16:17], s[16:17], s[18:19]
	s_add_i32 s29, s29, 1
	s_cmp_eq_u32 s29, 10
	v_cndmask_b32_e64 v72, v79, v81, s[16:17]
	s_cbranch_scc1 .LBB36_146
.LBB36_2:                               ; =>This Loop Header: Depth=1
                                        ;     Child Loop BB36_4 Depth 2
                                        ;     Child Loop BB36_20 Depth 2
	;; [unrolled: 1-line block ×9, first 2 shown]
	s_waitcnt vmcnt(0)
	v_cmp_lt_i32_e64 s[16:17], v74, v73
	v_cndmask_b32_e64 v75, v73, v74, s[16:17]
	v_cndmask_b32_e64 v76, v74, v73, s[16:17]
	v_cmp_lt_i32_e64 s[16:17], v72, v71
	v_min_i32_e32 v77, v74, v73
	v_max_i32_e32 v73, v74, v73
	v_cndmask_b32_e64 v74, v72, v71, s[16:17]
	v_cndmask_b32_e64 v78, v71, v72, s[16:17]
	v_max_i32_e32 v79, v72, v71
	v_min_i32_e32 v71, v72, v71
	v_cmp_lt_i32_e64 s[16:17], v71, v73
	v_cndmask_b32_e64 v72, v78, v73, s[16:17]
	v_cndmask_b32_e64 v76, v76, v71, s[16:17]
	v_min_i32_e32 v80, v71, v73
	v_cmp_lt_i32_e64 s[16:17], v71, v77
	v_max_i32_e32 v78, v71, v73
	v_cndmask_b32_e64 v71, v75, v80, s[16:17]
	v_cndmask_b32_e64 v75, v76, v77, s[16:17]
	;; [unrolled: 1-line block ×3, first 2 shown]
	v_cmp_gt_i32_e64 s[16:17], v73, v79
	v_cndmask_b32_e64 v73, v74, v78, s[16:17]
	v_cndmask_b32_e64 v74, v78, v79, s[16:17]
	;; [unrolled: 1-line block ×3, first 2 shown]
	v_cmp_lt_i32_e64 s[16:17], v74, v76
	v_cndmask_b32_e64 v74, v75, v74, s[16:17]
	v_cndmask_b32_e64 v72, v72, v76, s[16:17]
	s_barrier
	ds_write2_b32 v61, v71, v74 offset1:1
	ds_write2_b32 v61, v72, v73 offset0:2 offset1:3
	v_mov_b32_e32 v73, v25
	s_waitcnt lgkmcnt(0)
	s_barrier
	s_and_saveexec_b64 s[18:19], vcc
	s_cbranch_execz .LBB36_6
; %bb.3:                                ;   in Loop: Header=BB36_2 Depth=1
	s_mov_b64 s[20:21], 0
	v_mov_b32_e32 v73, v25
	v_mov_b32_e32 v71, v26
.LBB36_4:                               ;   Parent Loop BB36_2 Depth=1
                                        ; =>  This Inner Loop Header: Depth=2
	v_sub_u32_e32 v72, v71, v73
	v_lshrrev_b32_e32 v72, 1, v72
	v_add_u32_e32 v72, v72, v73
	v_not_b32_e32 v75, v72
	v_lshl_add_u32 v74, v72, 2, v62
	v_lshl_add_u32 v75, v75, 2, v46
	ds_read_b32 v74, v74
	ds_read_b32 v75, v75
	v_add_u32_e32 v76, 1, v72
	s_waitcnt lgkmcnt(0)
	v_cmp_lt_i32_e64 s[16:17], v75, v74
	v_cndmask_b32_e64 v71, v71, v72, s[16:17]
	v_cndmask_b32_e64 v73, v76, v73, s[16:17]
	v_cmp_ge_i32_e64 s[16:17], v73, v71
	s_or_b64 s[20:21], s[16:17], s[20:21]
	s_andn2_b64 exec, exec, s[20:21]
	s_cbranch_execnz .LBB36_4
; %bb.5:                                ;   in Loop: Header=BB36_2 Depth=1
	s_or_b64 exec, exec, s[20:21]
.LBB36_6:                               ;   in Loop: Header=BB36_2 Depth=1
	s_or_b64 exec, exec, s[18:19]
	v_sub_u32_e32 v75, v45, v73
	v_lshl_add_u32 v74, v73, 2, v62
	v_lshlrev_b32_e32 v77, 2, v75
	ds_read_b32 v71, v74
	ds_read_b32 v72, v77
	v_add_u32_e32 v76, v73, v22
	v_cmp_le_i32_e64 s[18:19], v23, v76
	v_cmp_gt_i32_e64 s[16:17], v24, v75
                                        ; implicit-def: $vgpr73
	s_waitcnt lgkmcnt(0)
	v_cmp_lt_i32_e64 s[20:21], v72, v71
	s_or_b64 s[18:19], s[18:19], s[20:21]
	s_and_b64 s[16:17], s[16:17], s[18:19]
	s_xor_b64 s[18:19], s[16:17], -1
	s_and_saveexec_b64 s[20:21], s[18:19]
	s_xor_b64 s[18:19], exec, s[20:21]
; %bb.7:                                ;   in Loop: Header=BB36_2 Depth=1
	ds_read_b32 v73, v74 offset:4
                                        ; implicit-def: $vgpr77
; %bb.8:                                ;   in Loop: Header=BB36_2 Depth=1
	s_or_saveexec_b64 s[18:19], s[18:19]
	v_mov_b32_e32 v74, v72
	s_xor_b64 exec, exec, s[18:19]
	s_cbranch_execz .LBB36_10
; %bb.9:                                ;   in Loop: Header=BB36_2 Depth=1
	ds_read_b32 v74, v77 offset:4
	s_waitcnt lgkmcnt(1)
	v_mov_b32_e32 v73, v71
.LBB36_10:                              ;   in Loop: Header=BB36_2 Depth=1
	s_or_b64 exec, exec, s[18:19]
	v_add_u32_e32 v78, 1, v76
	v_add_u32_e32 v77, 1, v75
	v_cndmask_b32_e64 v78, v78, v76, s[16:17]
	v_cndmask_b32_e64 v77, v75, v77, s[16:17]
	v_cmp_ge_i32_e64 s[20:21], v78, v23
	s_waitcnt lgkmcnt(0)
	v_cmp_lt_i32_e64 s[22:23], v74, v73
	v_cmp_lt_i32_e64 s[18:19], v77, v24
	s_or_b64 s[20:21], s[20:21], s[22:23]
	s_and_b64 s[18:19], s[18:19], s[20:21]
	s_xor_b64 s[20:21], s[18:19], -1
                                        ; implicit-def: $vgpr75
	s_and_saveexec_b64 s[22:23], s[20:21]
	s_xor_b64 s[20:21], exec, s[22:23]
; %bb.11:                               ;   in Loop: Header=BB36_2 Depth=1
	v_lshlrev_b32_e32 v75, 2, v78
	ds_read_b32 v75, v75 offset:4
; %bb.12:                               ;   in Loop: Header=BB36_2 Depth=1
	s_or_saveexec_b64 s[20:21], s[20:21]
	v_mov_b32_e32 v76, v74
	s_xor_b64 exec, exec, s[20:21]
	s_cbranch_execz .LBB36_14
; %bb.13:                               ;   in Loop: Header=BB36_2 Depth=1
	s_waitcnt lgkmcnt(0)
	v_lshlrev_b32_e32 v75, 2, v77
	ds_read_b32 v76, v75 offset:4
	v_mov_b32_e32 v75, v73
.LBB36_14:                              ;   in Loop: Header=BB36_2 Depth=1
	s_or_b64 exec, exec, s[20:21]
	v_add_u32_e32 v80, 1, v78
	v_add_u32_e32 v79, 1, v77
	v_cndmask_b32_e64 v78, v80, v78, s[18:19]
	v_cndmask_b32_e64 v77, v77, v79, s[18:19]
	v_cmp_ge_i32_e64 s[22:23], v78, v23
	s_waitcnt lgkmcnt(0)
	v_cmp_lt_i32_e64 s[24:25], v76, v75
	v_cmp_lt_i32_e64 s[20:21], v77, v24
	s_or_b64 s[22:23], s[22:23], s[24:25]
	s_and_b64 s[20:21], s[20:21], s[22:23]
	s_xor_b64 s[22:23], s[20:21], -1
                                        ; implicit-def: $vgpr79
	s_and_saveexec_b64 s[24:25], s[22:23]
	s_xor_b64 s[22:23], exec, s[24:25]
; %bb.15:                               ;   in Loop: Header=BB36_2 Depth=1
	v_lshlrev_b32_e32 v79, 2, v78
	ds_read_b32 v79, v79 offset:4
; %bb.16:                               ;   in Loop: Header=BB36_2 Depth=1
	s_or_saveexec_b64 s[22:23], s[22:23]
	v_mov_b32_e32 v80, v76
	s_xor_b64 exec, exec, s[22:23]
	s_cbranch_execz .LBB36_18
; %bb.17:                               ;   in Loop: Header=BB36_2 Depth=1
	s_waitcnt lgkmcnt(0)
	v_lshlrev_b32_e32 v79, 2, v77
	ds_read_b32 v80, v79 offset:4
	v_mov_b32_e32 v79, v75
.LBB36_18:                              ;   in Loop: Header=BB36_2 Depth=1
	s_or_b64 exec, exec, s[22:23]
	v_cndmask_b32_e64 v75, v75, v76, s[20:21]
	v_add_u32_e32 v76, 1, v77
	v_add_u32_e32 v81, 1, v78
	v_cndmask_b32_e64 v76, v77, v76, s[20:21]
	v_cndmask_b32_e64 v77, v81, v78, s[20:21]
	;; [unrolled: 1-line block ×3, first 2 shown]
	v_cmp_ge_i32_e64 s[18:19], v77, v23
	s_waitcnt lgkmcnt(0)
	v_cmp_lt_i32_e64 s[20:21], v80, v79
	v_cndmask_b32_e64 v71, v71, v72, s[16:17]
	v_cmp_lt_i32_e64 s[16:17], v76, v24
	s_or_b64 s[18:19], s[18:19], s[20:21]
	s_and_b64 s[16:17], s[16:17], s[18:19]
	v_cndmask_b32_e64 v72, v79, v80, s[16:17]
	s_barrier
	ds_write2_b32 v61, v71, v73 offset1:1
	ds_write2_b32 v61, v75, v72 offset0:2 offset1:3
	v_mov_b32_e32 v73, v27
	s_waitcnt lgkmcnt(0)
	s_barrier
	s_and_saveexec_b64 s[18:19], s[0:1]
	s_cbranch_execz .LBB36_22
; %bb.19:                               ;   in Loop: Header=BB36_2 Depth=1
	s_mov_b64 s[20:21], 0
	v_mov_b32_e32 v73, v27
	v_mov_b32_e32 v71, v28
.LBB36_20:                              ;   Parent Loop BB36_2 Depth=1
                                        ; =>  This Inner Loop Header: Depth=2
	v_sub_u32_e32 v72, v71, v73
	v_lshrrev_b32_e32 v72, 1, v72
	v_add_u32_e32 v72, v72, v73
	v_not_b32_e32 v75, v72
	v_lshl_add_u32 v74, v72, 2, v63
	v_lshl_add_u32 v75, v75, 2, v48
	ds_read_b32 v74, v74
	ds_read_b32 v75, v75
	v_add_u32_e32 v76, 1, v72
	s_waitcnt lgkmcnt(0)
	v_cmp_lt_i32_e64 s[16:17], v75, v74
	v_cndmask_b32_e64 v71, v71, v72, s[16:17]
	v_cndmask_b32_e64 v73, v76, v73, s[16:17]
	v_cmp_ge_i32_e64 s[16:17], v73, v71
	s_or_b64 s[20:21], s[16:17], s[20:21]
	s_andn2_b64 exec, exec, s[20:21]
	s_cbranch_execnz .LBB36_20
; %bb.21:                               ;   in Loop: Header=BB36_2 Depth=1
	s_or_b64 exec, exec, s[20:21]
.LBB36_22:                              ;   in Loop: Header=BB36_2 Depth=1
	s_or_b64 exec, exec, s[18:19]
	v_sub_u32_e32 v75, v47, v73
	v_lshl_add_u32 v74, v73, 2, v63
	v_lshlrev_b32_e32 v77, 2, v75
	ds_read_b32 v71, v74
	ds_read_b32 v72, v77
	v_add_u32_e32 v76, v73, v1
	v_cmp_le_i32_e64 s[18:19], v2, v76
	v_cmp_gt_i32_e64 s[16:17], v3, v75
                                        ; implicit-def: $vgpr73
	s_waitcnt lgkmcnt(0)
	v_cmp_lt_i32_e64 s[20:21], v72, v71
	s_or_b64 s[18:19], s[18:19], s[20:21]
	s_and_b64 s[16:17], s[16:17], s[18:19]
	s_xor_b64 s[18:19], s[16:17], -1
	s_and_saveexec_b64 s[20:21], s[18:19]
	s_xor_b64 s[18:19], exec, s[20:21]
; %bb.23:                               ;   in Loop: Header=BB36_2 Depth=1
	ds_read_b32 v73, v74 offset:4
                                        ; implicit-def: $vgpr77
; %bb.24:                               ;   in Loop: Header=BB36_2 Depth=1
	s_or_saveexec_b64 s[18:19], s[18:19]
	v_mov_b32_e32 v74, v72
	s_xor_b64 exec, exec, s[18:19]
	s_cbranch_execz .LBB36_26
; %bb.25:                               ;   in Loop: Header=BB36_2 Depth=1
	ds_read_b32 v74, v77 offset:4
	s_waitcnt lgkmcnt(1)
	v_mov_b32_e32 v73, v71
.LBB36_26:                              ;   in Loop: Header=BB36_2 Depth=1
	s_or_b64 exec, exec, s[18:19]
	v_add_u32_e32 v78, 1, v76
	v_add_u32_e32 v77, 1, v75
	v_cndmask_b32_e64 v78, v78, v76, s[16:17]
	v_cndmask_b32_e64 v77, v75, v77, s[16:17]
	v_cmp_ge_i32_e64 s[20:21], v78, v2
	s_waitcnt lgkmcnt(0)
	v_cmp_lt_i32_e64 s[22:23], v74, v73
	v_cmp_lt_i32_e64 s[18:19], v77, v3
	s_or_b64 s[20:21], s[20:21], s[22:23]
	s_and_b64 s[18:19], s[18:19], s[20:21]
	s_xor_b64 s[20:21], s[18:19], -1
                                        ; implicit-def: $vgpr75
	s_and_saveexec_b64 s[22:23], s[20:21]
	s_xor_b64 s[20:21], exec, s[22:23]
; %bb.27:                               ;   in Loop: Header=BB36_2 Depth=1
	v_lshlrev_b32_e32 v75, 2, v78
	ds_read_b32 v75, v75 offset:4
; %bb.28:                               ;   in Loop: Header=BB36_2 Depth=1
	s_or_saveexec_b64 s[20:21], s[20:21]
	v_mov_b32_e32 v76, v74
	s_xor_b64 exec, exec, s[20:21]
	s_cbranch_execz .LBB36_30
; %bb.29:                               ;   in Loop: Header=BB36_2 Depth=1
	s_waitcnt lgkmcnt(0)
	v_lshlrev_b32_e32 v75, 2, v77
	ds_read_b32 v76, v75 offset:4
	v_mov_b32_e32 v75, v73
.LBB36_30:                              ;   in Loop: Header=BB36_2 Depth=1
	s_or_b64 exec, exec, s[20:21]
	v_add_u32_e32 v80, 1, v78
	v_add_u32_e32 v79, 1, v77
	v_cndmask_b32_e64 v78, v80, v78, s[18:19]
	v_cndmask_b32_e64 v77, v77, v79, s[18:19]
	v_cmp_ge_i32_e64 s[22:23], v78, v2
	s_waitcnt lgkmcnt(0)
	v_cmp_lt_i32_e64 s[24:25], v76, v75
	v_cmp_lt_i32_e64 s[20:21], v77, v3
	s_or_b64 s[22:23], s[22:23], s[24:25]
	s_and_b64 s[20:21], s[20:21], s[22:23]
	s_xor_b64 s[22:23], s[20:21], -1
                                        ; implicit-def: $vgpr79
	s_and_saveexec_b64 s[24:25], s[22:23]
	s_xor_b64 s[22:23], exec, s[24:25]
; %bb.31:                               ;   in Loop: Header=BB36_2 Depth=1
	v_lshlrev_b32_e32 v79, 2, v78
	ds_read_b32 v79, v79 offset:4
; %bb.32:                               ;   in Loop: Header=BB36_2 Depth=1
	s_or_saveexec_b64 s[22:23], s[22:23]
	v_mov_b32_e32 v80, v76
	s_xor_b64 exec, exec, s[22:23]
	s_cbranch_execz .LBB36_34
; %bb.33:                               ;   in Loop: Header=BB36_2 Depth=1
	s_waitcnt lgkmcnt(0)
	v_lshlrev_b32_e32 v79, 2, v77
	ds_read_b32 v80, v79 offset:4
	v_mov_b32_e32 v79, v75
.LBB36_34:                              ;   in Loop: Header=BB36_2 Depth=1
	s_or_b64 exec, exec, s[22:23]
	v_cndmask_b32_e64 v75, v75, v76, s[20:21]
	v_add_u32_e32 v76, 1, v77
	v_add_u32_e32 v81, 1, v78
	v_cndmask_b32_e64 v76, v77, v76, s[20:21]
	v_cndmask_b32_e64 v77, v81, v78, s[20:21]
	;; [unrolled: 1-line block ×3, first 2 shown]
	v_cmp_ge_i32_e64 s[18:19], v77, v2
	s_waitcnt lgkmcnt(0)
	v_cmp_lt_i32_e64 s[20:21], v80, v79
	v_cndmask_b32_e64 v71, v71, v72, s[16:17]
	v_cmp_lt_i32_e64 s[16:17], v76, v3
	s_or_b64 s[18:19], s[18:19], s[20:21]
	s_and_b64 s[16:17], s[16:17], s[18:19]
	v_cndmask_b32_e64 v72, v79, v80, s[16:17]
	s_barrier
	ds_write2_b32 v61, v71, v73 offset1:1
	ds_write2_b32 v61, v75, v72 offset0:2 offset1:3
	v_mov_b32_e32 v73, v29
	s_waitcnt lgkmcnt(0)
	s_barrier
	s_and_saveexec_b64 s[18:19], s[2:3]
	s_cbranch_execz .LBB36_38
; %bb.35:                               ;   in Loop: Header=BB36_2 Depth=1
	s_mov_b64 s[20:21], 0
	v_mov_b32_e32 v73, v29
	v_mov_b32_e32 v71, v30
.LBB36_36:                              ;   Parent Loop BB36_2 Depth=1
                                        ; =>  This Inner Loop Header: Depth=2
	v_sub_u32_e32 v72, v71, v73
	v_lshrrev_b32_e32 v72, 1, v72
	v_add_u32_e32 v72, v72, v73
	v_not_b32_e32 v75, v72
	v_lshl_add_u32 v74, v72, 2, v64
	v_lshl_add_u32 v75, v75, 2, v50
	ds_read_b32 v74, v74
	ds_read_b32 v75, v75
	v_add_u32_e32 v76, 1, v72
	s_waitcnt lgkmcnt(0)
	v_cmp_lt_i32_e64 s[16:17], v75, v74
	v_cndmask_b32_e64 v71, v71, v72, s[16:17]
	v_cndmask_b32_e64 v73, v76, v73, s[16:17]
	v_cmp_ge_i32_e64 s[16:17], v73, v71
	s_or_b64 s[20:21], s[16:17], s[20:21]
	s_andn2_b64 exec, exec, s[20:21]
	s_cbranch_execnz .LBB36_36
; %bb.37:                               ;   in Loop: Header=BB36_2 Depth=1
	s_or_b64 exec, exec, s[20:21]
.LBB36_38:                              ;   in Loop: Header=BB36_2 Depth=1
	s_or_b64 exec, exec, s[18:19]
	v_sub_u32_e32 v75, v49, v73
	v_lshl_add_u32 v74, v73, 2, v64
	v_lshlrev_b32_e32 v77, 2, v75
	ds_read_b32 v71, v74
	ds_read_b32 v72, v77
	v_add_u32_e32 v76, v73, v4
	v_cmp_le_i32_e64 s[18:19], v5, v76
	v_cmp_gt_i32_e64 s[16:17], v6, v75
                                        ; implicit-def: $vgpr73
	s_waitcnt lgkmcnt(0)
	v_cmp_lt_i32_e64 s[20:21], v72, v71
	s_or_b64 s[18:19], s[18:19], s[20:21]
	s_and_b64 s[16:17], s[16:17], s[18:19]
	s_xor_b64 s[18:19], s[16:17], -1
	s_and_saveexec_b64 s[20:21], s[18:19]
	s_xor_b64 s[18:19], exec, s[20:21]
; %bb.39:                               ;   in Loop: Header=BB36_2 Depth=1
	ds_read_b32 v73, v74 offset:4
                                        ; implicit-def: $vgpr77
; %bb.40:                               ;   in Loop: Header=BB36_2 Depth=1
	s_or_saveexec_b64 s[18:19], s[18:19]
	v_mov_b32_e32 v74, v72
	s_xor_b64 exec, exec, s[18:19]
	s_cbranch_execz .LBB36_42
; %bb.41:                               ;   in Loop: Header=BB36_2 Depth=1
	ds_read_b32 v74, v77 offset:4
	s_waitcnt lgkmcnt(1)
	v_mov_b32_e32 v73, v71
.LBB36_42:                              ;   in Loop: Header=BB36_2 Depth=1
	s_or_b64 exec, exec, s[18:19]
	v_add_u32_e32 v78, 1, v76
	v_add_u32_e32 v77, 1, v75
	v_cndmask_b32_e64 v78, v78, v76, s[16:17]
	v_cndmask_b32_e64 v77, v75, v77, s[16:17]
	v_cmp_ge_i32_e64 s[20:21], v78, v5
	s_waitcnt lgkmcnt(0)
	v_cmp_lt_i32_e64 s[22:23], v74, v73
	v_cmp_lt_i32_e64 s[18:19], v77, v6
	s_or_b64 s[20:21], s[20:21], s[22:23]
	s_and_b64 s[18:19], s[18:19], s[20:21]
	s_xor_b64 s[20:21], s[18:19], -1
                                        ; implicit-def: $vgpr75
	s_and_saveexec_b64 s[22:23], s[20:21]
	s_xor_b64 s[20:21], exec, s[22:23]
; %bb.43:                               ;   in Loop: Header=BB36_2 Depth=1
	v_lshlrev_b32_e32 v75, 2, v78
	ds_read_b32 v75, v75 offset:4
; %bb.44:                               ;   in Loop: Header=BB36_2 Depth=1
	s_or_saveexec_b64 s[20:21], s[20:21]
	v_mov_b32_e32 v76, v74
	s_xor_b64 exec, exec, s[20:21]
	s_cbranch_execz .LBB36_46
; %bb.45:                               ;   in Loop: Header=BB36_2 Depth=1
	s_waitcnt lgkmcnt(0)
	v_lshlrev_b32_e32 v75, 2, v77
	ds_read_b32 v76, v75 offset:4
	v_mov_b32_e32 v75, v73
.LBB36_46:                              ;   in Loop: Header=BB36_2 Depth=1
	s_or_b64 exec, exec, s[20:21]
	v_add_u32_e32 v80, 1, v78
	v_add_u32_e32 v79, 1, v77
	v_cndmask_b32_e64 v78, v80, v78, s[18:19]
	v_cndmask_b32_e64 v77, v77, v79, s[18:19]
	v_cmp_ge_i32_e64 s[22:23], v78, v5
	s_waitcnt lgkmcnt(0)
	v_cmp_lt_i32_e64 s[24:25], v76, v75
	v_cmp_lt_i32_e64 s[20:21], v77, v6
	s_or_b64 s[22:23], s[22:23], s[24:25]
	s_and_b64 s[20:21], s[20:21], s[22:23]
	s_xor_b64 s[22:23], s[20:21], -1
                                        ; implicit-def: $vgpr79
	s_and_saveexec_b64 s[24:25], s[22:23]
	s_xor_b64 s[22:23], exec, s[24:25]
; %bb.47:                               ;   in Loop: Header=BB36_2 Depth=1
	v_lshlrev_b32_e32 v79, 2, v78
	ds_read_b32 v79, v79 offset:4
; %bb.48:                               ;   in Loop: Header=BB36_2 Depth=1
	s_or_saveexec_b64 s[22:23], s[22:23]
	v_mov_b32_e32 v80, v76
	s_xor_b64 exec, exec, s[22:23]
	s_cbranch_execz .LBB36_50
; %bb.49:                               ;   in Loop: Header=BB36_2 Depth=1
	s_waitcnt lgkmcnt(0)
	v_lshlrev_b32_e32 v79, 2, v77
	ds_read_b32 v80, v79 offset:4
	v_mov_b32_e32 v79, v75
.LBB36_50:                              ;   in Loop: Header=BB36_2 Depth=1
	s_or_b64 exec, exec, s[22:23]
	v_cndmask_b32_e64 v75, v75, v76, s[20:21]
	v_add_u32_e32 v76, 1, v77
	v_add_u32_e32 v81, 1, v78
	v_cndmask_b32_e64 v76, v77, v76, s[20:21]
	v_cndmask_b32_e64 v77, v81, v78, s[20:21]
	;; [unrolled: 1-line block ×3, first 2 shown]
	v_cmp_ge_i32_e64 s[18:19], v77, v5
	s_waitcnt lgkmcnt(0)
	v_cmp_lt_i32_e64 s[20:21], v80, v79
	v_cndmask_b32_e64 v71, v71, v72, s[16:17]
	v_cmp_lt_i32_e64 s[16:17], v76, v6
	s_or_b64 s[18:19], s[18:19], s[20:21]
	s_and_b64 s[16:17], s[16:17], s[18:19]
	v_cndmask_b32_e64 v72, v79, v80, s[16:17]
	s_barrier
	ds_write2_b32 v61, v71, v73 offset1:1
	ds_write2_b32 v61, v75, v72 offset0:2 offset1:3
	v_mov_b32_e32 v73, v31
	s_waitcnt lgkmcnt(0)
	s_barrier
	s_and_saveexec_b64 s[18:19], s[4:5]
	s_cbranch_execz .LBB36_54
; %bb.51:                               ;   in Loop: Header=BB36_2 Depth=1
	s_mov_b64 s[20:21], 0
	v_mov_b32_e32 v73, v31
	v_mov_b32_e32 v71, v32
.LBB36_52:                              ;   Parent Loop BB36_2 Depth=1
                                        ; =>  This Inner Loop Header: Depth=2
	v_sub_u32_e32 v72, v71, v73
	v_lshrrev_b32_e32 v72, 1, v72
	v_add_u32_e32 v72, v72, v73
	v_not_b32_e32 v75, v72
	v_lshl_add_u32 v74, v72, 2, v65
	v_lshl_add_u32 v75, v75, 2, v52
	ds_read_b32 v74, v74
	ds_read_b32 v75, v75
	v_add_u32_e32 v76, 1, v72
	s_waitcnt lgkmcnt(0)
	v_cmp_lt_i32_e64 s[16:17], v75, v74
	v_cndmask_b32_e64 v71, v71, v72, s[16:17]
	v_cndmask_b32_e64 v73, v76, v73, s[16:17]
	v_cmp_ge_i32_e64 s[16:17], v73, v71
	s_or_b64 s[20:21], s[16:17], s[20:21]
	s_andn2_b64 exec, exec, s[20:21]
	s_cbranch_execnz .LBB36_52
; %bb.53:                               ;   in Loop: Header=BB36_2 Depth=1
	s_or_b64 exec, exec, s[20:21]
.LBB36_54:                              ;   in Loop: Header=BB36_2 Depth=1
	s_or_b64 exec, exec, s[18:19]
	v_sub_u32_e32 v75, v51, v73
	v_lshl_add_u32 v74, v73, 2, v65
	v_lshlrev_b32_e32 v77, 2, v75
	ds_read_b32 v71, v74
	ds_read_b32 v72, v77
	v_add_u32_e32 v76, v73, v7
	v_cmp_le_i32_e64 s[18:19], v8, v76
	v_cmp_gt_i32_e64 s[16:17], v9, v75
                                        ; implicit-def: $vgpr73
	s_waitcnt lgkmcnt(0)
	v_cmp_lt_i32_e64 s[20:21], v72, v71
	s_or_b64 s[18:19], s[18:19], s[20:21]
	s_and_b64 s[16:17], s[16:17], s[18:19]
	s_xor_b64 s[18:19], s[16:17], -1
	s_and_saveexec_b64 s[20:21], s[18:19]
	s_xor_b64 s[18:19], exec, s[20:21]
; %bb.55:                               ;   in Loop: Header=BB36_2 Depth=1
	ds_read_b32 v73, v74 offset:4
                                        ; implicit-def: $vgpr77
; %bb.56:                               ;   in Loop: Header=BB36_2 Depth=1
	s_or_saveexec_b64 s[18:19], s[18:19]
	v_mov_b32_e32 v74, v72
	s_xor_b64 exec, exec, s[18:19]
	s_cbranch_execz .LBB36_58
; %bb.57:                               ;   in Loop: Header=BB36_2 Depth=1
	ds_read_b32 v74, v77 offset:4
	s_waitcnt lgkmcnt(1)
	v_mov_b32_e32 v73, v71
.LBB36_58:                              ;   in Loop: Header=BB36_2 Depth=1
	s_or_b64 exec, exec, s[18:19]
	v_add_u32_e32 v78, 1, v76
	v_add_u32_e32 v77, 1, v75
	v_cndmask_b32_e64 v78, v78, v76, s[16:17]
	v_cndmask_b32_e64 v77, v75, v77, s[16:17]
	v_cmp_ge_i32_e64 s[20:21], v78, v8
	s_waitcnt lgkmcnt(0)
	v_cmp_lt_i32_e64 s[22:23], v74, v73
	v_cmp_lt_i32_e64 s[18:19], v77, v9
	s_or_b64 s[20:21], s[20:21], s[22:23]
	s_and_b64 s[18:19], s[18:19], s[20:21]
	s_xor_b64 s[20:21], s[18:19], -1
                                        ; implicit-def: $vgpr75
	s_and_saveexec_b64 s[22:23], s[20:21]
	s_xor_b64 s[20:21], exec, s[22:23]
; %bb.59:                               ;   in Loop: Header=BB36_2 Depth=1
	v_lshlrev_b32_e32 v75, 2, v78
	ds_read_b32 v75, v75 offset:4
; %bb.60:                               ;   in Loop: Header=BB36_2 Depth=1
	s_or_saveexec_b64 s[20:21], s[20:21]
	v_mov_b32_e32 v76, v74
	s_xor_b64 exec, exec, s[20:21]
	s_cbranch_execz .LBB36_62
; %bb.61:                               ;   in Loop: Header=BB36_2 Depth=1
	s_waitcnt lgkmcnt(0)
	v_lshlrev_b32_e32 v75, 2, v77
	ds_read_b32 v76, v75 offset:4
	v_mov_b32_e32 v75, v73
.LBB36_62:                              ;   in Loop: Header=BB36_2 Depth=1
	s_or_b64 exec, exec, s[20:21]
	v_add_u32_e32 v80, 1, v78
	v_add_u32_e32 v79, 1, v77
	v_cndmask_b32_e64 v78, v80, v78, s[18:19]
	v_cndmask_b32_e64 v77, v77, v79, s[18:19]
	v_cmp_ge_i32_e64 s[22:23], v78, v8
	s_waitcnt lgkmcnt(0)
	v_cmp_lt_i32_e64 s[24:25], v76, v75
	v_cmp_lt_i32_e64 s[20:21], v77, v9
	s_or_b64 s[22:23], s[22:23], s[24:25]
	s_and_b64 s[20:21], s[20:21], s[22:23]
	s_xor_b64 s[22:23], s[20:21], -1
                                        ; implicit-def: $vgpr79
	s_and_saveexec_b64 s[24:25], s[22:23]
	s_xor_b64 s[22:23], exec, s[24:25]
; %bb.63:                               ;   in Loop: Header=BB36_2 Depth=1
	v_lshlrev_b32_e32 v79, 2, v78
	ds_read_b32 v79, v79 offset:4
; %bb.64:                               ;   in Loop: Header=BB36_2 Depth=1
	s_or_saveexec_b64 s[22:23], s[22:23]
	v_mov_b32_e32 v80, v76
	s_xor_b64 exec, exec, s[22:23]
	s_cbranch_execz .LBB36_66
; %bb.65:                               ;   in Loop: Header=BB36_2 Depth=1
	s_waitcnt lgkmcnt(0)
	v_lshlrev_b32_e32 v79, 2, v77
	ds_read_b32 v80, v79 offset:4
	v_mov_b32_e32 v79, v75
.LBB36_66:                              ;   in Loop: Header=BB36_2 Depth=1
	s_or_b64 exec, exec, s[22:23]
	v_cndmask_b32_e64 v75, v75, v76, s[20:21]
	v_add_u32_e32 v76, 1, v77
	v_add_u32_e32 v81, 1, v78
	v_cndmask_b32_e64 v76, v77, v76, s[20:21]
	v_cndmask_b32_e64 v77, v81, v78, s[20:21]
	;; [unrolled: 1-line block ×3, first 2 shown]
	v_cmp_ge_i32_e64 s[18:19], v77, v8
	s_waitcnt lgkmcnt(0)
	v_cmp_lt_i32_e64 s[20:21], v80, v79
	v_cndmask_b32_e64 v71, v71, v72, s[16:17]
	v_cmp_lt_i32_e64 s[16:17], v76, v9
	s_or_b64 s[18:19], s[18:19], s[20:21]
	s_and_b64 s[16:17], s[16:17], s[18:19]
	v_cndmask_b32_e64 v72, v79, v80, s[16:17]
	s_barrier
	ds_write2_b32 v61, v71, v73 offset1:1
	ds_write2_b32 v61, v75, v72 offset0:2 offset1:3
	v_mov_b32_e32 v73, v33
	s_waitcnt lgkmcnt(0)
	s_barrier
	s_and_saveexec_b64 s[18:19], s[6:7]
	s_cbranch_execz .LBB36_70
; %bb.67:                               ;   in Loop: Header=BB36_2 Depth=1
	s_mov_b64 s[20:21], 0
	v_mov_b32_e32 v73, v33
	v_mov_b32_e32 v71, v34
.LBB36_68:                              ;   Parent Loop BB36_2 Depth=1
                                        ; =>  This Inner Loop Header: Depth=2
	v_sub_u32_e32 v72, v71, v73
	v_lshrrev_b32_e32 v72, 1, v72
	v_add_u32_e32 v72, v72, v73
	v_not_b32_e32 v75, v72
	v_lshl_add_u32 v74, v72, 2, v66
	v_lshl_add_u32 v75, v75, 2, v54
	ds_read_b32 v74, v74
	ds_read_b32 v75, v75
	v_add_u32_e32 v76, 1, v72
	s_waitcnt lgkmcnt(0)
	v_cmp_lt_i32_e64 s[16:17], v75, v74
	v_cndmask_b32_e64 v71, v71, v72, s[16:17]
	v_cndmask_b32_e64 v73, v76, v73, s[16:17]
	v_cmp_ge_i32_e64 s[16:17], v73, v71
	s_or_b64 s[20:21], s[16:17], s[20:21]
	s_andn2_b64 exec, exec, s[20:21]
	s_cbranch_execnz .LBB36_68
; %bb.69:                               ;   in Loop: Header=BB36_2 Depth=1
	s_or_b64 exec, exec, s[20:21]
.LBB36_70:                              ;   in Loop: Header=BB36_2 Depth=1
	s_or_b64 exec, exec, s[18:19]
	v_sub_u32_e32 v75, v53, v73
	v_lshl_add_u32 v74, v73, 2, v66
	v_lshlrev_b32_e32 v77, 2, v75
	ds_read_b32 v71, v74
	ds_read_b32 v72, v77
	v_add_u32_e32 v76, v73, v10
	v_cmp_le_i32_e64 s[18:19], v11, v76
	v_cmp_gt_i32_e64 s[16:17], v12, v75
                                        ; implicit-def: $vgpr73
	s_waitcnt lgkmcnt(0)
	v_cmp_lt_i32_e64 s[20:21], v72, v71
	s_or_b64 s[18:19], s[18:19], s[20:21]
	s_and_b64 s[16:17], s[16:17], s[18:19]
	s_xor_b64 s[18:19], s[16:17], -1
	s_and_saveexec_b64 s[20:21], s[18:19]
	s_xor_b64 s[18:19], exec, s[20:21]
; %bb.71:                               ;   in Loop: Header=BB36_2 Depth=1
	ds_read_b32 v73, v74 offset:4
                                        ; implicit-def: $vgpr77
; %bb.72:                               ;   in Loop: Header=BB36_2 Depth=1
	s_or_saveexec_b64 s[18:19], s[18:19]
	v_mov_b32_e32 v74, v72
	s_xor_b64 exec, exec, s[18:19]
	s_cbranch_execz .LBB36_74
; %bb.73:                               ;   in Loop: Header=BB36_2 Depth=1
	ds_read_b32 v74, v77 offset:4
	s_waitcnt lgkmcnt(1)
	v_mov_b32_e32 v73, v71
.LBB36_74:                              ;   in Loop: Header=BB36_2 Depth=1
	s_or_b64 exec, exec, s[18:19]
	v_add_u32_e32 v78, 1, v76
	v_add_u32_e32 v77, 1, v75
	v_cndmask_b32_e64 v78, v78, v76, s[16:17]
	v_cndmask_b32_e64 v77, v75, v77, s[16:17]
	v_cmp_ge_i32_e64 s[20:21], v78, v11
	s_waitcnt lgkmcnt(0)
	v_cmp_lt_i32_e64 s[22:23], v74, v73
	v_cmp_lt_i32_e64 s[18:19], v77, v12
	s_or_b64 s[20:21], s[20:21], s[22:23]
	s_and_b64 s[18:19], s[18:19], s[20:21]
	s_xor_b64 s[20:21], s[18:19], -1
                                        ; implicit-def: $vgpr75
	s_and_saveexec_b64 s[22:23], s[20:21]
	s_xor_b64 s[20:21], exec, s[22:23]
; %bb.75:                               ;   in Loop: Header=BB36_2 Depth=1
	v_lshlrev_b32_e32 v75, 2, v78
	ds_read_b32 v75, v75 offset:4
; %bb.76:                               ;   in Loop: Header=BB36_2 Depth=1
	s_or_saveexec_b64 s[20:21], s[20:21]
	v_mov_b32_e32 v76, v74
	s_xor_b64 exec, exec, s[20:21]
	s_cbranch_execz .LBB36_78
; %bb.77:                               ;   in Loop: Header=BB36_2 Depth=1
	s_waitcnt lgkmcnt(0)
	v_lshlrev_b32_e32 v75, 2, v77
	ds_read_b32 v76, v75 offset:4
	v_mov_b32_e32 v75, v73
.LBB36_78:                              ;   in Loop: Header=BB36_2 Depth=1
	s_or_b64 exec, exec, s[20:21]
	v_add_u32_e32 v80, 1, v78
	v_add_u32_e32 v79, 1, v77
	v_cndmask_b32_e64 v78, v80, v78, s[18:19]
	v_cndmask_b32_e64 v77, v77, v79, s[18:19]
	v_cmp_ge_i32_e64 s[22:23], v78, v11
	s_waitcnt lgkmcnt(0)
	v_cmp_lt_i32_e64 s[24:25], v76, v75
	v_cmp_lt_i32_e64 s[20:21], v77, v12
	s_or_b64 s[22:23], s[22:23], s[24:25]
	s_and_b64 s[20:21], s[20:21], s[22:23]
	s_xor_b64 s[22:23], s[20:21], -1
                                        ; implicit-def: $vgpr79
	s_and_saveexec_b64 s[24:25], s[22:23]
	s_xor_b64 s[22:23], exec, s[24:25]
; %bb.79:                               ;   in Loop: Header=BB36_2 Depth=1
	v_lshlrev_b32_e32 v79, 2, v78
	ds_read_b32 v79, v79 offset:4
; %bb.80:                               ;   in Loop: Header=BB36_2 Depth=1
	s_or_saveexec_b64 s[22:23], s[22:23]
	v_mov_b32_e32 v80, v76
	s_xor_b64 exec, exec, s[22:23]
	s_cbranch_execz .LBB36_82
; %bb.81:                               ;   in Loop: Header=BB36_2 Depth=1
	s_waitcnt lgkmcnt(0)
	v_lshlrev_b32_e32 v79, 2, v77
	ds_read_b32 v80, v79 offset:4
	v_mov_b32_e32 v79, v75
.LBB36_82:                              ;   in Loop: Header=BB36_2 Depth=1
	s_or_b64 exec, exec, s[22:23]
	v_cndmask_b32_e64 v75, v75, v76, s[20:21]
	v_add_u32_e32 v76, 1, v77
	v_add_u32_e32 v81, 1, v78
	v_cndmask_b32_e64 v76, v77, v76, s[20:21]
	v_cndmask_b32_e64 v77, v81, v78, s[20:21]
	;; [unrolled: 1-line block ×3, first 2 shown]
	v_cmp_ge_i32_e64 s[18:19], v77, v11
	s_waitcnt lgkmcnt(0)
	v_cmp_lt_i32_e64 s[20:21], v80, v79
	v_cndmask_b32_e64 v71, v71, v72, s[16:17]
	v_cmp_lt_i32_e64 s[16:17], v76, v12
	s_or_b64 s[18:19], s[18:19], s[20:21]
	s_and_b64 s[16:17], s[16:17], s[18:19]
	v_cndmask_b32_e64 v72, v79, v80, s[16:17]
	s_barrier
	ds_write2_b32 v61, v71, v73 offset1:1
	ds_write2_b32 v61, v75, v72 offset0:2 offset1:3
	v_mov_b32_e32 v73, v35
	s_waitcnt lgkmcnt(0)
	s_barrier
	s_and_saveexec_b64 s[18:19], s[8:9]
	s_cbranch_execz .LBB36_86
; %bb.83:                               ;   in Loop: Header=BB36_2 Depth=1
	s_mov_b64 s[20:21], 0
	v_mov_b32_e32 v73, v35
	v_mov_b32_e32 v71, v36
.LBB36_84:                              ;   Parent Loop BB36_2 Depth=1
                                        ; =>  This Inner Loop Header: Depth=2
	v_sub_u32_e32 v72, v71, v73
	v_lshrrev_b32_e32 v72, 1, v72
	v_add_u32_e32 v72, v72, v73
	v_not_b32_e32 v75, v72
	v_lshl_add_u32 v74, v72, 2, v67
	v_lshl_add_u32 v75, v75, 2, v56
	ds_read_b32 v74, v74
	ds_read_b32 v75, v75
	v_add_u32_e32 v76, 1, v72
	s_waitcnt lgkmcnt(0)
	v_cmp_lt_i32_e64 s[16:17], v75, v74
	v_cndmask_b32_e64 v71, v71, v72, s[16:17]
	v_cndmask_b32_e64 v73, v76, v73, s[16:17]
	v_cmp_ge_i32_e64 s[16:17], v73, v71
	s_or_b64 s[20:21], s[16:17], s[20:21]
	s_andn2_b64 exec, exec, s[20:21]
	s_cbranch_execnz .LBB36_84
; %bb.85:                               ;   in Loop: Header=BB36_2 Depth=1
	s_or_b64 exec, exec, s[20:21]
.LBB36_86:                              ;   in Loop: Header=BB36_2 Depth=1
	s_or_b64 exec, exec, s[18:19]
	v_sub_u32_e32 v75, v55, v73
	v_lshl_add_u32 v74, v73, 2, v67
	v_lshlrev_b32_e32 v77, 2, v75
	ds_read_b32 v71, v74
	ds_read_b32 v72, v77
	v_add_u32_e32 v76, v73, v13
	v_cmp_le_i32_e64 s[18:19], v14, v76
	v_cmp_gt_i32_e64 s[16:17], v15, v75
                                        ; implicit-def: $vgpr73
	s_waitcnt lgkmcnt(0)
	v_cmp_lt_i32_e64 s[20:21], v72, v71
	s_or_b64 s[18:19], s[18:19], s[20:21]
	s_and_b64 s[16:17], s[16:17], s[18:19]
	s_xor_b64 s[18:19], s[16:17], -1
	s_and_saveexec_b64 s[20:21], s[18:19]
	s_xor_b64 s[18:19], exec, s[20:21]
; %bb.87:                               ;   in Loop: Header=BB36_2 Depth=1
	ds_read_b32 v73, v74 offset:4
                                        ; implicit-def: $vgpr77
; %bb.88:                               ;   in Loop: Header=BB36_2 Depth=1
	s_or_saveexec_b64 s[18:19], s[18:19]
	v_mov_b32_e32 v74, v72
	s_xor_b64 exec, exec, s[18:19]
	s_cbranch_execz .LBB36_90
; %bb.89:                               ;   in Loop: Header=BB36_2 Depth=1
	ds_read_b32 v74, v77 offset:4
	s_waitcnt lgkmcnt(1)
	v_mov_b32_e32 v73, v71
.LBB36_90:                              ;   in Loop: Header=BB36_2 Depth=1
	s_or_b64 exec, exec, s[18:19]
	v_add_u32_e32 v78, 1, v76
	v_add_u32_e32 v77, 1, v75
	v_cndmask_b32_e64 v78, v78, v76, s[16:17]
	v_cndmask_b32_e64 v77, v75, v77, s[16:17]
	v_cmp_ge_i32_e64 s[20:21], v78, v14
	s_waitcnt lgkmcnt(0)
	v_cmp_lt_i32_e64 s[22:23], v74, v73
	v_cmp_lt_i32_e64 s[18:19], v77, v15
	s_or_b64 s[20:21], s[20:21], s[22:23]
	s_and_b64 s[18:19], s[18:19], s[20:21]
	s_xor_b64 s[20:21], s[18:19], -1
                                        ; implicit-def: $vgpr75
	s_and_saveexec_b64 s[22:23], s[20:21]
	s_xor_b64 s[20:21], exec, s[22:23]
; %bb.91:                               ;   in Loop: Header=BB36_2 Depth=1
	v_lshlrev_b32_e32 v75, 2, v78
	ds_read_b32 v75, v75 offset:4
; %bb.92:                               ;   in Loop: Header=BB36_2 Depth=1
	s_or_saveexec_b64 s[20:21], s[20:21]
	v_mov_b32_e32 v76, v74
	s_xor_b64 exec, exec, s[20:21]
	s_cbranch_execz .LBB36_94
; %bb.93:                               ;   in Loop: Header=BB36_2 Depth=1
	s_waitcnt lgkmcnt(0)
	v_lshlrev_b32_e32 v75, 2, v77
	ds_read_b32 v76, v75 offset:4
	v_mov_b32_e32 v75, v73
.LBB36_94:                              ;   in Loop: Header=BB36_2 Depth=1
	s_or_b64 exec, exec, s[20:21]
	v_add_u32_e32 v80, 1, v78
	v_add_u32_e32 v79, 1, v77
	v_cndmask_b32_e64 v78, v80, v78, s[18:19]
	v_cndmask_b32_e64 v77, v77, v79, s[18:19]
	v_cmp_ge_i32_e64 s[22:23], v78, v14
	s_waitcnt lgkmcnt(0)
	v_cmp_lt_i32_e64 s[24:25], v76, v75
	v_cmp_lt_i32_e64 s[20:21], v77, v15
	s_or_b64 s[22:23], s[22:23], s[24:25]
	s_and_b64 s[20:21], s[20:21], s[22:23]
	s_xor_b64 s[22:23], s[20:21], -1
                                        ; implicit-def: $vgpr79
	s_and_saveexec_b64 s[24:25], s[22:23]
	s_xor_b64 s[22:23], exec, s[24:25]
; %bb.95:                               ;   in Loop: Header=BB36_2 Depth=1
	v_lshlrev_b32_e32 v79, 2, v78
	ds_read_b32 v79, v79 offset:4
; %bb.96:                               ;   in Loop: Header=BB36_2 Depth=1
	s_or_saveexec_b64 s[22:23], s[22:23]
	v_mov_b32_e32 v80, v76
	s_xor_b64 exec, exec, s[22:23]
	s_cbranch_execz .LBB36_98
; %bb.97:                               ;   in Loop: Header=BB36_2 Depth=1
	s_waitcnt lgkmcnt(0)
	v_lshlrev_b32_e32 v79, 2, v77
	ds_read_b32 v80, v79 offset:4
	v_mov_b32_e32 v79, v75
.LBB36_98:                              ;   in Loop: Header=BB36_2 Depth=1
	s_or_b64 exec, exec, s[22:23]
	v_cndmask_b32_e64 v75, v75, v76, s[20:21]
	v_add_u32_e32 v76, 1, v77
	v_add_u32_e32 v81, 1, v78
	v_cndmask_b32_e64 v76, v77, v76, s[20:21]
	v_cndmask_b32_e64 v77, v81, v78, s[20:21]
	;; [unrolled: 1-line block ×3, first 2 shown]
	v_cmp_ge_i32_e64 s[18:19], v77, v14
	s_waitcnt lgkmcnt(0)
	v_cmp_lt_i32_e64 s[20:21], v80, v79
	v_cndmask_b32_e64 v71, v71, v72, s[16:17]
	v_cmp_lt_i32_e64 s[16:17], v76, v15
	s_or_b64 s[18:19], s[18:19], s[20:21]
	s_and_b64 s[16:17], s[16:17], s[18:19]
	v_cndmask_b32_e64 v72, v79, v80, s[16:17]
	s_barrier
	ds_write2_b32 v61, v71, v73 offset1:1
	ds_write2_b32 v61, v75, v72 offset0:2 offset1:3
	v_mov_b32_e32 v73, v37
	s_waitcnt lgkmcnt(0)
	s_barrier
	s_and_saveexec_b64 s[18:19], s[10:11]
	s_cbranch_execz .LBB36_102
; %bb.99:                               ;   in Loop: Header=BB36_2 Depth=1
	s_mov_b64 s[20:21], 0
	v_mov_b32_e32 v73, v37
	v_mov_b32_e32 v71, v38
.LBB36_100:                             ;   Parent Loop BB36_2 Depth=1
                                        ; =>  This Inner Loop Header: Depth=2
	v_sub_u32_e32 v72, v71, v73
	v_lshrrev_b32_e32 v72, 1, v72
	v_add_u32_e32 v72, v72, v73
	v_not_b32_e32 v75, v72
	v_lshl_add_u32 v74, v72, 2, v68
	v_lshl_add_u32 v75, v75, 2, v58
	ds_read_b32 v74, v74
	ds_read_b32 v75, v75
	v_add_u32_e32 v76, 1, v72
	s_waitcnt lgkmcnt(0)
	v_cmp_lt_i32_e64 s[16:17], v75, v74
	v_cndmask_b32_e64 v71, v71, v72, s[16:17]
	v_cndmask_b32_e64 v73, v76, v73, s[16:17]
	v_cmp_ge_i32_e64 s[16:17], v73, v71
	s_or_b64 s[20:21], s[16:17], s[20:21]
	s_andn2_b64 exec, exec, s[20:21]
	s_cbranch_execnz .LBB36_100
; %bb.101:                              ;   in Loop: Header=BB36_2 Depth=1
	s_or_b64 exec, exec, s[20:21]
.LBB36_102:                             ;   in Loop: Header=BB36_2 Depth=1
	s_or_b64 exec, exec, s[18:19]
	v_sub_u32_e32 v75, v57, v73
	v_lshl_add_u32 v74, v73, 2, v68
	v_lshlrev_b32_e32 v77, 2, v75
	ds_read_b32 v71, v74
	ds_read_b32 v72, v77
	v_add_u32_e32 v76, v73, v16
	v_cmp_le_i32_e64 s[18:19], v17, v76
	v_cmp_gt_i32_e64 s[16:17], v18, v75
                                        ; implicit-def: $vgpr73
	s_waitcnt lgkmcnt(0)
	v_cmp_lt_i32_e64 s[20:21], v72, v71
	s_or_b64 s[18:19], s[18:19], s[20:21]
	s_and_b64 s[16:17], s[16:17], s[18:19]
	s_xor_b64 s[18:19], s[16:17], -1
	s_and_saveexec_b64 s[20:21], s[18:19]
	s_xor_b64 s[18:19], exec, s[20:21]
; %bb.103:                              ;   in Loop: Header=BB36_2 Depth=1
	ds_read_b32 v73, v74 offset:4
                                        ; implicit-def: $vgpr77
; %bb.104:                              ;   in Loop: Header=BB36_2 Depth=1
	s_or_saveexec_b64 s[18:19], s[18:19]
	v_mov_b32_e32 v74, v72
	s_xor_b64 exec, exec, s[18:19]
	s_cbranch_execz .LBB36_106
; %bb.105:                              ;   in Loop: Header=BB36_2 Depth=1
	ds_read_b32 v74, v77 offset:4
	s_waitcnt lgkmcnt(1)
	v_mov_b32_e32 v73, v71
.LBB36_106:                             ;   in Loop: Header=BB36_2 Depth=1
	s_or_b64 exec, exec, s[18:19]
	v_add_u32_e32 v78, 1, v76
	v_add_u32_e32 v77, 1, v75
	v_cndmask_b32_e64 v78, v78, v76, s[16:17]
	v_cndmask_b32_e64 v77, v75, v77, s[16:17]
	v_cmp_ge_i32_e64 s[20:21], v78, v17
	s_waitcnt lgkmcnt(0)
	v_cmp_lt_i32_e64 s[22:23], v74, v73
	v_cmp_lt_i32_e64 s[18:19], v77, v18
	s_or_b64 s[20:21], s[20:21], s[22:23]
	s_and_b64 s[18:19], s[18:19], s[20:21]
	s_xor_b64 s[20:21], s[18:19], -1
                                        ; implicit-def: $vgpr75
	s_and_saveexec_b64 s[22:23], s[20:21]
	s_xor_b64 s[20:21], exec, s[22:23]
; %bb.107:                              ;   in Loop: Header=BB36_2 Depth=1
	v_lshlrev_b32_e32 v75, 2, v78
	ds_read_b32 v75, v75 offset:4
; %bb.108:                              ;   in Loop: Header=BB36_2 Depth=1
	s_or_saveexec_b64 s[20:21], s[20:21]
	v_mov_b32_e32 v76, v74
	s_xor_b64 exec, exec, s[20:21]
	s_cbranch_execz .LBB36_110
; %bb.109:                              ;   in Loop: Header=BB36_2 Depth=1
	s_waitcnt lgkmcnt(0)
	v_lshlrev_b32_e32 v75, 2, v77
	ds_read_b32 v76, v75 offset:4
	v_mov_b32_e32 v75, v73
.LBB36_110:                             ;   in Loop: Header=BB36_2 Depth=1
	s_or_b64 exec, exec, s[20:21]
	v_add_u32_e32 v80, 1, v78
	v_add_u32_e32 v79, 1, v77
	v_cndmask_b32_e64 v78, v80, v78, s[18:19]
	v_cndmask_b32_e64 v77, v77, v79, s[18:19]
	v_cmp_ge_i32_e64 s[22:23], v78, v17
	s_waitcnt lgkmcnt(0)
	v_cmp_lt_i32_e64 s[24:25], v76, v75
	v_cmp_lt_i32_e64 s[20:21], v77, v18
	s_or_b64 s[22:23], s[22:23], s[24:25]
	s_and_b64 s[20:21], s[20:21], s[22:23]
	s_xor_b64 s[22:23], s[20:21], -1
                                        ; implicit-def: $vgpr79
	s_and_saveexec_b64 s[24:25], s[22:23]
	s_xor_b64 s[22:23], exec, s[24:25]
; %bb.111:                              ;   in Loop: Header=BB36_2 Depth=1
	v_lshlrev_b32_e32 v79, 2, v78
	ds_read_b32 v79, v79 offset:4
; %bb.112:                              ;   in Loop: Header=BB36_2 Depth=1
	s_or_saveexec_b64 s[22:23], s[22:23]
	v_mov_b32_e32 v80, v76
	s_xor_b64 exec, exec, s[22:23]
	s_cbranch_execz .LBB36_114
; %bb.113:                              ;   in Loop: Header=BB36_2 Depth=1
	s_waitcnt lgkmcnt(0)
	v_lshlrev_b32_e32 v79, 2, v77
	ds_read_b32 v80, v79 offset:4
	v_mov_b32_e32 v79, v75
.LBB36_114:                             ;   in Loop: Header=BB36_2 Depth=1
	s_or_b64 exec, exec, s[22:23]
	v_cndmask_b32_e64 v75, v75, v76, s[20:21]
	v_add_u32_e32 v76, 1, v77
	v_add_u32_e32 v81, 1, v78
	v_cndmask_b32_e64 v76, v77, v76, s[20:21]
	v_cndmask_b32_e64 v77, v81, v78, s[20:21]
	;; [unrolled: 1-line block ×3, first 2 shown]
	v_cmp_ge_i32_e64 s[18:19], v77, v17
	s_waitcnt lgkmcnt(0)
	v_cmp_lt_i32_e64 s[20:21], v80, v79
	v_cndmask_b32_e64 v71, v71, v72, s[16:17]
	v_cmp_lt_i32_e64 s[16:17], v76, v18
	s_or_b64 s[18:19], s[18:19], s[20:21]
	s_and_b64 s[16:17], s[16:17], s[18:19]
	v_cndmask_b32_e64 v72, v79, v80, s[16:17]
	s_barrier
	ds_write2_b32 v61, v71, v73 offset1:1
	ds_write2_b32 v61, v75, v72 offset0:2 offset1:3
	v_mov_b32_e32 v73, v39
	s_waitcnt lgkmcnt(0)
	s_barrier
	s_and_saveexec_b64 s[18:19], s[12:13]
	s_cbranch_execz .LBB36_118
; %bb.115:                              ;   in Loop: Header=BB36_2 Depth=1
	s_mov_b64 s[20:21], 0
	v_mov_b32_e32 v73, v39
	v_mov_b32_e32 v71, v40
.LBB36_116:                             ;   Parent Loop BB36_2 Depth=1
                                        ; =>  This Inner Loop Header: Depth=2
	v_sub_u32_e32 v72, v71, v73
	v_lshrrev_b32_e32 v72, 1, v72
	v_add_u32_e32 v72, v72, v73
	v_not_b32_e32 v75, v72
	v_lshl_add_u32 v74, v72, 2, v69
	v_lshl_add_u32 v75, v75, 2, v60
	ds_read_b32 v74, v74
	ds_read_b32 v75, v75
	v_add_u32_e32 v76, 1, v72
	s_waitcnt lgkmcnt(0)
	v_cmp_lt_i32_e64 s[16:17], v75, v74
	v_cndmask_b32_e64 v71, v71, v72, s[16:17]
	v_cndmask_b32_e64 v73, v76, v73, s[16:17]
	v_cmp_ge_i32_e64 s[16:17], v73, v71
	s_or_b64 s[20:21], s[16:17], s[20:21]
	s_andn2_b64 exec, exec, s[20:21]
	s_cbranch_execnz .LBB36_116
; %bb.117:                              ;   in Loop: Header=BB36_2 Depth=1
	s_or_b64 exec, exec, s[20:21]
.LBB36_118:                             ;   in Loop: Header=BB36_2 Depth=1
	s_or_b64 exec, exec, s[18:19]
	v_sub_u32_e32 v75, v59, v73
	v_lshl_add_u32 v74, v73, 2, v69
	v_lshlrev_b32_e32 v77, 2, v75
	ds_read_b32 v71, v74
	ds_read_b32 v72, v77
	v_add_u32_e32 v76, v73, v19
	v_cmp_le_i32_e64 s[18:19], v20, v76
	v_cmp_gt_i32_e64 s[16:17], v21, v75
                                        ; implicit-def: $vgpr73
	s_waitcnt lgkmcnt(0)
	v_cmp_lt_i32_e64 s[20:21], v72, v71
	s_or_b64 s[18:19], s[18:19], s[20:21]
	s_and_b64 s[16:17], s[16:17], s[18:19]
	s_xor_b64 s[18:19], s[16:17], -1
	s_and_saveexec_b64 s[20:21], s[18:19]
	s_xor_b64 s[18:19], exec, s[20:21]
; %bb.119:                              ;   in Loop: Header=BB36_2 Depth=1
	ds_read_b32 v73, v74 offset:4
                                        ; implicit-def: $vgpr77
; %bb.120:                              ;   in Loop: Header=BB36_2 Depth=1
	s_or_saveexec_b64 s[18:19], s[18:19]
	v_mov_b32_e32 v74, v72
	s_xor_b64 exec, exec, s[18:19]
	s_cbranch_execz .LBB36_122
; %bb.121:                              ;   in Loop: Header=BB36_2 Depth=1
	ds_read_b32 v74, v77 offset:4
	s_waitcnt lgkmcnt(1)
	v_mov_b32_e32 v73, v71
.LBB36_122:                             ;   in Loop: Header=BB36_2 Depth=1
	s_or_b64 exec, exec, s[18:19]
	v_add_u32_e32 v78, 1, v76
	v_add_u32_e32 v77, 1, v75
	v_cndmask_b32_e64 v78, v78, v76, s[16:17]
	v_cndmask_b32_e64 v77, v75, v77, s[16:17]
	v_cmp_ge_i32_e64 s[20:21], v78, v20
	s_waitcnt lgkmcnt(0)
	v_cmp_lt_i32_e64 s[22:23], v74, v73
	v_cmp_lt_i32_e64 s[18:19], v77, v21
	s_or_b64 s[20:21], s[20:21], s[22:23]
	s_and_b64 s[18:19], s[18:19], s[20:21]
	s_xor_b64 s[20:21], s[18:19], -1
                                        ; implicit-def: $vgpr75
	s_and_saveexec_b64 s[22:23], s[20:21]
	s_xor_b64 s[20:21], exec, s[22:23]
; %bb.123:                              ;   in Loop: Header=BB36_2 Depth=1
	v_lshlrev_b32_e32 v75, 2, v78
	ds_read_b32 v75, v75 offset:4
; %bb.124:                              ;   in Loop: Header=BB36_2 Depth=1
	s_or_saveexec_b64 s[20:21], s[20:21]
	v_mov_b32_e32 v76, v74
	s_xor_b64 exec, exec, s[20:21]
	s_cbranch_execz .LBB36_126
; %bb.125:                              ;   in Loop: Header=BB36_2 Depth=1
	s_waitcnt lgkmcnt(0)
	v_lshlrev_b32_e32 v75, 2, v77
	ds_read_b32 v76, v75 offset:4
	v_mov_b32_e32 v75, v73
.LBB36_126:                             ;   in Loop: Header=BB36_2 Depth=1
	s_or_b64 exec, exec, s[20:21]
	v_add_u32_e32 v80, 1, v78
	v_add_u32_e32 v79, 1, v77
	v_cndmask_b32_e64 v78, v80, v78, s[18:19]
	v_cndmask_b32_e64 v77, v77, v79, s[18:19]
	v_cmp_ge_i32_e64 s[22:23], v78, v20
	s_waitcnt lgkmcnt(0)
	v_cmp_lt_i32_e64 s[24:25], v76, v75
	v_cmp_lt_i32_e64 s[20:21], v77, v21
	s_or_b64 s[22:23], s[22:23], s[24:25]
	s_and_b64 s[20:21], s[20:21], s[22:23]
	s_xor_b64 s[22:23], s[20:21], -1
                                        ; implicit-def: $vgpr79
	s_and_saveexec_b64 s[24:25], s[22:23]
	s_xor_b64 s[22:23], exec, s[24:25]
; %bb.127:                              ;   in Loop: Header=BB36_2 Depth=1
	v_lshlrev_b32_e32 v79, 2, v78
	ds_read_b32 v79, v79 offset:4
; %bb.128:                              ;   in Loop: Header=BB36_2 Depth=1
	s_or_saveexec_b64 s[22:23], s[22:23]
	v_mov_b32_e32 v80, v76
	s_xor_b64 exec, exec, s[22:23]
	s_cbranch_execz .LBB36_130
; %bb.129:                              ;   in Loop: Header=BB36_2 Depth=1
	s_waitcnt lgkmcnt(0)
	v_lshlrev_b32_e32 v79, 2, v77
	ds_read_b32 v80, v79 offset:4
	v_mov_b32_e32 v79, v75
.LBB36_130:                             ;   in Loop: Header=BB36_2 Depth=1
	s_or_b64 exec, exec, s[22:23]
	v_cndmask_b32_e64 v75, v75, v76, s[20:21]
	v_add_u32_e32 v76, 1, v77
	v_add_u32_e32 v81, 1, v78
	v_cndmask_b32_e64 v76, v77, v76, s[20:21]
	v_cndmask_b32_e64 v77, v81, v78, s[20:21]
	v_cndmask_b32_e64 v73, v73, v74, s[18:19]
	v_cmp_ge_i32_e64 s[18:19], v77, v20
	s_waitcnt lgkmcnt(0)
	v_cmp_lt_i32_e64 s[20:21], v80, v79
	v_cndmask_b32_e64 v71, v71, v72, s[16:17]
	v_cmp_lt_i32_e64 s[16:17], v76, v21
	s_or_b64 s[18:19], s[18:19], s[20:21]
	s_and_b64 s[16:17], s[16:17], s[18:19]
	v_cndmask_b32_e64 v72, v79, v80, s[16:17]
	s_barrier
	ds_write2_b32 v61, v71, v73 offset1:1
	ds_write2_b32 v61, v75, v72 offset0:2 offset1:3
	v_mov_b32_e32 v73, v42
	s_waitcnt lgkmcnt(0)
	s_barrier
	s_and_saveexec_b64 s[18:19], s[14:15]
	s_cbranch_execz .LBB36_134
; %bb.131:                              ;   in Loop: Header=BB36_2 Depth=1
	s_mov_b64 s[20:21], 0
	v_mov_b32_e32 v73, v42
	v_mov_b32_e32 v71, v43
.LBB36_132:                             ;   Parent Loop BB36_2 Depth=1
                                        ; =>  This Inner Loop Header: Depth=2
	v_sub_u32_e32 v72, v71, v73
	v_lshrrev_b32_e32 v72, 1, v72
	v_add_u32_e32 v72, v72, v73
	v_not_b32_e32 v75, v72
	v_lshlrev_b32_e32 v74, 2, v72
	v_lshl_add_u32 v75, v75, 2, v70
	ds_read_b32 v74, v74
	ds_read_b32 v75, v75
	v_add_u32_e32 v76, 1, v72
	s_waitcnt lgkmcnt(0)
	v_cmp_lt_i32_e64 s[16:17], v75, v74
	v_cndmask_b32_e64 v71, v71, v72, s[16:17]
	v_cndmask_b32_e64 v73, v76, v73, s[16:17]
	v_cmp_ge_i32_e64 s[16:17], v73, v71
	s_or_b64 s[20:21], s[16:17], s[20:21]
	s_andn2_b64 exec, exec, s[20:21]
	s_cbranch_execnz .LBB36_132
; %bb.133:                              ;   in Loop: Header=BB36_2 Depth=1
	s_or_b64 exec, exec, s[20:21]
.LBB36_134:                             ;   in Loop: Header=BB36_2 Depth=1
	s_or_b64 exec, exec, s[18:19]
	v_sub_u32_e32 v76, v44, v73
	v_lshlrev_b32_e32 v75, 2, v73
	v_lshlrev_b32_e32 v77, 2, v76
	ds_read_b32 v71, v75
	ds_read_b32 v72, v77
	v_cmp_le_i32_e64 s[18:19], v41, v73
	v_cmp_gt_i32_e64 s[16:17], s28, v76
                                        ; implicit-def: $vgpr74
	s_waitcnt lgkmcnt(0)
	v_cmp_lt_i32_e64 s[20:21], v72, v71
	s_or_b64 s[18:19], s[18:19], s[20:21]
	s_and_b64 s[16:17], s[16:17], s[18:19]
	s_xor_b64 s[18:19], s[16:17], -1
	s_and_saveexec_b64 s[20:21], s[18:19]
	s_xor_b64 s[18:19], exec, s[20:21]
; %bb.135:                              ;   in Loop: Header=BB36_2 Depth=1
	ds_read_b32 v74, v75 offset:4
                                        ; implicit-def: $vgpr77
; %bb.136:                              ;   in Loop: Header=BB36_2 Depth=1
	s_or_saveexec_b64 s[18:19], s[18:19]
	v_mov_b32_e32 v75, v72
	s_xor_b64 exec, exec, s[18:19]
	s_cbranch_execz .LBB36_138
; %bb.137:                              ;   in Loop: Header=BB36_2 Depth=1
	ds_read_b32 v75, v77 offset:4
	s_waitcnt lgkmcnt(1)
	v_mov_b32_e32 v74, v71
.LBB36_138:                             ;   in Loop: Header=BB36_2 Depth=1
	s_or_b64 exec, exec, s[18:19]
	v_add_u32_e32 v79, 1, v73
	v_add_u32_e32 v77, 1, v76
	v_cndmask_b32_e64 v73, v79, v73, s[16:17]
	v_cndmask_b32_e64 v78, v76, v77, s[16:17]
	v_cmp_ge_i32_e64 s[20:21], v73, v41
	s_waitcnt lgkmcnt(0)
	v_cmp_lt_i32_e64 s[22:23], v75, v74
	v_cmp_gt_i32_e64 s[18:19], s28, v78
	s_or_b64 s[20:21], s[20:21], s[22:23]
	s_and_b64 s[18:19], s[18:19], s[20:21]
	s_xor_b64 s[20:21], s[18:19], -1
                                        ; implicit-def: $vgpr76
	s_and_saveexec_b64 s[22:23], s[20:21]
	s_xor_b64 s[20:21], exec, s[22:23]
; %bb.139:                              ;   in Loop: Header=BB36_2 Depth=1
	v_lshlrev_b32_e32 v76, 2, v73
	ds_read_b32 v76, v76 offset:4
; %bb.140:                              ;   in Loop: Header=BB36_2 Depth=1
	s_or_saveexec_b64 s[20:21], s[20:21]
	v_mov_b32_e32 v77, v75
	s_xor_b64 exec, exec, s[20:21]
	s_cbranch_execz .LBB36_142
; %bb.141:                              ;   in Loop: Header=BB36_2 Depth=1
	s_waitcnt lgkmcnt(0)
	v_lshlrev_b32_e32 v76, 2, v78
	ds_read_b32 v77, v76 offset:4
	v_mov_b32_e32 v76, v74
.LBB36_142:                             ;   in Loop: Header=BB36_2 Depth=1
	s_or_b64 exec, exec, s[20:21]
	v_add_u32_e32 v80, 1, v73
	v_add_u32_e32 v79, 1, v78
	v_cndmask_b32_e64 v73, v80, v73, s[18:19]
	v_cndmask_b32_e64 v78, v78, v79, s[18:19]
	v_cmp_ge_i32_e64 s[22:23], v73, v41
	s_waitcnt lgkmcnt(0)
	v_cmp_lt_i32_e64 s[24:25], v77, v76
	v_cmp_gt_i32_e64 s[20:21], s28, v78
	s_or_b64 s[22:23], s[22:23], s[24:25]
	s_and_b64 s[20:21], s[20:21], s[22:23]
	s_xor_b64 s[22:23], s[20:21], -1
                                        ; implicit-def: $vgpr79
                                        ; implicit-def: $vgpr80
	s_and_saveexec_b64 s[24:25], s[22:23]
	s_xor_b64 s[22:23], exec, s[24:25]
; %bb.143:                              ;   in Loop: Header=BB36_2 Depth=1
	v_lshlrev_b32_e32 v79, 2, v73
	ds_read_b32 v79, v79 offset:4
	v_add_u32_e32 v80, 1, v73
                                        ; implicit-def: $vgpr73
; %bb.144:                              ;   in Loop: Header=BB36_2 Depth=1
	s_or_saveexec_b64 s[22:23], s[22:23]
	v_mov_b32_e32 v81, v77
	s_xor_b64 exec, exec, s[22:23]
	s_cbranch_execz .LBB36_1
; %bb.145:                              ;   in Loop: Header=BB36_2 Depth=1
	s_waitcnt lgkmcnt(0)
	v_lshlrev_b32_e32 v79, 2, v78
	ds_read_b32 v81, v79 offset:4
	v_add_u32_e32 v78, 1, v78
	v_mov_b32_e32 v80, v73
	v_mov_b32_e32 v79, v76
	s_branch .LBB36_1
.LBB36_146:
	s_add_u32 s0, s26, s30
	s_addc_u32 s1, s27, s31
	v_lshlrev_b32_e32 v0, 2, v0
	v_mov_b32_e32 v1, s1
	v_add_co_u32_e32 v2, vcc, s0, v0
	v_addc_co_u32_e32 v1, vcc, 0, v1, vcc
	global_store_dword v0, v73, s[0:1]
	global_store_dword v0, v74, s[0:1] offset:2048
	v_add_co_u32_e32 v0, vcc, 0x1000, v2
	v_addc_co_u32_e32 v1, vcc, 0, v1, vcc
	global_store_dword v[0:1], v71, off
	global_store_dword v[0:1], v72, off offset:2048
	s_endpgm
	.section	.rodata,"a",@progbits
	.p2align	6, 0x0
	.amdhsa_kernel _Z16sort_keys_kernelIiLj512ELj4EN10test_utils4lessELj10EEvPKT_PS2_T2_
		.amdhsa_group_segment_fixed_size 8196
		.amdhsa_private_segment_fixed_size 0
		.amdhsa_kernarg_size 20
		.amdhsa_user_sgpr_count 6
		.amdhsa_user_sgpr_private_segment_buffer 1
		.amdhsa_user_sgpr_dispatch_ptr 0
		.amdhsa_user_sgpr_queue_ptr 0
		.amdhsa_user_sgpr_kernarg_segment_ptr 1
		.amdhsa_user_sgpr_dispatch_id 0
		.amdhsa_user_sgpr_flat_scratch_init 0
		.amdhsa_user_sgpr_private_segment_size 0
		.amdhsa_uses_dynamic_stack 0
		.amdhsa_system_sgpr_private_segment_wavefront_offset 0
		.amdhsa_system_sgpr_workgroup_id_x 1
		.amdhsa_system_sgpr_workgroup_id_y 0
		.amdhsa_system_sgpr_workgroup_id_z 0
		.amdhsa_system_sgpr_workgroup_info 0
		.amdhsa_system_vgpr_workitem_id 0
		.amdhsa_next_free_vgpr 82
		.amdhsa_next_free_sgpr 32
		.amdhsa_reserve_vcc 1
		.amdhsa_reserve_flat_scratch 0
		.amdhsa_float_round_mode_32 0
		.amdhsa_float_round_mode_16_64 0
		.amdhsa_float_denorm_mode_32 3
		.amdhsa_float_denorm_mode_16_64 3
		.amdhsa_dx10_clamp 1
		.amdhsa_ieee_mode 1
		.amdhsa_fp16_overflow 0
		.amdhsa_exception_fp_ieee_invalid_op 0
		.amdhsa_exception_fp_denorm_src 0
		.amdhsa_exception_fp_ieee_div_zero 0
		.amdhsa_exception_fp_ieee_overflow 0
		.amdhsa_exception_fp_ieee_underflow 0
		.amdhsa_exception_fp_ieee_inexact 0
		.amdhsa_exception_int_div_zero 0
	.end_amdhsa_kernel
	.section	.text._Z16sort_keys_kernelIiLj512ELj4EN10test_utils4lessELj10EEvPKT_PS2_T2_,"axG",@progbits,_Z16sort_keys_kernelIiLj512ELj4EN10test_utils4lessELj10EEvPKT_PS2_T2_,comdat
.Lfunc_end36:
	.size	_Z16sort_keys_kernelIiLj512ELj4EN10test_utils4lessELj10EEvPKT_PS2_T2_, .Lfunc_end36-_Z16sort_keys_kernelIiLj512ELj4EN10test_utils4lessELj10EEvPKT_PS2_T2_
                                        ; -- End function
	.set _Z16sort_keys_kernelIiLj512ELj4EN10test_utils4lessELj10EEvPKT_PS2_T2_.num_vgpr, 82
	.set _Z16sort_keys_kernelIiLj512ELj4EN10test_utils4lessELj10EEvPKT_PS2_T2_.num_agpr, 0
	.set _Z16sort_keys_kernelIiLj512ELj4EN10test_utils4lessELj10EEvPKT_PS2_T2_.numbered_sgpr, 32
	.set _Z16sort_keys_kernelIiLj512ELj4EN10test_utils4lessELj10EEvPKT_PS2_T2_.num_named_barrier, 0
	.set _Z16sort_keys_kernelIiLj512ELj4EN10test_utils4lessELj10EEvPKT_PS2_T2_.private_seg_size, 0
	.set _Z16sort_keys_kernelIiLj512ELj4EN10test_utils4lessELj10EEvPKT_PS2_T2_.uses_vcc, 1
	.set _Z16sort_keys_kernelIiLj512ELj4EN10test_utils4lessELj10EEvPKT_PS2_T2_.uses_flat_scratch, 0
	.set _Z16sort_keys_kernelIiLj512ELj4EN10test_utils4lessELj10EEvPKT_PS2_T2_.has_dyn_sized_stack, 0
	.set _Z16sort_keys_kernelIiLj512ELj4EN10test_utils4lessELj10EEvPKT_PS2_T2_.has_recursion, 0
	.set _Z16sort_keys_kernelIiLj512ELj4EN10test_utils4lessELj10EEvPKT_PS2_T2_.has_indirect_call, 0
	.section	.AMDGPU.csdata,"",@progbits
; Kernel info:
; codeLenInByte = 6728
; TotalNumSgprs: 36
; NumVgprs: 82
; ScratchSize: 0
; MemoryBound: 0
; FloatMode: 240
; IeeeMode: 1
; LDSByteSize: 8196 bytes/workgroup (compile time only)
; SGPRBlocks: 4
; VGPRBlocks: 20
; NumSGPRsForWavesPerEU: 36
; NumVGPRsForWavesPerEU: 82
; Occupancy: 3
; WaveLimiterHint : 1
; COMPUTE_PGM_RSRC2:SCRATCH_EN: 0
; COMPUTE_PGM_RSRC2:USER_SGPR: 6
; COMPUTE_PGM_RSRC2:TRAP_HANDLER: 0
; COMPUTE_PGM_RSRC2:TGID_X_EN: 1
; COMPUTE_PGM_RSRC2:TGID_Y_EN: 0
; COMPUTE_PGM_RSRC2:TGID_Z_EN: 0
; COMPUTE_PGM_RSRC2:TIDIG_COMP_CNT: 0
	.section	.text._Z17sort_pairs_kernelIiLj512ELj4EN10test_utils4lessELj10EEvPKT_PS2_T2_,"axG",@progbits,_Z17sort_pairs_kernelIiLj512ELj4EN10test_utils4lessELj10EEvPKT_PS2_T2_,comdat
	.protected	_Z17sort_pairs_kernelIiLj512ELj4EN10test_utils4lessELj10EEvPKT_PS2_T2_ ; -- Begin function _Z17sort_pairs_kernelIiLj512ELj4EN10test_utils4lessELj10EEvPKT_PS2_T2_
	.globl	_Z17sort_pairs_kernelIiLj512ELj4EN10test_utils4lessELj10EEvPKT_PS2_T2_
	.p2align	8
	.type	_Z17sort_pairs_kernelIiLj512ELj4EN10test_utils4lessELj10EEvPKT_PS2_T2_,@function
_Z17sort_pairs_kernelIiLj512ELj4EN10test_utils4lessELj10EEvPKT_PS2_T2_: ; @_Z17sort_pairs_kernelIiLj512ELj4EN10test_utils4lessELj10EEvPKT_PS2_T2_
; %bb.0:
	s_load_dwordx4 s[40:43], s[4:5], 0x0
	s_lshl_b32 s46, s6, 11
	s_mov_b32 s47, 0
	s_lshl_b64 s[44:45], s[46:47], 2
	v_lshlrev_b32_e32 v44, 2, v0
	s_waitcnt lgkmcnt(0)
	s_add_u32 s0, s40, s44
	s_addc_u32 s1, s41, s45
	v_mov_b32_e32 v1, s1
	v_add_co_u32_e32 v2, vcc, s0, v44
	v_addc_co_u32_e32 v1, vcc, 0, v1, vcc
	s_movk_i32 s2, 0x1000
	v_add_co_u32_e32 v22, vcc, s2, v2
	v_addc_co_u32_e32 v23, vcc, 0, v1, vcc
	global_load_dword v76, v[22:23], off
	global_load_dword v75, v[22:23], off offset:2048
	global_load_dword v77, v44, s[0:1]
	global_load_dword v78, v44, s[0:1] offset:2048
	v_and_b32_e32 v1, 0x7f0, v44
	v_and_b32_e32 v4, 0x7e0, v44
	;; [unrolled: 1-line block ×8, first 2 shown]
	v_or_b32_e32 v2, 8, v1
	v_add_u32_e32 v3, 16, v1
	v_or_b32_e32 v5, 16, v4
	v_add_u32_e32 v6, 32, v4
	;; [unrolled: 2-line block ×8, first 2 shown]
	v_and_b32_e32 v48, 12, v44
	v_sub_u32_e32 v27, v3, v2
	v_and_b32_e32 v50, 28, v44
	v_sub_u32_e32 v29, v6, v5
	;; [unrolled: 2-line block ×8, first 2 shown]
	v_sub_u32_e32 v28, v48, v27
	v_sub_u32_e32 v30, v50, v29
	;; [unrolled: 1-line block ×8, first 2 shown]
	v_cmp_ge_i32_e32 vcc, v46, v25
	v_cmp_ge_i32_e64 s[0:1], v48, v27
	v_cmp_ge_i32_e64 s[2:3], v50, v29
	v_cmp_ge_i32_e64 s[4:5], v52, v31
	v_cmp_ge_i32_e64 s[6:7], v54, v33
	v_cmp_ge_i32_e64 s[8:9], v56, v35
	v_cmp_ge_i32_e64 s[10:11], v58, v37
	v_cmp_ge_i32_e64 s[12:13], v60, v39
	v_cndmask_b32_e32 v25, 0, v26, vcc
	v_sub_u32_e32 v26, v23, v22
	v_cndmask_b32_e64 v27, 0, v28, s[0:1]
	v_sub_u32_e32 v28, v2, v1
	v_cndmask_b32_e64 v29, 0, v30, s[2:3]
	;; [unrolled: 2-line block ×7, first 2 shown]
	v_sub_u32_e32 v40, v20, v19
	v_mov_b32_e32 v41, 0x400
	v_min_i32_e32 v26, v46, v26
	v_min_i32_e32 v28, v48, v28
	;; [unrolled: 1-line block ×8, first 2 shown]
	v_sub_u32_e64 v42, v44, v41 clamp
	v_min_i32_e32 v43, 0x400, v44
	v_add_u32_e32 v45, v23, v46
	v_lshlrev_b32_e32 v46, 2, v46
	v_add_u32_e32 v47, v2, v48
	v_lshlrev_b32_e32 v48, 2, v48
	v_add_u32_e32 v49, v5, v50
	v_lshlrev_b32_e32 v50, 2, v50
	v_add_u32_e32 v51, v8, v52
	v_lshlrev_b32_e32 v52, 2, v52
	v_add_u32_e32 v53, v11, v54
	v_lshlrev_b32_e32 v54, 2, v54
	v_add_u32_e32 v55, v14, v56
	v_lshlrev_b32_e32 v56, 2, v56
	v_add_u32_e32 v57, v17, v58
	v_lshlrev_b32_e32 v58, 2, v58
	v_add_u32_e32 v59, v20, v60
	v_lshlrev_b32_e32 v60, 2, v60
	v_lshlrev_b32_e32 v61, 4, v0
	v_cmp_lt_i32_e32 vcc, v25, v26
	v_cmp_lt_i32_e64 s[0:1], v27, v28
	v_cmp_lt_i32_e64 s[2:3], v29, v30
	;; [unrolled: 1-line block ×8, first 2 shown]
	v_add_u32_e32 v44, 0x400, v44
	v_lshl_add_u32 v46, v23, 2, v46
	v_lshl_add_u32 v48, v2, 2, v48
	;; [unrolled: 1-line block ×8, first 2 shown]
	s_movk_i32 s33, 0x800
	s_waitcnt vmcnt(1)
	v_add_u32_e32 v71, 1, v77
	s_waitcnt vmcnt(0)
	v_add_u32_e32 v73, 1, v78
	v_add_u32_e32 v72, 1, v76
	;; [unrolled: 1-line block ×3, first 2 shown]
	v_lshlrev_b32_e32 v62, 2, v22
	v_lshlrev_b32_e32 v63, 2, v1
	;; [unrolled: 1-line block ×8, first 2 shown]
	v_add_u32_e32 v70, 0x1000, v61
	s_branch .LBB37_2
.LBB37_1:                               ;   in Loop: Header=BB37_2 Depth=1
	s_or_b64 exec, exec, s[22:23]
	v_cmp_ge_i32_e64 s[22:23], v87, v41
	s_waitcnt lgkmcnt(0)
	v_cmp_lt_i32_e64 s[24:25], v90, v88
	v_cndmask_b32_e64 v77, v77, v80, s[16:17]
	v_cndmask_b32_e64 v78, v75, v78, s[16:17]
	v_cmp_gt_i32_e64 s[16:17], s33, v85
	s_or_b64 s[22:23], s[22:23], s[24:25]
	v_cndmask_b32_e64 v80, v84, v83, s[18:19]
	s_and_b64 s[16:17], s[16:17], s[22:23]
	v_cndmask_b32_e64 v83, v87, v85, s[16:17]
	s_barrier
	ds_write2_b32 v61, v71, v72 offset1:1
	ds_write2_b32 v61, v73, v74 offset0:2 offset1:3
	v_lshlrev_b32_e32 v71, 2, v78
	v_lshlrev_b32_e32 v72, 2, v80
	;; [unrolled: 1-line block ×3, first 2 shown]
	s_waitcnt lgkmcnt(0)
	s_barrier
	v_lshlrev_b32_e32 v78, 2, v83
	ds_read_b32 v71, v71
	ds_read_b32 v73, v72
	;; [unrolled: 1-line block ×4, first 2 shown]
	s_add_i32 s47, s47, 1
	v_cndmask_b32_e64 v75, v88, v90, s[16:17]
	v_cndmask_b32_e64 v78, v76, v79, s[18:19]
	s_cmp_eq_u32 s47, 10
	v_cndmask_b32_e64 v76, v81, v82, s[20:21]
	s_cbranch_scc1 .LBB37_146
.LBB37_2:                               ; =>This Loop Header: Depth=1
                                        ;     Child Loop BB37_4 Depth 2
                                        ;     Child Loop BB37_20 Depth 2
	;; [unrolled: 1-line block ×9, first 2 shown]
	v_cmp_lt_i32_e64 s[16:17], v78, v77
	v_cmp_lt_i32_e64 s[18:19], v75, v76
	v_cndmask_b32_e64 v79, v77, v78, s[16:17]
	v_cndmask_b32_e64 v77, v78, v77, s[16:17]
	;; [unrolled: 1-line block ×4, first 2 shown]
	v_min_i32_e32 v75, v75, v76
	v_cmp_lt_i32_e64 s[20:21], v75, v77
	v_cndmask_b32_e64 v76, v80, v77, s[20:21]
	v_cndmask_b32_e64 v80, v77, v75, s[20:21]
	v_min_i32_e32 v75, v75, v77
	v_cmp_lt_i32_e64 s[22:23], v75, v79
	v_cmp_lt_i32_e64 s[24:25], v78, v76
	v_cndmask_b32_e64 v75, v79, v75, s[22:23]
	v_cndmask_b32_e64 v77, v80, v79, s[22:23]
	;; [unrolled: 1-line block ×4, first 2 shown]
	v_min_i32_e32 v76, v78, v76
	v_cmp_lt_i32_e64 s[26:27], v76, v77
	v_cndmask_b32_e64 v78, v80, v77, s[26:27]
	v_cndmask_b32_e64 v76, v77, v76, s[26:27]
	v_mov_b32_e32 v77, v25
	s_waitcnt lgkmcnt(0)
	s_barrier
	ds_write2_b32 v61, v75, v76 offset1:1
	ds_write2_b32 v61, v78, v79 offset0:2 offset1:3
	s_waitcnt lgkmcnt(0)
	s_barrier
	s_and_saveexec_b64 s[30:31], vcc
	s_cbranch_execz .LBB37_6
; %bb.3:                                ;   in Loop: Header=BB37_2 Depth=1
	s_mov_b64 s[34:35], 0
	v_mov_b32_e32 v77, v25
	v_mov_b32_e32 v75, v26
.LBB37_4:                               ;   Parent Loop BB37_2 Depth=1
                                        ; =>  This Inner Loop Header: Depth=2
	v_sub_u32_e32 v76, v75, v77
	v_lshrrev_b32_e32 v76, 1, v76
	v_add_u32_e32 v76, v76, v77
	v_not_b32_e32 v79, v76
	v_lshl_add_u32 v78, v76, 2, v62
	v_lshl_add_u32 v79, v79, 2, v46
	ds_read_b32 v78, v78
	ds_read_b32 v79, v79
	v_add_u32_e32 v80, 1, v76
	s_waitcnt lgkmcnt(0)
	v_cmp_lt_i32_e64 s[28:29], v79, v78
	v_cndmask_b32_e64 v75, v75, v76, s[28:29]
	v_cndmask_b32_e64 v77, v80, v77, s[28:29]
	v_cmp_ge_i32_e64 s[28:29], v77, v75
	s_or_b64 s[34:35], s[28:29], s[34:35]
	s_andn2_b64 exec, exec, s[34:35]
	s_cbranch_execnz .LBB37_4
; %bb.5:                                ;   in Loop: Header=BB37_2 Depth=1
	s_or_b64 exec, exec, s[34:35]
.LBB37_6:                               ;   in Loop: Header=BB37_2 Depth=1
	s_or_b64 exec, exec, s[30:31]
	v_sub_u32_e32 v75, v45, v77
	v_lshl_add_u32 v80, v77, 2, v62
	v_lshlrev_b32_e32 v81, 2, v75
	ds_read_b32 v76, v80
	ds_read_b32 v78, v81
	v_add_u32_e32 v77, v77, v22
	v_cmp_le_i32_e64 s[30:31], v23, v77
	v_cmp_gt_i32_e64 s[28:29], v24, v75
                                        ; implicit-def: $vgpr79
	s_waitcnt lgkmcnt(0)
	v_cmp_lt_i32_e64 s[34:35], v78, v76
	s_or_b64 s[30:31], s[30:31], s[34:35]
	s_and_b64 s[28:29], s[28:29], s[30:31]
	s_xor_b64 s[30:31], s[28:29], -1
	s_and_saveexec_b64 s[34:35], s[30:31]
	s_xor_b64 s[30:31], exec, s[34:35]
; %bb.7:                                ;   in Loop: Header=BB37_2 Depth=1
	ds_read_b32 v79, v80 offset:4
                                        ; implicit-def: $vgpr81
; %bb.8:                                ;   in Loop: Header=BB37_2 Depth=1
	s_or_saveexec_b64 s[30:31], s[30:31]
	v_mov_b32_e32 v80, v78
	s_xor_b64 exec, exec, s[30:31]
	s_cbranch_execz .LBB37_10
; %bb.9:                                ;   in Loop: Header=BB37_2 Depth=1
	ds_read_b32 v80, v81 offset:4
	s_waitcnt lgkmcnt(1)
	v_mov_b32_e32 v79, v76
.LBB37_10:                              ;   in Loop: Header=BB37_2 Depth=1
	s_or_b64 exec, exec, s[30:31]
	v_add_u32_e32 v82, 1, v77
	v_add_u32_e32 v81, 1, v75
	v_cndmask_b32_e64 v82, v82, v77, s[28:29]
	v_cndmask_b32_e64 v81, v75, v81, s[28:29]
	v_cmp_ge_i32_e64 s[34:35], v82, v23
	s_waitcnt lgkmcnt(0)
	v_cmp_lt_i32_e64 s[36:37], v80, v79
	v_cmp_lt_i32_e64 s[30:31], v81, v24
	s_or_b64 s[34:35], s[34:35], s[36:37]
	s_and_b64 s[30:31], s[30:31], s[34:35]
	s_xor_b64 s[34:35], s[30:31], -1
                                        ; implicit-def: $vgpr83
	s_and_saveexec_b64 s[36:37], s[34:35]
	s_xor_b64 s[34:35], exec, s[36:37]
; %bb.11:                               ;   in Loop: Header=BB37_2 Depth=1
	v_lshlrev_b32_e32 v83, 2, v82
	ds_read_b32 v83, v83 offset:4
; %bb.12:                               ;   in Loop: Header=BB37_2 Depth=1
	s_or_saveexec_b64 s[34:35], s[34:35]
	v_mov_b32_e32 v85, v80
	s_xor_b64 exec, exec, s[34:35]
	s_cbranch_execz .LBB37_14
; %bb.13:                               ;   in Loop: Header=BB37_2 Depth=1
	s_waitcnt lgkmcnt(0)
	v_lshlrev_b32_e32 v83, 2, v81
	ds_read_b32 v85, v83 offset:4
	v_mov_b32_e32 v83, v79
.LBB37_14:                              ;   in Loop: Header=BB37_2 Depth=1
	s_or_b64 exec, exec, s[34:35]
	v_add_u32_e32 v87, 1, v82
	v_add_u32_e32 v84, 1, v81
	v_cndmask_b32_e64 v87, v87, v82, s[30:31]
	v_cndmask_b32_e64 v86, v81, v84, s[30:31]
	v_cmp_ge_i32_e64 s[36:37], v87, v23
	s_waitcnt lgkmcnt(0)
	v_cmp_lt_i32_e64 s[38:39], v85, v83
	v_cmp_lt_i32_e64 s[34:35], v86, v24
	s_or_b64 s[36:37], s[36:37], s[38:39]
	s_and_b64 s[34:35], s[34:35], s[36:37]
	s_xor_b64 s[36:37], s[34:35], -1
                                        ; implicit-def: $vgpr84
	s_and_saveexec_b64 s[38:39], s[36:37]
	s_xor_b64 s[36:37], exec, s[38:39]
; %bb.15:                               ;   in Loop: Header=BB37_2 Depth=1
	v_lshlrev_b32_e32 v84, 2, v87
	ds_read_b32 v84, v84 offset:4
; %bb.16:                               ;   in Loop: Header=BB37_2 Depth=1
	s_or_saveexec_b64 s[36:37], s[36:37]
	v_mov_b32_e32 v88, v85
	s_xor_b64 exec, exec, s[36:37]
	s_cbranch_execz .LBB37_18
; %bb.17:                               ;   in Loop: Header=BB37_2 Depth=1
	s_waitcnt lgkmcnt(0)
	v_lshlrev_b32_e32 v84, 2, v86
	ds_read_b32 v88, v84 offset:4
	v_mov_b32_e32 v84, v83
.LBB37_18:                              ;   in Loop: Header=BB37_2 Depth=1
	s_or_b64 exec, exec, s[36:37]
	v_add_u32_e32 v89, 1, v87
	v_cndmask_b32_e64 v83, v83, v85, s[34:35]
	v_add_u32_e32 v85, 1, v86
	v_cndmask_b32_e64 v89, v89, v87, s[34:35]
	v_cndmask_b32_e64 v75, v77, v75, s[28:29]
	;; [unrolled: 1-line block ×9, first 2 shown]
	v_cmp_ge_i32_e64 s[18:19], v89, v23
	s_waitcnt lgkmcnt(0)
	v_cmp_lt_i32_e64 s[20:21], v88, v84
	v_cndmask_b32_e64 v72, v77, v71, s[22:23]
	v_cndmask_b32_e64 v71, v71, v77, s[22:23]
	;; [unrolled: 1-line block ×4, first 2 shown]
	v_cmp_lt_i32_e64 s[16:17], v85, v24
	s_or_b64 s[18:19], s[18:19], s[20:21]
	v_cndmask_b32_e64 v86, v87, v86, s[34:35]
	v_cndmask_b32_e64 v79, v79, v80, s[30:31]
	;; [unrolled: 1-line block ×5, first 2 shown]
	s_and_b64 s[16:17], s[16:17], s[18:19]
	v_cndmask_b32_e64 v73, v89, v85, s[16:17]
	s_barrier
	ds_write2_b32 v61, v72, v71 offset1:1
	ds_write2_b32 v61, v74, v77 offset0:2 offset1:3
	v_lshlrev_b32_e32 v71, 2, v75
	v_lshlrev_b32_e32 v72, 2, v80
	v_lshlrev_b32_e32 v74, 2, v86
	s_waitcnt lgkmcnt(0)
	s_barrier
	v_lshlrev_b32_e32 v75, 2, v73
	ds_read_b32 v71, v71
	ds_read_b32 v72, v72
	;; [unrolled: 1-line block ×4, first 2 shown]
	v_cndmask_b32_e64 v76, v76, v78, s[28:29]
	v_mov_b32_e32 v77, v27
	v_cndmask_b32_e64 v78, v84, v88, s[16:17]
	s_waitcnt lgkmcnt(0)
	s_barrier
	ds_write2_b32 v61, v76, v79 offset1:1
	ds_write2_b32 v61, v83, v78 offset0:2 offset1:3
	s_waitcnt lgkmcnt(0)
	s_barrier
	s_and_saveexec_b64 s[18:19], s[0:1]
	s_cbranch_execz .LBB37_22
; %bb.19:                               ;   in Loop: Header=BB37_2 Depth=1
	s_mov_b64 s[20:21], 0
	v_mov_b32_e32 v77, v27
	v_mov_b32_e32 v75, v28
.LBB37_20:                              ;   Parent Loop BB37_2 Depth=1
                                        ; =>  This Inner Loop Header: Depth=2
	v_sub_u32_e32 v76, v75, v77
	v_lshrrev_b32_e32 v76, 1, v76
	v_add_u32_e32 v76, v76, v77
	v_not_b32_e32 v79, v76
	v_lshl_add_u32 v78, v76, 2, v63
	v_lshl_add_u32 v79, v79, 2, v48
	ds_read_b32 v78, v78
	ds_read_b32 v79, v79
	v_add_u32_e32 v80, 1, v76
	s_waitcnt lgkmcnt(0)
	v_cmp_lt_i32_e64 s[16:17], v79, v78
	v_cndmask_b32_e64 v75, v75, v76, s[16:17]
	v_cndmask_b32_e64 v77, v80, v77, s[16:17]
	v_cmp_ge_i32_e64 s[16:17], v77, v75
	s_or_b64 s[20:21], s[16:17], s[20:21]
	s_andn2_b64 exec, exec, s[20:21]
	s_cbranch_execnz .LBB37_20
; %bb.21:                               ;   in Loop: Header=BB37_2 Depth=1
	s_or_b64 exec, exec, s[20:21]
.LBB37_22:                              ;   in Loop: Header=BB37_2 Depth=1
	s_or_b64 exec, exec, s[18:19]
	v_sub_u32_e32 v75, v47, v77
	v_lshl_add_u32 v80, v77, 2, v63
	v_lshlrev_b32_e32 v81, 2, v75
	ds_read_b32 v76, v80
	ds_read_b32 v78, v81
	v_add_u32_e32 v77, v77, v1
	v_cmp_le_i32_e64 s[18:19], v2, v77
	v_cmp_gt_i32_e64 s[16:17], v3, v75
                                        ; implicit-def: $vgpr79
	s_waitcnt lgkmcnt(0)
	v_cmp_lt_i32_e64 s[20:21], v78, v76
	s_or_b64 s[18:19], s[18:19], s[20:21]
	s_and_b64 s[16:17], s[16:17], s[18:19]
	s_xor_b64 s[18:19], s[16:17], -1
	s_and_saveexec_b64 s[20:21], s[18:19]
	s_xor_b64 s[18:19], exec, s[20:21]
; %bb.23:                               ;   in Loop: Header=BB37_2 Depth=1
	ds_read_b32 v79, v80 offset:4
                                        ; implicit-def: $vgpr81
; %bb.24:                               ;   in Loop: Header=BB37_2 Depth=1
	s_or_saveexec_b64 s[18:19], s[18:19]
	v_mov_b32_e32 v80, v78
	s_xor_b64 exec, exec, s[18:19]
	s_cbranch_execz .LBB37_26
; %bb.25:                               ;   in Loop: Header=BB37_2 Depth=1
	ds_read_b32 v80, v81 offset:4
	s_waitcnt lgkmcnt(1)
	v_mov_b32_e32 v79, v76
.LBB37_26:                              ;   in Loop: Header=BB37_2 Depth=1
	s_or_b64 exec, exec, s[18:19]
	v_add_u32_e32 v82, 1, v77
	v_add_u32_e32 v81, 1, v75
	v_cndmask_b32_e64 v82, v82, v77, s[16:17]
	v_cndmask_b32_e64 v81, v75, v81, s[16:17]
	v_cmp_ge_i32_e64 s[20:21], v82, v2
	s_waitcnt lgkmcnt(0)
	v_cmp_lt_i32_e64 s[22:23], v80, v79
	v_cmp_lt_i32_e64 s[18:19], v81, v3
	s_or_b64 s[20:21], s[20:21], s[22:23]
	s_and_b64 s[18:19], s[18:19], s[20:21]
	s_xor_b64 s[20:21], s[18:19], -1
                                        ; implicit-def: $vgpr83
	s_and_saveexec_b64 s[22:23], s[20:21]
	s_xor_b64 s[20:21], exec, s[22:23]
; %bb.27:                               ;   in Loop: Header=BB37_2 Depth=1
	v_lshlrev_b32_e32 v83, 2, v82
	ds_read_b32 v83, v83 offset:4
; %bb.28:                               ;   in Loop: Header=BB37_2 Depth=1
	s_or_saveexec_b64 s[20:21], s[20:21]
	v_mov_b32_e32 v84, v80
	s_xor_b64 exec, exec, s[20:21]
	s_cbranch_execz .LBB37_30
; %bb.29:                               ;   in Loop: Header=BB37_2 Depth=1
	s_waitcnt lgkmcnt(0)
	v_lshlrev_b32_e32 v83, 2, v81
	ds_read_b32 v84, v83 offset:4
	v_mov_b32_e32 v83, v79
.LBB37_30:                              ;   in Loop: Header=BB37_2 Depth=1
	s_or_b64 exec, exec, s[20:21]
	v_add_u32_e32 v86, 1, v82
	v_add_u32_e32 v85, 1, v81
	v_cndmask_b32_e64 v86, v86, v82, s[18:19]
	v_cndmask_b32_e64 v85, v81, v85, s[18:19]
	v_cmp_ge_i32_e64 s[22:23], v86, v2
	s_waitcnt lgkmcnt(0)
	v_cmp_lt_i32_e64 s[24:25], v84, v83
	v_cmp_lt_i32_e64 s[20:21], v85, v3
	s_or_b64 s[22:23], s[22:23], s[24:25]
	s_and_b64 s[20:21], s[20:21], s[22:23]
	s_xor_b64 s[22:23], s[20:21], -1
                                        ; implicit-def: $vgpr87
	s_and_saveexec_b64 s[24:25], s[22:23]
	s_xor_b64 s[22:23], exec, s[24:25]
; %bb.31:                               ;   in Loop: Header=BB37_2 Depth=1
	v_lshlrev_b32_e32 v87, 2, v86
	ds_read_b32 v87, v87 offset:4
; %bb.32:                               ;   in Loop: Header=BB37_2 Depth=1
	s_or_saveexec_b64 s[22:23], s[22:23]
	v_mov_b32_e32 v88, v84
	s_xor_b64 exec, exec, s[22:23]
	s_cbranch_execz .LBB37_34
; %bb.33:                               ;   in Loop: Header=BB37_2 Depth=1
	s_waitcnt lgkmcnt(0)
	v_lshlrev_b32_e32 v87, 2, v85
	ds_read_b32 v88, v87 offset:4
	v_mov_b32_e32 v87, v83
.LBB37_34:                              ;   in Loop: Header=BB37_2 Depth=1
	s_or_b64 exec, exec, s[22:23]
	v_add_u32_e32 v89, 1, v86
	v_cndmask_b32_e64 v83, v83, v84, s[20:21]
	v_add_u32_e32 v84, 1, v85
	v_cndmask_b32_e64 v89, v89, v86, s[20:21]
	v_cndmask_b32_e64 v84, v85, v84, s[20:21]
	v_cndmask_b32_e64 v85, v86, v85, s[20:21]
	v_cndmask_b32_e64 v79, v79, v80, s[18:19]
	v_cndmask_b32_e64 v80, v82, v81, s[18:19]
	v_cmp_ge_i32_e64 s[18:19], v89, v2
	s_waitcnt lgkmcnt(0)
	v_cmp_lt_i32_e64 s[20:21], v88, v87
	v_cndmask_b32_e64 v76, v76, v78, s[16:17]
	v_cndmask_b32_e64 v75, v77, v75, s[16:17]
	v_cmp_lt_i32_e64 s[16:17], v84, v3
	s_or_b64 s[18:19], s[18:19], s[20:21]
	s_and_b64 s[16:17], s[16:17], s[18:19]
	v_cndmask_b32_e64 v78, v89, v84, s[16:17]
	s_barrier
	ds_write2_b32 v61, v71, v72 offset1:1
	ds_write2_b32 v61, v73, v74 offset0:2 offset1:3
	v_lshlrev_b32_e32 v71, 2, v75
	v_lshlrev_b32_e32 v72, 2, v80
	;; [unrolled: 1-line block ×4, first 2 shown]
	s_waitcnt lgkmcnt(0)
	s_barrier
	ds_read_b32 v71, v71
	ds_read_b32 v72, v72
	;; [unrolled: 1-line block ×4, first 2 shown]
	v_cndmask_b32_e64 v77, v87, v88, s[16:17]
	s_waitcnt lgkmcnt(0)
	s_barrier
	ds_write2_b32 v61, v76, v79 offset1:1
	ds_write2_b32 v61, v83, v77 offset0:2 offset1:3
	v_mov_b32_e32 v77, v29
	s_waitcnt lgkmcnt(0)
	s_barrier
	s_and_saveexec_b64 s[18:19], s[2:3]
	s_cbranch_execz .LBB37_38
; %bb.35:                               ;   in Loop: Header=BB37_2 Depth=1
	s_mov_b64 s[20:21], 0
	v_mov_b32_e32 v77, v29
	v_mov_b32_e32 v75, v30
.LBB37_36:                              ;   Parent Loop BB37_2 Depth=1
                                        ; =>  This Inner Loop Header: Depth=2
	v_sub_u32_e32 v76, v75, v77
	v_lshrrev_b32_e32 v76, 1, v76
	v_add_u32_e32 v76, v76, v77
	v_not_b32_e32 v79, v76
	v_lshl_add_u32 v78, v76, 2, v64
	v_lshl_add_u32 v79, v79, 2, v50
	ds_read_b32 v78, v78
	ds_read_b32 v79, v79
	v_add_u32_e32 v80, 1, v76
	s_waitcnt lgkmcnt(0)
	v_cmp_lt_i32_e64 s[16:17], v79, v78
	v_cndmask_b32_e64 v75, v75, v76, s[16:17]
	v_cndmask_b32_e64 v77, v80, v77, s[16:17]
	v_cmp_ge_i32_e64 s[16:17], v77, v75
	s_or_b64 s[20:21], s[16:17], s[20:21]
	s_andn2_b64 exec, exec, s[20:21]
	s_cbranch_execnz .LBB37_36
; %bb.37:                               ;   in Loop: Header=BB37_2 Depth=1
	s_or_b64 exec, exec, s[20:21]
.LBB37_38:                              ;   in Loop: Header=BB37_2 Depth=1
	s_or_b64 exec, exec, s[18:19]
	v_sub_u32_e32 v75, v49, v77
	v_lshl_add_u32 v80, v77, 2, v64
	v_lshlrev_b32_e32 v81, 2, v75
	ds_read_b32 v76, v80
	ds_read_b32 v78, v81
	v_add_u32_e32 v77, v77, v4
	v_cmp_le_i32_e64 s[18:19], v5, v77
	v_cmp_gt_i32_e64 s[16:17], v6, v75
                                        ; implicit-def: $vgpr79
	s_waitcnt lgkmcnt(0)
	v_cmp_lt_i32_e64 s[20:21], v78, v76
	s_or_b64 s[18:19], s[18:19], s[20:21]
	s_and_b64 s[16:17], s[16:17], s[18:19]
	s_xor_b64 s[18:19], s[16:17], -1
	s_and_saveexec_b64 s[20:21], s[18:19]
	s_xor_b64 s[18:19], exec, s[20:21]
; %bb.39:                               ;   in Loop: Header=BB37_2 Depth=1
	ds_read_b32 v79, v80 offset:4
                                        ; implicit-def: $vgpr81
; %bb.40:                               ;   in Loop: Header=BB37_2 Depth=1
	s_or_saveexec_b64 s[18:19], s[18:19]
	v_mov_b32_e32 v80, v78
	s_xor_b64 exec, exec, s[18:19]
	s_cbranch_execz .LBB37_42
; %bb.41:                               ;   in Loop: Header=BB37_2 Depth=1
	ds_read_b32 v80, v81 offset:4
	s_waitcnt lgkmcnt(1)
	v_mov_b32_e32 v79, v76
.LBB37_42:                              ;   in Loop: Header=BB37_2 Depth=1
	s_or_b64 exec, exec, s[18:19]
	v_add_u32_e32 v82, 1, v77
	v_add_u32_e32 v81, 1, v75
	v_cndmask_b32_e64 v82, v82, v77, s[16:17]
	v_cndmask_b32_e64 v81, v75, v81, s[16:17]
	v_cmp_ge_i32_e64 s[20:21], v82, v5
	s_waitcnt lgkmcnt(0)
	v_cmp_lt_i32_e64 s[22:23], v80, v79
	v_cmp_lt_i32_e64 s[18:19], v81, v6
	s_or_b64 s[20:21], s[20:21], s[22:23]
	s_and_b64 s[18:19], s[18:19], s[20:21]
	s_xor_b64 s[20:21], s[18:19], -1
                                        ; implicit-def: $vgpr83
	s_and_saveexec_b64 s[22:23], s[20:21]
	s_xor_b64 s[20:21], exec, s[22:23]
; %bb.43:                               ;   in Loop: Header=BB37_2 Depth=1
	v_lshlrev_b32_e32 v83, 2, v82
	ds_read_b32 v83, v83 offset:4
; %bb.44:                               ;   in Loop: Header=BB37_2 Depth=1
	s_or_saveexec_b64 s[20:21], s[20:21]
	v_mov_b32_e32 v84, v80
	s_xor_b64 exec, exec, s[20:21]
	s_cbranch_execz .LBB37_46
; %bb.45:                               ;   in Loop: Header=BB37_2 Depth=1
	s_waitcnt lgkmcnt(0)
	v_lshlrev_b32_e32 v83, 2, v81
	ds_read_b32 v84, v83 offset:4
	v_mov_b32_e32 v83, v79
.LBB37_46:                              ;   in Loop: Header=BB37_2 Depth=1
	s_or_b64 exec, exec, s[20:21]
	v_add_u32_e32 v86, 1, v82
	v_add_u32_e32 v85, 1, v81
	v_cndmask_b32_e64 v86, v86, v82, s[18:19]
	v_cndmask_b32_e64 v85, v81, v85, s[18:19]
	v_cmp_ge_i32_e64 s[22:23], v86, v5
	s_waitcnt lgkmcnt(0)
	v_cmp_lt_i32_e64 s[24:25], v84, v83
	v_cmp_lt_i32_e64 s[20:21], v85, v6
	s_or_b64 s[22:23], s[22:23], s[24:25]
	s_and_b64 s[20:21], s[20:21], s[22:23]
	s_xor_b64 s[22:23], s[20:21], -1
                                        ; implicit-def: $vgpr87
	s_and_saveexec_b64 s[24:25], s[22:23]
	s_xor_b64 s[22:23], exec, s[24:25]
; %bb.47:                               ;   in Loop: Header=BB37_2 Depth=1
	v_lshlrev_b32_e32 v87, 2, v86
	ds_read_b32 v87, v87 offset:4
; %bb.48:                               ;   in Loop: Header=BB37_2 Depth=1
	s_or_saveexec_b64 s[22:23], s[22:23]
	v_mov_b32_e32 v88, v84
	s_xor_b64 exec, exec, s[22:23]
	s_cbranch_execz .LBB37_50
; %bb.49:                               ;   in Loop: Header=BB37_2 Depth=1
	s_waitcnt lgkmcnt(0)
	v_lshlrev_b32_e32 v87, 2, v85
	ds_read_b32 v88, v87 offset:4
	v_mov_b32_e32 v87, v83
.LBB37_50:                              ;   in Loop: Header=BB37_2 Depth=1
	s_or_b64 exec, exec, s[22:23]
	v_add_u32_e32 v89, 1, v86
	v_cndmask_b32_e64 v83, v83, v84, s[20:21]
	v_add_u32_e32 v84, 1, v85
	v_cndmask_b32_e64 v89, v89, v86, s[20:21]
	v_cndmask_b32_e64 v84, v85, v84, s[20:21]
	;; [unrolled: 1-line block ×5, first 2 shown]
	v_cmp_ge_i32_e64 s[18:19], v89, v5
	s_waitcnt lgkmcnt(0)
	v_cmp_lt_i32_e64 s[20:21], v88, v87
	v_cndmask_b32_e64 v76, v76, v78, s[16:17]
	v_cndmask_b32_e64 v75, v77, v75, s[16:17]
	v_cmp_lt_i32_e64 s[16:17], v84, v6
	s_or_b64 s[18:19], s[18:19], s[20:21]
	s_and_b64 s[16:17], s[16:17], s[18:19]
	v_cndmask_b32_e64 v78, v89, v84, s[16:17]
	s_barrier
	ds_write2_b32 v61, v71, v72 offset1:1
	ds_write2_b32 v61, v73, v74 offset0:2 offset1:3
	v_lshlrev_b32_e32 v71, 2, v75
	v_lshlrev_b32_e32 v72, 2, v80
	;; [unrolled: 1-line block ×4, first 2 shown]
	s_waitcnt lgkmcnt(0)
	s_barrier
	ds_read_b32 v71, v71
	ds_read_b32 v72, v72
	;; [unrolled: 1-line block ×4, first 2 shown]
	v_cndmask_b32_e64 v77, v87, v88, s[16:17]
	s_waitcnt lgkmcnt(0)
	s_barrier
	ds_write2_b32 v61, v76, v79 offset1:1
	ds_write2_b32 v61, v83, v77 offset0:2 offset1:3
	v_mov_b32_e32 v77, v31
	s_waitcnt lgkmcnt(0)
	s_barrier
	s_and_saveexec_b64 s[18:19], s[4:5]
	s_cbranch_execz .LBB37_54
; %bb.51:                               ;   in Loop: Header=BB37_2 Depth=1
	s_mov_b64 s[20:21], 0
	v_mov_b32_e32 v77, v31
	v_mov_b32_e32 v75, v32
.LBB37_52:                              ;   Parent Loop BB37_2 Depth=1
                                        ; =>  This Inner Loop Header: Depth=2
	v_sub_u32_e32 v76, v75, v77
	v_lshrrev_b32_e32 v76, 1, v76
	v_add_u32_e32 v76, v76, v77
	v_not_b32_e32 v79, v76
	v_lshl_add_u32 v78, v76, 2, v65
	v_lshl_add_u32 v79, v79, 2, v52
	ds_read_b32 v78, v78
	ds_read_b32 v79, v79
	v_add_u32_e32 v80, 1, v76
	s_waitcnt lgkmcnt(0)
	v_cmp_lt_i32_e64 s[16:17], v79, v78
	v_cndmask_b32_e64 v75, v75, v76, s[16:17]
	v_cndmask_b32_e64 v77, v80, v77, s[16:17]
	v_cmp_ge_i32_e64 s[16:17], v77, v75
	s_or_b64 s[20:21], s[16:17], s[20:21]
	s_andn2_b64 exec, exec, s[20:21]
	s_cbranch_execnz .LBB37_52
; %bb.53:                               ;   in Loop: Header=BB37_2 Depth=1
	s_or_b64 exec, exec, s[20:21]
.LBB37_54:                              ;   in Loop: Header=BB37_2 Depth=1
	s_or_b64 exec, exec, s[18:19]
	v_sub_u32_e32 v75, v51, v77
	v_lshl_add_u32 v80, v77, 2, v65
	v_lshlrev_b32_e32 v81, 2, v75
	ds_read_b32 v76, v80
	ds_read_b32 v78, v81
	v_add_u32_e32 v77, v77, v7
	v_cmp_le_i32_e64 s[18:19], v8, v77
	v_cmp_gt_i32_e64 s[16:17], v9, v75
                                        ; implicit-def: $vgpr79
	s_waitcnt lgkmcnt(0)
	v_cmp_lt_i32_e64 s[20:21], v78, v76
	s_or_b64 s[18:19], s[18:19], s[20:21]
	s_and_b64 s[16:17], s[16:17], s[18:19]
	s_xor_b64 s[18:19], s[16:17], -1
	s_and_saveexec_b64 s[20:21], s[18:19]
	s_xor_b64 s[18:19], exec, s[20:21]
; %bb.55:                               ;   in Loop: Header=BB37_2 Depth=1
	ds_read_b32 v79, v80 offset:4
                                        ; implicit-def: $vgpr81
; %bb.56:                               ;   in Loop: Header=BB37_2 Depth=1
	s_or_saveexec_b64 s[18:19], s[18:19]
	v_mov_b32_e32 v80, v78
	s_xor_b64 exec, exec, s[18:19]
	s_cbranch_execz .LBB37_58
; %bb.57:                               ;   in Loop: Header=BB37_2 Depth=1
	ds_read_b32 v80, v81 offset:4
	s_waitcnt lgkmcnt(1)
	v_mov_b32_e32 v79, v76
.LBB37_58:                              ;   in Loop: Header=BB37_2 Depth=1
	s_or_b64 exec, exec, s[18:19]
	v_add_u32_e32 v82, 1, v77
	v_add_u32_e32 v81, 1, v75
	v_cndmask_b32_e64 v82, v82, v77, s[16:17]
	v_cndmask_b32_e64 v81, v75, v81, s[16:17]
	v_cmp_ge_i32_e64 s[20:21], v82, v8
	s_waitcnt lgkmcnt(0)
	v_cmp_lt_i32_e64 s[22:23], v80, v79
	v_cmp_lt_i32_e64 s[18:19], v81, v9
	s_or_b64 s[20:21], s[20:21], s[22:23]
	s_and_b64 s[18:19], s[18:19], s[20:21]
	s_xor_b64 s[20:21], s[18:19], -1
                                        ; implicit-def: $vgpr83
	s_and_saveexec_b64 s[22:23], s[20:21]
	s_xor_b64 s[20:21], exec, s[22:23]
; %bb.59:                               ;   in Loop: Header=BB37_2 Depth=1
	v_lshlrev_b32_e32 v83, 2, v82
	ds_read_b32 v83, v83 offset:4
; %bb.60:                               ;   in Loop: Header=BB37_2 Depth=1
	s_or_saveexec_b64 s[20:21], s[20:21]
	v_mov_b32_e32 v84, v80
	s_xor_b64 exec, exec, s[20:21]
	s_cbranch_execz .LBB37_62
; %bb.61:                               ;   in Loop: Header=BB37_2 Depth=1
	s_waitcnt lgkmcnt(0)
	v_lshlrev_b32_e32 v83, 2, v81
	ds_read_b32 v84, v83 offset:4
	v_mov_b32_e32 v83, v79
.LBB37_62:                              ;   in Loop: Header=BB37_2 Depth=1
	s_or_b64 exec, exec, s[20:21]
	v_add_u32_e32 v86, 1, v82
	v_add_u32_e32 v85, 1, v81
	v_cndmask_b32_e64 v86, v86, v82, s[18:19]
	v_cndmask_b32_e64 v85, v81, v85, s[18:19]
	v_cmp_ge_i32_e64 s[22:23], v86, v8
	s_waitcnt lgkmcnt(0)
	v_cmp_lt_i32_e64 s[24:25], v84, v83
	v_cmp_lt_i32_e64 s[20:21], v85, v9
	s_or_b64 s[22:23], s[22:23], s[24:25]
	s_and_b64 s[20:21], s[20:21], s[22:23]
	s_xor_b64 s[22:23], s[20:21], -1
                                        ; implicit-def: $vgpr87
	s_and_saveexec_b64 s[24:25], s[22:23]
	s_xor_b64 s[22:23], exec, s[24:25]
; %bb.63:                               ;   in Loop: Header=BB37_2 Depth=1
	v_lshlrev_b32_e32 v87, 2, v86
	ds_read_b32 v87, v87 offset:4
; %bb.64:                               ;   in Loop: Header=BB37_2 Depth=1
	s_or_saveexec_b64 s[22:23], s[22:23]
	v_mov_b32_e32 v88, v84
	s_xor_b64 exec, exec, s[22:23]
	s_cbranch_execz .LBB37_66
; %bb.65:                               ;   in Loop: Header=BB37_2 Depth=1
	s_waitcnt lgkmcnt(0)
	v_lshlrev_b32_e32 v87, 2, v85
	ds_read_b32 v88, v87 offset:4
	v_mov_b32_e32 v87, v83
.LBB37_66:                              ;   in Loop: Header=BB37_2 Depth=1
	s_or_b64 exec, exec, s[22:23]
	v_add_u32_e32 v89, 1, v86
	v_cndmask_b32_e64 v83, v83, v84, s[20:21]
	v_add_u32_e32 v84, 1, v85
	v_cndmask_b32_e64 v89, v89, v86, s[20:21]
	v_cndmask_b32_e64 v84, v85, v84, s[20:21]
	;; [unrolled: 1-line block ×5, first 2 shown]
	v_cmp_ge_i32_e64 s[18:19], v89, v8
	s_waitcnt lgkmcnt(0)
	v_cmp_lt_i32_e64 s[20:21], v88, v87
	v_cndmask_b32_e64 v76, v76, v78, s[16:17]
	v_cndmask_b32_e64 v75, v77, v75, s[16:17]
	v_cmp_lt_i32_e64 s[16:17], v84, v9
	s_or_b64 s[18:19], s[18:19], s[20:21]
	s_and_b64 s[16:17], s[16:17], s[18:19]
	v_cndmask_b32_e64 v78, v89, v84, s[16:17]
	s_barrier
	ds_write2_b32 v61, v71, v72 offset1:1
	ds_write2_b32 v61, v73, v74 offset0:2 offset1:3
	v_lshlrev_b32_e32 v71, 2, v75
	v_lshlrev_b32_e32 v72, 2, v80
	;; [unrolled: 1-line block ×4, first 2 shown]
	s_waitcnt lgkmcnt(0)
	s_barrier
	ds_read_b32 v71, v71
	ds_read_b32 v72, v72
	;; [unrolled: 1-line block ×4, first 2 shown]
	v_cndmask_b32_e64 v77, v87, v88, s[16:17]
	s_waitcnt lgkmcnt(0)
	s_barrier
	ds_write2_b32 v61, v76, v79 offset1:1
	ds_write2_b32 v61, v83, v77 offset0:2 offset1:3
	v_mov_b32_e32 v77, v33
	s_waitcnt lgkmcnt(0)
	s_barrier
	s_and_saveexec_b64 s[18:19], s[6:7]
	s_cbranch_execz .LBB37_70
; %bb.67:                               ;   in Loop: Header=BB37_2 Depth=1
	s_mov_b64 s[20:21], 0
	v_mov_b32_e32 v77, v33
	v_mov_b32_e32 v75, v34
.LBB37_68:                              ;   Parent Loop BB37_2 Depth=1
                                        ; =>  This Inner Loop Header: Depth=2
	v_sub_u32_e32 v76, v75, v77
	v_lshrrev_b32_e32 v76, 1, v76
	v_add_u32_e32 v76, v76, v77
	v_not_b32_e32 v79, v76
	v_lshl_add_u32 v78, v76, 2, v66
	v_lshl_add_u32 v79, v79, 2, v54
	ds_read_b32 v78, v78
	ds_read_b32 v79, v79
	v_add_u32_e32 v80, 1, v76
	s_waitcnt lgkmcnt(0)
	v_cmp_lt_i32_e64 s[16:17], v79, v78
	v_cndmask_b32_e64 v75, v75, v76, s[16:17]
	v_cndmask_b32_e64 v77, v80, v77, s[16:17]
	v_cmp_ge_i32_e64 s[16:17], v77, v75
	s_or_b64 s[20:21], s[16:17], s[20:21]
	s_andn2_b64 exec, exec, s[20:21]
	s_cbranch_execnz .LBB37_68
; %bb.69:                               ;   in Loop: Header=BB37_2 Depth=1
	s_or_b64 exec, exec, s[20:21]
.LBB37_70:                              ;   in Loop: Header=BB37_2 Depth=1
	s_or_b64 exec, exec, s[18:19]
	v_sub_u32_e32 v75, v53, v77
	v_lshl_add_u32 v80, v77, 2, v66
	v_lshlrev_b32_e32 v81, 2, v75
	ds_read_b32 v76, v80
	ds_read_b32 v78, v81
	v_add_u32_e32 v77, v77, v10
	v_cmp_le_i32_e64 s[18:19], v11, v77
	v_cmp_gt_i32_e64 s[16:17], v12, v75
                                        ; implicit-def: $vgpr79
	s_waitcnt lgkmcnt(0)
	v_cmp_lt_i32_e64 s[20:21], v78, v76
	s_or_b64 s[18:19], s[18:19], s[20:21]
	s_and_b64 s[16:17], s[16:17], s[18:19]
	s_xor_b64 s[18:19], s[16:17], -1
	s_and_saveexec_b64 s[20:21], s[18:19]
	s_xor_b64 s[18:19], exec, s[20:21]
; %bb.71:                               ;   in Loop: Header=BB37_2 Depth=1
	ds_read_b32 v79, v80 offset:4
                                        ; implicit-def: $vgpr81
; %bb.72:                               ;   in Loop: Header=BB37_2 Depth=1
	s_or_saveexec_b64 s[18:19], s[18:19]
	v_mov_b32_e32 v80, v78
	s_xor_b64 exec, exec, s[18:19]
	s_cbranch_execz .LBB37_74
; %bb.73:                               ;   in Loop: Header=BB37_2 Depth=1
	ds_read_b32 v80, v81 offset:4
	s_waitcnt lgkmcnt(1)
	v_mov_b32_e32 v79, v76
.LBB37_74:                              ;   in Loop: Header=BB37_2 Depth=1
	s_or_b64 exec, exec, s[18:19]
	v_add_u32_e32 v82, 1, v77
	v_add_u32_e32 v81, 1, v75
	v_cndmask_b32_e64 v82, v82, v77, s[16:17]
	v_cndmask_b32_e64 v81, v75, v81, s[16:17]
	v_cmp_ge_i32_e64 s[20:21], v82, v11
	s_waitcnt lgkmcnt(0)
	v_cmp_lt_i32_e64 s[22:23], v80, v79
	v_cmp_lt_i32_e64 s[18:19], v81, v12
	s_or_b64 s[20:21], s[20:21], s[22:23]
	s_and_b64 s[18:19], s[18:19], s[20:21]
	s_xor_b64 s[20:21], s[18:19], -1
                                        ; implicit-def: $vgpr83
	s_and_saveexec_b64 s[22:23], s[20:21]
	s_xor_b64 s[20:21], exec, s[22:23]
; %bb.75:                               ;   in Loop: Header=BB37_2 Depth=1
	v_lshlrev_b32_e32 v83, 2, v82
	ds_read_b32 v83, v83 offset:4
; %bb.76:                               ;   in Loop: Header=BB37_2 Depth=1
	s_or_saveexec_b64 s[20:21], s[20:21]
	v_mov_b32_e32 v84, v80
	s_xor_b64 exec, exec, s[20:21]
	s_cbranch_execz .LBB37_78
; %bb.77:                               ;   in Loop: Header=BB37_2 Depth=1
	s_waitcnt lgkmcnt(0)
	v_lshlrev_b32_e32 v83, 2, v81
	ds_read_b32 v84, v83 offset:4
	v_mov_b32_e32 v83, v79
.LBB37_78:                              ;   in Loop: Header=BB37_2 Depth=1
	s_or_b64 exec, exec, s[20:21]
	v_add_u32_e32 v86, 1, v82
	v_add_u32_e32 v85, 1, v81
	v_cndmask_b32_e64 v86, v86, v82, s[18:19]
	v_cndmask_b32_e64 v85, v81, v85, s[18:19]
	v_cmp_ge_i32_e64 s[22:23], v86, v11
	s_waitcnt lgkmcnt(0)
	v_cmp_lt_i32_e64 s[24:25], v84, v83
	v_cmp_lt_i32_e64 s[20:21], v85, v12
	s_or_b64 s[22:23], s[22:23], s[24:25]
	s_and_b64 s[20:21], s[20:21], s[22:23]
	s_xor_b64 s[22:23], s[20:21], -1
                                        ; implicit-def: $vgpr87
	s_and_saveexec_b64 s[24:25], s[22:23]
	s_xor_b64 s[22:23], exec, s[24:25]
; %bb.79:                               ;   in Loop: Header=BB37_2 Depth=1
	v_lshlrev_b32_e32 v87, 2, v86
	ds_read_b32 v87, v87 offset:4
; %bb.80:                               ;   in Loop: Header=BB37_2 Depth=1
	s_or_saveexec_b64 s[22:23], s[22:23]
	v_mov_b32_e32 v88, v84
	s_xor_b64 exec, exec, s[22:23]
	s_cbranch_execz .LBB37_82
; %bb.81:                               ;   in Loop: Header=BB37_2 Depth=1
	s_waitcnt lgkmcnt(0)
	v_lshlrev_b32_e32 v87, 2, v85
	ds_read_b32 v88, v87 offset:4
	v_mov_b32_e32 v87, v83
.LBB37_82:                              ;   in Loop: Header=BB37_2 Depth=1
	s_or_b64 exec, exec, s[22:23]
	v_add_u32_e32 v89, 1, v86
	v_cndmask_b32_e64 v83, v83, v84, s[20:21]
	v_add_u32_e32 v84, 1, v85
	v_cndmask_b32_e64 v89, v89, v86, s[20:21]
	v_cndmask_b32_e64 v84, v85, v84, s[20:21]
	;; [unrolled: 1-line block ×5, first 2 shown]
	v_cmp_ge_i32_e64 s[18:19], v89, v11
	s_waitcnt lgkmcnt(0)
	v_cmp_lt_i32_e64 s[20:21], v88, v87
	v_cndmask_b32_e64 v76, v76, v78, s[16:17]
	v_cndmask_b32_e64 v75, v77, v75, s[16:17]
	v_cmp_lt_i32_e64 s[16:17], v84, v12
	s_or_b64 s[18:19], s[18:19], s[20:21]
	s_and_b64 s[16:17], s[16:17], s[18:19]
	v_cndmask_b32_e64 v78, v89, v84, s[16:17]
	s_barrier
	ds_write2_b32 v61, v71, v72 offset1:1
	ds_write2_b32 v61, v73, v74 offset0:2 offset1:3
	v_lshlrev_b32_e32 v71, 2, v75
	v_lshlrev_b32_e32 v72, 2, v80
	;; [unrolled: 1-line block ×4, first 2 shown]
	s_waitcnt lgkmcnt(0)
	s_barrier
	ds_read_b32 v71, v71
	ds_read_b32 v72, v72
	;; [unrolled: 1-line block ×4, first 2 shown]
	v_cndmask_b32_e64 v77, v87, v88, s[16:17]
	s_waitcnt lgkmcnt(0)
	s_barrier
	ds_write2_b32 v61, v76, v79 offset1:1
	ds_write2_b32 v61, v83, v77 offset0:2 offset1:3
	v_mov_b32_e32 v77, v35
	s_waitcnt lgkmcnt(0)
	s_barrier
	s_and_saveexec_b64 s[18:19], s[8:9]
	s_cbranch_execz .LBB37_86
; %bb.83:                               ;   in Loop: Header=BB37_2 Depth=1
	s_mov_b64 s[20:21], 0
	v_mov_b32_e32 v77, v35
	v_mov_b32_e32 v75, v36
.LBB37_84:                              ;   Parent Loop BB37_2 Depth=1
                                        ; =>  This Inner Loop Header: Depth=2
	v_sub_u32_e32 v76, v75, v77
	v_lshrrev_b32_e32 v76, 1, v76
	v_add_u32_e32 v76, v76, v77
	v_not_b32_e32 v79, v76
	v_lshl_add_u32 v78, v76, 2, v67
	v_lshl_add_u32 v79, v79, 2, v56
	ds_read_b32 v78, v78
	ds_read_b32 v79, v79
	v_add_u32_e32 v80, 1, v76
	s_waitcnt lgkmcnt(0)
	v_cmp_lt_i32_e64 s[16:17], v79, v78
	v_cndmask_b32_e64 v75, v75, v76, s[16:17]
	v_cndmask_b32_e64 v77, v80, v77, s[16:17]
	v_cmp_ge_i32_e64 s[16:17], v77, v75
	s_or_b64 s[20:21], s[16:17], s[20:21]
	s_andn2_b64 exec, exec, s[20:21]
	s_cbranch_execnz .LBB37_84
; %bb.85:                               ;   in Loop: Header=BB37_2 Depth=1
	s_or_b64 exec, exec, s[20:21]
.LBB37_86:                              ;   in Loop: Header=BB37_2 Depth=1
	s_or_b64 exec, exec, s[18:19]
	v_sub_u32_e32 v75, v55, v77
	v_lshl_add_u32 v80, v77, 2, v67
	v_lshlrev_b32_e32 v81, 2, v75
	ds_read_b32 v76, v80
	ds_read_b32 v78, v81
	v_add_u32_e32 v77, v77, v13
	v_cmp_le_i32_e64 s[18:19], v14, v77
	v_cmp_gt_i32_e64 s[16:17], v15, v75
                                        ; implicit-def: $vgpr79
	s_waitcnt lgkmcnt(0)
	v_cmp_lt_i32_e64 s[20:21], v78, v76
	s_or_b64 s[18:19], s[18:19], s[20:21]
	s_and_b64 s[16:17], s[16:17], s[18:19]
	s_xor_b64 s[18:19], s[16:17], -1
	s_and_saveexec_b64 s[20:21], s[18:19]
	s_xor_b64 s[18:19], exec, s[20:21]
; %bb.87:                               ;   in Loop: Header=BB37_2 Depth=1
	ds_read_b32 v79, v80 offset:4
                                        ; implicit-def: $vgpr81
; %bb.88:                               ;   in Loop: Header=BB37_2 Depth=1
	s_or_saveexec_b64 s[18:19], s[18:19]
	v_mov_b32_e32 v80, v78
	s_xor_b64 exec, exec, s[18:19]
	s_cbranch_execz .LBB37_90
; %bb.89:                               ;   in Loop: Header=BB37_2 Depth=1
	ds_read_b32 v80, v81 offset:4
	s_waitcnt lgkmcnt(1)
	v_mov_b32_e32 v79, v76
.LBB37_90:                              ;   in Loop: Header=BB37_2 Depth=1
	s_or_b64 exec, exec, s[18:19]
	v_add_u32_e32 v82, 1, v77
	v_add_u32_e32 v81, 1, v75
	v_cndmask_b32_e64 v82, v82, v77, s[16:17]
	v_cndmask_b32_e64 v81, v75, v81, s[16:17]
	v_cmp_ge_i32_e64 s[20:21], v82, v14
	s_waitcnt lgkmcnt(0)
	v_cmp_lt_i32_e64 s[22:23], v80, v79
	v_cmp_lt_i32_e64 s[18:19], v81, v15
	s_or_b64 s[20:21], s[20:21], s[22:23]
	s_and_b64 s[18:19], s[18:19], s[20:21]
	s_xor_b64 s[20:21], s[18:19], -1
                                        ; implicit-def: $vgpr83
	s_and_saveexec_b64 s[22:23], s[20:21]
	s_xor_b64 s[20:21], exec, s[22:23]
; %bb.91:                               ;   in Loop: Header=BB37_2 Depth=1
	v_lshlrev_b32_e32 v83, 2, v82
	ds_read_b32 v83, v83 offset:4
; %bb.92:                               ;   in Loop: Header=BB37_2 Depth=1
	s_or_saveexec_b64 s[20:21], s[20:21]
	v_mov_b32_e32 v84, v80
	s_xor_b64 exec, exec, s[20:21]
	s_cbranch_execz .LBB37_94
; %bb.93:                               ;   in Loop: Header=BB37_2 Depth=1
	s_waitcnt lgkmcnt(0)
	v_lshlrev_b32_e32 v83, 2, v81
	ds_read_b32 v84, v83 offset:4
	v_mov_b32_e32 v83, v79
.LBB37_94:                              ;   in Loop: Header=BB37_2 Depth=1
	s_or_b64 exec, exec, s[20:21]
	v_add_u32_e32 v86, 1, v82
	v_add_u32_e32 v85, 1, v81
	v_cndmask_b32_e64 v86, v86, v82, s[18:19]
	v_cndmask_b32_e64 v85, v81, v85, s[18:19]
	v_cmp_ge_i32_e64 s[22:23], v86, v14
	s_waitcnt lgkmcnt(0)
	v_cmp_lt_i32_e64 s[24:25], v84, v83
	v_cmp_lt_i32_e64 s[20:21], v85, v15
	s_or_b64 s[22:23], s[22:23], s[24:25]
	s_and_b64 s[20:21], s[20:21], s[22:23]
	s_xor_b64 s[22:23], s[20:21], -1
                                        ; implicit-def: $vgpr87
	s_and_saveexec_b64 s[24:25], s[22:23]
	s_xor_b64 s[22:23], exec, s[24:25]
; %bb.95:                               ;   in Loop: Header=BB37_2 Depth=1
	v_lshlrev_b32_e32 v87, 2, v86
	ds_read_b32 v87, v87 offset:4
; %bb.96:                               ;   in Loop: Header=BB37_2 Depth=1
	s_or_saveexec_b64 s[22:23], s[22:23]
	v_mov_b32_e32 v88, v84
	s_xor_b64 exec, exec, s[22:23]
	s_cbranch_execz .LBB37_98
; %bb.97:                               ;   in Loop: Header=BB37_2 Depth=1
	s_waitcnt lgkmcnt(0)
	v_lshlrev_b32_e32 v87, 2, v85
	ds_read_b32 v88, v87 offset:4
	v_mov_b32_e32 v87, v83
.LBB37_98:                              ;   in Loop: Header=BB37_2 Depth=1
	s_or_b64 exec, exec, s[22:23]
	v_add_u32_e32 v89, 1, v86
	v_cndmask_b32_e64 v83, v83, v84, s[20:21]
	v_add_u32_e32 v84, 1, v85
	v_cndmask_b32_e64 v89, v89, v86, s[20:21]
	v_cndmask_b32_e64 v84, v85, v84, s[20:21]
	;; [unrolled: 1-line block ×5, first 2 shown]
	v_cmp_ge_i32_e64 s[18:19], v89, v14
	s_waitcnt lgkmcnt(0)
	v_cmp_lt_i32_e64 s[20:21], v88, v87
	v_cndmask_b32_e64 v76, v76, v78, s[16:17]
	v_cndmask_b32_e64 v75, v77, v75, s[16:17]
	v_cmp_lt_i32_e64 s[16:17], v84, v15
	s_or_b64 s[18:19], s[18:19], s[20:21]
	s_and_b64 s[16:17], s[16:17], s[18:19]
	v_cndmask_b32_e64 v78, v89, v84, s[16:17]
	s_barrier
	ds_write2_b32 v61, v71, v72 offset1:1
	ds_write2_b32 v61, v73, v74 offset0:2 offset1:3
	v_lshlrev_b32_e32 v71, 2, v75
	v_lshlrev_b32_e32 v72, 2, v80
	;; [unrolled: 1-line block ×4, first 2 shown]
	s_waitcnt lgkmcnt(0)
	s_barrier
	ds_read_b32 v71, v71
	ds_read_b32 v72, v72
	;; [unrolled: 1-line block ×4, first 2 shown]
	v_cndmask_b32_e64 v77, v87, v88, s[16:17]
	s_waitcnt lgkmcnt(0)
	s_barrier
	ds_write2_b32 v61, v76, v79 offset1:1
	ds_write2_b32 v61, v83, v77 offset0:2 offset1:3
	v_mov_b32_e32 v77, v37
	s_waitcnt lgkmcnt(0)
	s_barrier
	s_and_saveexec_b64 s[18:19], s[10:11]
	s_cbranch_execz .LBB37_102
; %bb.99:                               ;   in Loop: Header=BB37_2 Depth=1
	s_mov_b64 s[20:21], 0
	v_mov_b32_e32 v77, v37
	v_mov_b32_e32 v75, v38
.LBB37_100:                             ;   Parent Loop BB37_2 Depth=1
                                        ; =>  This Inner Loop Header: Depth=2
	v_sub_u32_e32 v76, v75, v77
	v_lshrrev_b32_e32 v76, 1, v76
	v_add_u32_e32 v76, v76, v77
	v_not_b32_e32 v79, v76
	v_lshl_add_u32 v78, v76, 2, v68
	v_lshl_add_u32 v79, v79, 2, v58
	ds_read_b32 v78, v78
	ds_read_b32 v79, v79
	v_add_u32_e32 v80, 1, v76
	s_waitcnt lgkmcnt(0)
	v_cmp_lt_i32_e64 s[16:17], v79, v78
	v_cndmask_b32_e64 v75, v75, v76, s[16:17]
	v_cndmask_b32_e64 v77, v80, v77, s[16:17]
	v_cmp_ge_i32_e64 s[16:17], v77, v75
	s_or_b64 s[20:21], s[16:17], s[20:21]
	s_andn2_b64 exec, exec, s[20:21]
	s_cbranch_execnz .LBB37_100
; %bb.101:                              ;   in Loop: Header=BB37_2 Depth=1
	s_or_b64 exec, exec, s[20:21]
.LBB37_102:                             ;   in Loop: Header=BB37_2 Depth=1
	s_or_b64 exec, exec, s[18:19]
	v_sub_u32_e32 v75, v57, v77
	v_lshl_add_u32 v80, v77, 2, v68
	v_lshlrev_b32_e32 v81, 2, v75
	ds_read_b32 v76, v80
	ds_read_b32 v78, v81
	v_add_u32_e32 v77, v77, v16
	v_cmp_le_i32_e64 s[18:19], v17, v77
	v_cmp_gt_i32_e64 s[16:17], v18, v75
                                        ; implicit-def: $vgpr79
	s_waitcnt lgkmcnt(0)
	v_cmp_lt_i32_e64 s[20:21], v78, v76
	s_or_b64 s[18:19], s[18:19], s[20:21]
	s_and_b64 s[16:17], s[16:17], s[18:19]
	s_xor_b64 s[18:19], s[16:17], -1
	s_and_saveexec_b64 s[20:21], s[18:19]
	s_xor_b64 s[18:19], exec, s[20:21]
; %bb.103:                              ;   in Loop: Header=BB37_2 Depth=1
	ds_read_b32 v79, v80 offset:4
                                        ; implicit-def: $vgpr81
; %bb.104:                              ;   in Loop: Header=BB37_2 Depth=1
	s_or_saveexec_b64 s[18:19], s[18:19]
	v_mov_b32_e32 v80, v78
	s_xor_b64 exec, exec, s[18:19]
	s_cbranch_execz .LBB37_106
; %bb.105:                              ;   in Loop: Header=BB37_2 Depth=1
	ds_read_b32 v80, v81 offset:4
	s_waitcnt lgkmcnt(1)
	v_mov_b32_e32 v79, v76
.LBB37_106:                             ;   in Loop: Header=BB37_2 Depth=1
	s_or_b64 exec, exec, s[18:19]
	v_add_u32_e32 v82, 1, v77
	v_add_u32_e32 v81, 1, v75
	v_cndmask_b32_e64 v82, v82, v77, s[16:17]
	v_cndmask_b32_e64 v81, v75, v81, s[16:17]
	v_cmp_ge_i32_e64 s[20:21], v82, v17
	s_waitcnt lgkmcnt(0)
	v_cmp_lt_i32_e64 s[22:23], v80, v79
	v_cmp_lt_i32_e64 s[18:19], v81, v18
	s_or_b64 s[20:21], s[20:21], s[22:23]
	s_and_b64 s[18:19], s[18:19], s[20:21]
	s_xor_b64 s[20:21], s[18:19], -1
                                        ; implicit-def: $vgpr83
	s_and_saveexec_b64 s[22:23], s[20:21]
	s_xor_b64 s[20:21], exec, s[22:23]
; %bb.107:                              ;   in Loop: Header=BB37_2 Depth=1
	v_lshlrev_b32_e32 v83, 2, v82
	ds_read_b32 v83, v83 offset:4
; %bb.108:                              ;   in Loop: Header=BB37_2 Depth=1
	s_or_saveexec_b64 s[20:21], s[20:21]
	v_mov_b32_e32 v84, v80
	s_xor_b64 exec, exec, s[20:21]
	s_cbranch_execz .LBB37_110
; %bb.109:                              ;   in Loop: Header=BB37_2 Depth=1
	s_waitcnt lgkmcnt(0)
	v_lshlrev_b32_e32 v83, 2, v81
	ds_read_b32 v84, v83 offset:4
	v_mov_b32_e32 v83, v79
.LBB37_110:                             ;   in Loop: Header=BB37_2 Depth=1
	s_or_b64 exec, exec, s[20:21]
	v_add_u32_e32 v86, 1, v82
	v_add_u32_e32 v85, 1, v81
	v_cndmask_b32_e64 v86, v86, v82, s[18:19]
	v_cndmask_b32_e64 v85, v81, v85, s[18:19]
	v_cmp_ge_i32_e64 s[22:23], v86, v17
	s_waitcnt lgkmcnt(0)
	v_cmp_lt_i32_e64 s[24:25], v84, v83
	v_cmp_lt_i32_e64 s[20:21], v85, v18
	s_or_b64 s[22:23], s[22:23], s[24:25]
	s_and_b64 s[20:21], s[20:21], s[22:23]
	s_xor_b64 s[22:23], s[20:21], -1
                                        ; implicit-def: $vgpr87
	s_and_saveexec_b64 s[24:25], s[22:23]
	s_xor_b64 s[22:23], exec, s[24:25]
; %bb.111:                              ;   in Loop: Header=BB37_2 Depth=1
	v_lshlrev_b32_e32 v87, 2, v86
	ds_read_b32 v87, v87 offset:4
; %bb.112:                              ;   in Loop: Header=BB37_2 Depth=1
	s_or_saveexec_b64 s[22:23], s[22:23]
	v_mov_b32_e32 v88, v84
	s_xor_b64 exec, exec, s[22:23]
	s_cbranch_execz .LBB37_114
; %bb.113:                              ;   in Loop: Header=BB37_2 Depth=1
	s_waitcnt lgkmcnt(0)
	v_lshlrev_b32_e32 v87, 2, v85
	ds_read_b32 v88, v87 offset:4
	v_mov_b32_e32 v87, v83
.LBB37_114:                             ;   in Loop: Header=BB37_2 Depth=1
	s_or_b64 exec, exec, s[22:23]
	v_add_u32_e32 v89, 1, v86
	v_cndmask_b32_e64 v83, v83, v84, s[20:21]
	v_add_u32_e32 v84, 1, v85
	v_cndmask_b32_e64 v89, v89, v86, s[20:21]
	v_cndmask_b32_e64 v84, v85, v84, s[20:21]
	;; [unrolled: 1-line block ×5, first 2 shown]
	v_cmp_ge_i32_e64 s[18:19], v89, v17
	s_waitcnt lgkmcnt(0)
	v_cmp_lt_i32_e64 s[20:21], v88, v87
	v_cndmask_b32_e64 v76, v76, v78, s[16:17]
	v_cndmask_b32_e64 v75, v77, v75, s[16:17]
	v_cmp_lt_i32_e64 s[16:17], v84, v18
	s_or_b64 s[18:19], s[18:19], s[20:21]
	s_and_b64 s[16:17], s[16:17], s[18:19]
	v_cndmask_b32_e64 v78, v89, v84, s[16:17]
	s_barrier
	ds_write2_b32 v61, v71, v72 offset1:1
	ds_write2_b32 v61, v73, v74 offset0:2 offset1:3
	v_lshlrev_b32_e32 v71, 2, v75
	v_lshlrev_b32_e32 v72, 2, v80
	;; [unrolled: 1-line block ×4, first 2 shown]
	s_waitcnt lgkmcnt(0)
	s_barrier
	ds_read_b32 v71, v71
	ds_read_b32 v72, v72
	;; [unrolled: 1-line block ×4, first 2 shown]
	v_cndmask_b32_e64 v77, v87, v88, s[16:17]
	s_waitcnt lgkmcnt(0)
	s_barrier
	ds_write2_b32 v61, v76, v79 offset1:1
	ds_write2_b32 v61, v83, v77 offset0:2 offset1:3
	v_mov_b32_e32 v77, v39
	s_waitcnt lgkmcnt(0)
	s_barrier
	s_and_saveexec_b64 s[18:19], s[12:13]
	s_cbranch_execz .LBB37_118
; %bb.115:                              ;   in Loop: Header=BB37_2 Depth=1
	s_mov_b64 s[20:21], 0
	v_mov_b32_e32 v77, v39
	v_mov_b32_e32 v75, v40
.LBB37_116:                             ;   Parent Loop BB37_2 Depth=1
                                        ; =>  This Inner Loop Header: Depth=2
	v_sub_u32_e32 v76, v75, v77
	v_lshrrev_b32_e32 v76, 1, v76
	v_add_u32_e32 v76, v76, v77
	v_not_b32_e32 v79, v76
	v_lshl_add_u32 v78, v76, 2, v69
	v_lshl_add_u32 v79, v79, 2, v60
	ds_read_b32 v78, v78
	ds_read_b32 v79, v79
	v_add_u32_e32 v80, 1, v76
	s_waitcnt lgkmcnt(0)
	v_cmp_lt_i32_e64 s[16:17], v79, v78
	v_cndmask_b32_e64 v75, v75, v76, s[16:17]
	v_cndmask_b32_e64 v77, v80, v77, s[16:17]
	v_cmp_ge_i32_e64 s[16:17], v77, v75
	s_or_b64 s[20:21], s[16:17], s[20:21]
	s_andn2_b64 exec, exec, s[20:21]
	s_cbranch_execnz .LBB37_116
; %bb.117:                              ;   in Loop: Header=BB37_2 Depth=1
	s_or_b64 exec, exec, s[20:21]
.LBB37_118:                             ;   in Loop: Header=BB37_2 Depth=1
	s_or_b64 exec, exec, s[18:19]
	v_sub_u32_e32 v75, v59, v77
	v_lshl_add_u32 v80, v77, 2, v69
	v_lshlrev_b32_e32 v81, 2, v75
	ds_read_b32 v76, v80
	ds_read_b32 v78, v81
	v_add_u32_e32 v77, v77, v19
	v_cmp_le_i32_e64 s[18:19], v20, v77
	v_cmp_gt_i32_e64 s[16:17], v21, v75
                                        ; implicit-def: $vgpr79
	s_waitcnt lgkmcnt(0)
	v_cmp_lt_i32_e64 s[20:21], v78, v76
	s_or_b64 s[18:19], s[18:19], s[20:21]
	s_and_b64 s[16:17], s[16:17], s[18:19]
	s_xor_b64 s[18:19], s[16:17], -1
	s_and_saveexec_b64 s[20:21], s[18:19]
	s_xor_b64 s[18:19], exec, s[20:21]
; %bb.119:                              ;   in Loop: Header=BB37_2 Depth=1
	ds_read_b32 v79, v80 offset:4
                                        ; implicit-def: $vgpr81
; %bb.120:                              ;   in Loop: Header=BB37_2 Depth=1
	s_or_saveexec_b64 s[18:19], s[18:19]
	v_mov_b32_e32 v80, v78
	s_xor_b64 exec, exec, s[18:19]
	s_cbranch_execz .LBB37_122
; %bb.121:                              ;   in Loop: Header=BB37_2 Depth=1
	ds_read_b32 v80, v81 offset:4
	s_waitcnt lgkmcnt(1)
	v_mov_b32_e32 v79, v76
.LBB37_122:                             ;   in Loop: Header=BB37_2 Depth=1
	s_or_b64 exec, exec, s[18:19]
	v_add_u32_e32 v82, 1, v77
	v_add_u32_e32 v81, 1, v75
	v_cndmask_b32_e64 v82, v82, v77, s[16:17]
	v_cndmask_b32_e64 v81, v75, v81, s[16:17]
	v_cmp_ge_i32_e64 s[20:21], v82, v20
	s_waitcnt lgkmcnt(0)
	v_cmp_lt_i32_e64 s[22:23], v80, v79
	v_cmp_lt_i32_e64 s[18:19], v81, v21
	s_or_b64 s[20:21], s[20:21], s[22:23]
	s_and_b64 s[18:19], s[18:19], s[20:21]
	s_xor_b64 s[20:21], s[18:19], -1
                                        ; implicit-def: $vgpr83
	s_and_saveexec_b64 s[22:23], s[20:21]
	s_xor_b64 s[20:21], exec, s[22:23]
; %bb.123:                              ;   in Loop: Header=BB37_2 Depth=1
	v_lshlrev_b32_e32 v83, 2, v82
	ds_read_b32 v83, v83 offset:4
; %bb.124:                              ;   in Loop: Header=BB37_2 Depth=1
	s_or_saveexec_b64 s[20:21], s[20:21]
	v_mov_b32_e32 v84, v80
	s_xor_b64 exec, exec, s[20:21]
	s_cbranch_execz .LBB37_126
; %bb.125:                              ;   in Loop: Header=BB37_2 Depth=1
	s_waitcnt lgkmcnt(0)
	v_lshlrev_b32_e32 v83, 2, v81
	ds_read_b32 v84, v83 offset:4
	v_mov_b32_e32 v83, v79
.LBB37_126:                             ;   in Loop: Header=BB37_2 Depth=1
	s_or_b64 exec, exec, s[20:21]
	v_add_u32_e32 v86, 1, v82
	v_add_u32_e32 v85, 1, v81
	v_cndmask_b32_e64 v86, v86, v82, s[18:19]
	v_cndmask_b32_e64 v85, v81, v85, s[18:19]
	v_cmp_ge_i32_e64 s[22:23], v86, v20
	s_waitcnt lgkmcnt(0)
	v_cmp_lt_i32_e64 s[24:25], v84, v83
	v_cmp_lt_i32_e64 s[20:21], v85, v21
	s_or_b64 s[22:23], s[22:23], s[24:25]
	s_and_b64 s[20:21], s[20:21], s[22:23]
	s_xor_b64 s[22:23], s[20:21], -1
                                        ; implicit-def: $vgpr87
	s_and_saveexec_b64 s[24:25], s[22:23]
	s_xor_b64 s[22:23], exec, s[24:25]
; %bb.127:                              ;   in Loop: Header=BB37_2 Depth=1
	v_lshlrev_b32_e32 v87, 2, v86
	ds_read_b32 v87, v87 offset:4
; %bb.128:                              ;   in Loop: Header=BB37_2 Depth=1
	s_or_saveexec_b64 s[22:23], s[22:23]
	v_mov_b32_e32 v88, v84
	s_xor_b64 exec, exec, s[22:23]
	s_cbranch_execz .LBB37_130
; %bb.129:                              ;   in Loop: Header=BB37_2 Depth=1
	s_waitcnt lgkmcnt(0)
	v_lshlrev_b32_e32 v87, 2, v85
	ds_read_b32 v88, v87 offset:4
	v_mov_b32_e32 v87, v83
.LBB37_130:                             ;   in Loop: Header=BB37_2 Depth=1
	s_or_b64 exec, exec, s[22:23]
	v_add_u32_e32 v89, 1, v86
	v_cndmask_b32_e64 v83, v83, v84, s[20:21]
	v_add_u32_e32 v84, 1, v85
	v_cndmask_b32_e64 v89, v89, v86, s[20:21]
	v_cndmask_b32_e64 v84, v85, v84, s[20:21]
	;; [unrolled: 1-line block ×5, first 2 shown]
	v_cmp_ge_i32_e64 s[18:19], v89, v20
	s_waitcnt lgkmcnt(0)
	v_cmp_lt_i32_e64 s[20:21], v88, v87
	v_cndmask_b32_e64 v76, v76, v78, s[16:17]
	v_cndmask_b32_e64 v75, v77, v75, s[16:17]
	v_cmp_lt_i32_e64 s[16:17], v84, v21
	s_or_b64 s[18:19], s[18:19], s[20:21]
	s_and_b64 s[16:17], s[16:17], s[18:19]
	v_cndmask_b32_e64 v78, v89, v84, s[16:17]
	s_barrier
	ds_write2_b32 v61, v71, v72 offset1:1
	ds_write2_b32 v61, v73, v74 offset0:2 offset1:3
	v_lshlrev_b32_e32 v71, 2, v75
	v_lshlrev_b32_e32 v72, 2, v80
	;; [unrolled: 1-line block ×4, first 2 shown]
	s_waitcnt lgkmcnt(0)
	s_barrier
	ds_read_b32 v71, v71
	ds_read_b32 v72, v72
	;; [unrolled: 1-line block ×4, first 2 shown]
	v_mov_b32_e32 v75, v42
	v_cndmask_b32_e64 v77, v87, v88, s[16:17]
	s_waitcnt lgkmcnt(0)
	s_barrier
	ds_write2_b32 v61, v76, v79 offset1:1
	ds_write2_b32 v61, v83, v77 offset0:2 offset1:3
	s_waitcnt lgkmcnt(0)
	s_barrier
	s_and_saveexec_b64 s[18:19], s[14:15]
	s_cbranch_execz .LBB37_134
; %bb.131:                              ;   in Loop: Header=BB37_2 Depth=1
	s_mov_b64 s[20:21], 0
	v_mov_b32_e32 v75, v42
	v_mov_b32_e32 v76, v43
.LBB37_132:                             ;   Parent Loop BB37_2 Depth=1
                                        ; =>  This Inner Loop Header: Depth=2
	v_sub_u32_e32 v77, v76, v75
	v_lshrrev_b32_e32 v77, 1, v77
	v_add_u32_e32 v77, v77, v75
	v_not_b32_e32 v79, v77
	v_lshlrev_b32_e32 v78, 2, v77
	v_lshl_add_u32 v79, v79, 2, v70
	ds_read_b32 v78, v78
	ds_read_b32 v79, v79
	v_add_u32_e32 v80, 1, v77
	s_waitcnt lgkmcnt(0)
	v_cmp_lt_i32_e64 s[16:17], v79, v78
	v_cndmask_b32_e64 v76, v76, v77, s[16:17]
	v_cndmask_b32_e64 v75, v80, v75, s[16:17]
	v_cmp_ge_i32_e64 s[16:17], v75, v76
	s_or_b64 s[20:21], s[16:17], s[20:21]
	s_andn2_b64 exec, exec, s[20:21]
	s_cbranch_execnz .LBB37_132
; %bb.133:                              ;   in Loop: Header=BB37_2 Depth=1
	s_or_b64 exec, exec, s[20:21]
.LBB37_134:                             ;   in Loop: Header=BB37_2 Depth=1
	s_or_b64 exec, exec, s[18:19]
	v_sub_u32_e32 v78, v44, v75
	v_lshlrev_b32_e32 v79, 2, v75
	v_lshlrev_b32_e32 v81, 2, v78
	ds_read_b32 v77, v79
	ds_read_b32 v80, v81
	v_cmp_le_i32_e64 s[18:19], v41, v75
	v_cmp_gt_i32_e64 s[16:17], s33, v78
                                        ; implicit-def: $vgpr76
	s_waitcnt lgkmcnt(0)
	v_cmp_lt_i32_e64 s[20:21], v80, v77
	s_or_b64 s[18:19], s[18:19], s[20:21]
	s_and_b64 s[16:17], s[16:17], s[18:19]
	s_xor_b64 s[18:19], s[16:17], -1
	s_and_saveexec_b64 s[20:21], s[18:19]
	s_xor_b64 s[18:19], exec, s[20:21]
; %bb.135:                              ;   in Loop: Header=BB37_2 Depth=1
	ds_read_b32 v76, v79 offset:4
                                        ; implicit-def: $vgpr81
; %bb.136:                              ;   in Loop: Header=BB37_2 Depth=1
	s_or_saveexec_b64 s[18:19], s[18:19]
	v_mov_b32_e32 v79, v80
	s_xor_b64 exec, exec, s[18:19]
	s_cbranch_execz .LBB37_138
; %bb.137:                              ;   in Loop: Header=BB37_2 Depth=1
	ds_read_b32 v79, v81 offset:4
	s_waitcnt lgkmcnt(1)
	v_mov_b32_e32 v76, v77
.LBB37_138:                             ;   in Loop: Header=BB37_2 Depth=1
	s_or_b64 exec, exec, s[18:19]
	v_add_u32_e32 v82, 1, v75
	v_add_u32_e32 v81, 1, v78
	v_cndmask_b32_e64 v84, v82, v75, s[16:17]
	v_cndmask_b32_e64 v83, v78, v81, s[16:17]
	v_cmp_ge_i32_e64 s[20:21], v84, v41
	s_waitcnt lgkmcnt(0)
	v_cmp_lt_i32_e64 s[22:23], v79, v76
	v_cmp_gt_i32_e64 s[18:19], s33, v83
	s_or_b64 s[20:21], s[20:21], s[22:23]
	s_and_b64 s[18:19], s[18:19], s[20:21]
	s_xor_b64 s[20:21], s[18:19], -1
                                        ; implicit-def: $vgpr81
	s_and_saveexec_b64 s[22:23], s[20:21]
	s_xor_b64 s[20:21], exec, s[22:23]
; %bb.139:                              ;   in Loop: Header=BB37_2 Depth=1
	v_lshlrev_b32_e32 v81, 2, v84
	ds_read_b32 v81, v81 offset:4
; %bb.140:                              ;   in Loop: Header=BB37_2 Depth=1
	s_or_saveexec_b64 s[20:21], s[20:21]
	v_mov_b32_e32 v82, v79
	s_xor_b64 exec, exec, s[20:21]
	s_cbranch_execz .LBB37_142
; %bb.141:                              ;   in Loop: Header=BB37_2 Depth=1
	s_waitcnt lgkmcnt(0)
	v_lshlrev_b32_e32 v81, 2, v83
	ds_read_b32 v82, v81 offset:4
	v_mov_b32_e32 v81, v76
.LBB37_142:                             ;   in Loop: Header=BB37_2 Depth=1
	s_or_b64 exec, exec, s[20:21]
	v_add_u32_e32 v86, 1, v84
	v_add_u32_e32 v85, 1, v83
	v_cndmask_b32_e64 v89, v86, v84, s[18:19]
	v_cndmask_b32_e64 v85, v83, v85, s[18:19]
	v_cmp_ge_i32_e64 s[22:23], v89, v41
	s_waitcnt lgkmcnt(0)
	v_cmp_lt_i32_e64 s[24:25], v82, v81
	v_cmp_gt_i32_e64 s[20:21], s33, v85
	s_or_b64 s[22:23], s[22:23], s[24:25]
	s_and_b64 s[20:21], s[20:21], s[22:23]
	s_xor_b64 s[22:23], s[20:21], -1
                                        ; implicit-def: $vgpr88
                                        ; implicit-def: $vgpr87
	s_and_saveexec_b64 s[24:25], s[22:23]
	s_xor_b64 s[22:23], exec, s[24:25]
; %bb.143:                              ;   in Loop: Header=BB37_2 Depth=1
	v_lshlrev_b32_e32 v86, 2, v89
	ds_read_b32 v88, v86 offset:4
	v_add_u32_e32 v87, 1, v89
; %bb.144:                              ;   in Loop: Header=BB37_2 Depth=1
	s_or_saveexec_b64 s[22:23], s[22:23]
	v_mov_b32_e32 v86, v89
	v_mov_b32_e32 v90, v82
	s_xor_b64 exec, exec, s[22:23]
	s_cbranch_execz .LBB37_1
; %bb.145:                              ;   in Loop: Header=BB37_2 Depth=1
	v_lshlrev_b32_e32 v86, 2, v85
	ds_read_b32 v90, v86 offset:4
	s_waitcnt lgkmcnt(1)
	v_add_u32_e32 v88, 1, v85
	v_mov_b32_e32 v86, v85
	v_mov_b32_e32 v87, v89
	;; [unrolled: 1-line block ×4, first 2 shown]
	s_branch .LBB37_1
.LBB37_146:
	s_add_u32 s0, s42, s44
	s_addc_u32 s1, s43, s45
	v_lshlrev_b32_e32 v0, 2, v0
	v_mov_b32_e32 v5, s1
	v_add_co_u32_e32 v6, vcc, s0, v0
	s_waitcnt lgkmcnt(3)
	v_add_u32_e32 v1, v77, v71
	v_addc_co_u32_e32 v5, vcc, 0, v5, vcc
	s_waitcnt lgkmcnt(2)
	v_add_u32_e32 v2, v78, v73
	global_store_dword v0, v1, s[0:1]
	global_store_dword v0, v2, s[0:1] offset:2048
	v_add_co_u32_e32 v0, vcc, 0x1000, v6
	s_waitcnt lgkmcnt(1)
	v_add_u32_e32 v3, v76, v72
	v_addc_co_u32_e32 v1, vcc, 0, v5, vcc
	s_waitcnt lgkmcnt(0)
	v_add_u32_e32 v4, v75, v74
	global_store_dword v[0:1], v3, off
	global_store_dword v[0:1], v4, off offset:2048
	s_endpgm
	.section	.rodata,"a",@progbits
	.p2align	6, 0x0
	.amdhsa_kernel _Z17sort_pairs_kernelIiLj512ELj4EN10test_utils4lessELj10EEvPKT_PS2_T2_
		.amdhsa_group_segment_fixed_size 8196
		.amdhsa_private_segment_fixed_size 0
		.amdhsa_kernarg_size 20
		.amdhsa_user_sgpr_count 6
		.amdhsa_user_sgpr_private_segment_buffer 1
		.amdhsa_user_sgpr_dispatch_ptr 0
		.amdhsa_user_sgpr_queue_ptr 0
		.amdhsa_user_sgpr_kernarg_segment_ptr 1
		.amdhsa_user_sgpr_dispatch_id 0
		.amdhsa_user_sgpr_flat_scratch_init 0
		.amdhsa_user_sgpr_private_segment_size 0
		.amdhsa_uses_dynamic_stack 0
		.amdhsa_system_sgpr_private_segment_wavefront_offset 0
		.amdhsa_system_sgpr_workgroup_id_x 1
		.amdhsa_system_sgpr_workgroup_id_y 0
		.amdhsa_system_sgpr_workgroup_id_z 0
		.amdhsa_system_sgpr_workgroup_info 0
		.amdhsa_system_vgpr_workitem_id 0
		.amdhsa_next_free_vgpr 91
		.amdhsa_next_free_sgpr 48
		.amdhsa_reserve_vcc 1
		.amdhsa_reserve_flat_scratch 0
		.amdhsa_float_round_mode_32 0
		.amdhsa_float_round_mode_16_64 0
		.amdhsa_float_denorm_mode_32 3
		.amdhsa_float_denorm_mode_16_64 3
		.amdhsa_dx10_clamp 1
		.amdhsa_ieee_mode 1
		.amdhsa_fp16_overflow 0
		.amdhsa_exception_fp_ieee_invalid_op 0
		.amdhsa_exception_fp_denorm_src 0
		.amdhsa_exception_fp_ieee_div_zero 0
		.amdhsa_exception_fp_ieee_overflow 0
		.amdhsa_exception_fp_ieee_underflow 0
		.amdhsa_exception_fp_ieee_inexact 0
		.amdhsa_exception_int_div_zero 0
	.end_amdhsa_kernel
	.section	.text._Z17sort_pairs_kernelIiLj512ELj4EN10test_utils4lessELj10EEvPKT_PS2_T2_,"axG",@progbits,_Z17sort_pairs_kernelIiLj512ELj4EN10test_utils4lessELj10EEvPKT_PS2_T2_,comdat
.Lfunc_end37:
	.size	_Z17sort_pairs_kernelIiLj512ELj4EN10test_utils4lessELj10EEvPKT_PS2_T2_, .Lfunc_end37-_Z17sort_pairs_kernelIiLj512ELj4EN10test_utils4lessELj10EEvPKT_PS2_T2_
                                        ; -- End function
	.set _Z17sort_pairs_kernelIiLj512ELj4EN10test_utils4lessELj10EEvPKT_PS2_T2_.num_vgpr, 91
	.set _Z17sort_pairs_kernelIiLj512ELj4EN10test_utils4lessELj10EEvPKT_PS2_T2_.num_agpr, 0
	.set _Z17sort_pairs_kernelIiLj512ELj4EN10test_utils4lessELj10EEvPKT_PS2_T2_.numbered_sgpr, 48
	.set _Z17sort_pairs_kernelIiLj512ELj4EN10test_utils4lessELj10EEvPKT_PS2_T2_.num_named_barrier, 0
	.set _Z17sort_pairs_kernelIiLj512ELj4EN10test_utils4lessELj10EEvPKT_PS2_T2_.private_seg_size, 0
	.set _Z17sort_pairs_kernelIiLj512ELj4EN10test_utils4lessELj10EEvPKT_PS2_T2_.uses_vcc, 1
	.set _Z17sort_pairs_kernelIiLj512ELj4EN10test_utils4lessELj10EEvPKT_PS2_T2_.uses_flat_scratch, 0
	.set _Z17sort_pairs_kernelIiLj512ELj4EN10test_utils4lessELj10EEvPKT_PS2_T2_.has_dyn_sized_stack, 0
	.set _Z17sort_pairs_kernelIiLj512ELj4EN10test_utils4lessELj10EEvPKT_PS2_T2_.has_recursion, 0
	.set _Z17sort_pairs_kernelIiLj512ELj4EN10test_utils4lessELj10EEvPKT_PS2_T2_.has_indirect_call, 0
	.section	.AMDGPU.csdata,"",@progbits
; Kernel info:
; codeLenInByte = 7860
; TotalNumSgprs: 52
; NumVgprs: 91
; ScratchSize: 0
; MemoryBound: 0
; FloatMode: 240
; IeeeMode: 1
; LDSByteSize: 8196 bytes/workgroup (compile time only)
; SGPRBlocks: 6
; VGPRBlocks: 22
; NumSGPRsForWavesPerEU: 52
; NumVGPRsForWavesPerEU: 91
; Occupancy: 2
; WaveLimiterHint : 1
; COMPUTE_PGM_RSRC2:SCRATCH_EN: 0
; COMPUTE_PGM_RSRC2:USER_SGPR: 6
; COMPUTE_PGM_RSRC2:TRAP_HANDLER: 0
; COMPUTE_PGM_RSRC2:TGID_X_EN: 1
; COMPUTE_PGM_RSRC2:TGID_Y_EN: 0
; COMPUTE_PGM_RSRC2:TGID_Z_EN: 0
; COMPUTE_PGM_RSRC2:TIDIG_COMP_CNT: 0
	.section	.text._Z16sort_keys_kernelIiLj512ELj8EN10test_utils4lessELj10EEvPKT_PS2_T2_,"axG",@progbits,_Z16sort_keys_kernelIiLj512ELj8EN10test_utils4lessELj10EEvPKT_PS2_T2_,comdat
	.protected	_Z16sort_keys_kernelIiLj512ELj8EN10test_utils4lessELj10EEvPKT_PS2_T2_ ; -- Begin function _Z16sort_keys_kernelIiLj512ELj8EN10test_utils4lessELj10EEvPKT_PS2_T2_
	.globl	_Z16sort_keys_kernelIiLj512ELj8EN10test_utils4lessELj10EEvPKT_PS2_T2_
	.p2align	8
	.type	_Z16sort_keys_kernelIiLj512ELj8EN10test_utils4lessELj10EEvPKT_PS2_T2_,@function
_Z16sort_keys_kernelIiLj512ELj8EN10test_utils4lessELj10EEvPKT_PS2_T2_: ; @_Z16sort_keys_kernelIiLj512ELj8EN10test_utils4lessELj10EEvPKT_PS2_T2_
; %bb.0:
	s_load_dwordx4 s[36:39], s[4:5], 0x0
	s_lshl_b32 s40, s6, 12
	s_mov_b32 s41, 0
	s_lshl_b64 s[42:43], s[40:41], 2
	v_lshlrev_b32_e32 v31, 2, v0
	s_waitcnt lgkmcnt(0)
	s_add_u32 s0, s36, s42
	s_addc_u32 s1, s37, s43
	v_mov_b32_e32 v1, s1
	v_add_co_u32_e32 v2, vcc, s0, v31
	v_addc_co_u32_e32 v1, vcc, 0, v1, vcc
	s_movk_i32 s33, 0x1000
	v_add_co_u32_e32 v25, vcc, s33, v2
	v_addc_co_u32_e32 v26, vcc, 0, v1, vcc
	s_movk_i32 s2, 0x2000
	;; [unrolled: 3-line block ×3, first 2 shown]
	v_add_co_u32_e32 v29, vcc, s2, v2
	v_addc_co_u32_e32 v30, vcc, 0, v1, vcc
	global_load_dword v75, v[25:26], off offset:2048
	global_load_dword v76, v[27:28], off offset:-4096
	global_load_dword v72, v[27:28], off
	global_load_dword v74, v[27:28], off offset:2048
	global_load_dword v71, v[29:30], off
	global_load_dword v73, v[29:30], off offset:2048
	global_load_dword v81, v31, s[0:1]
                                        ; kill: killed $vgpr25 killed $vgpr26
                                        ; kill: killed $vgpr27 killed $vgpr28
                                        ; kill: killed $vgpr29 killed $vgpr30
	global_load_dword v82, v31, s[0:1] offset:2048
	v_lshlrev_b32_e32 v44, 3, v0
	v_and_b32_e32 v1, 0xff0, v44
	v_and_b32_e32 v13, 0xf00, v44
	v_or_b32_e32 v2, 8, v1
	v_add_u32_e32 v3, 16, v1
	v_and_b32_e32 v4, 0xfe0, v44
	v_and_b32_e32 v7, 0xfc0, v44
	;; [unrolled: 1-line block ×3, first 2 shown]
	v_or_b32_e32 v14, 0x80, v13
	v_add_u32_e32 v15, 0x100, v13
	v_and_b32_e32 v16, 0xe00, v44
	v_and_b32_e32 v19, 0xc00, v44
	;; [unrolled: 1-line block ×4, first 2 shown]
	v_sub_u32_e32 v32, v3, v2
	v_or_b32_e32 v5, 16, v4
	v_add_u32_e32 v6, 32, v4
	v_or_b32_e32 v8, 32, v7
	v_add_u32_e32 v9, 64, v7
	;; [unrolled: 2-line block ×3, first 2 shown]
	v_and_b32_e32 v54, 0xf8, v44
	v_sub_u32_e32 v40, v15, v14
	v_or_b32_e32 v17, 0x100, v16
	v_add_u32_e32 v18, 0x200, v16
	v_or_b32_e32 v20, 0x200, v19
	v_add_u32_e32 v21, 0x400, v19
	;; [unrolled: 2-line block ×3, first 2 shown]
	v_sub_u32_e32 v33, v46, v32
	v_and_b32_e32 v48, 24, v44
	v_sub_u32_e32 v34, v6, v5
	v_and_b32_e32 v50, 56, v44
	v_sub_u32_e32 v36, v9, v8
	v_and_b32_e32 v52, 0x78, v44
	v_sub_u32_e32 v38, v12, v11
	v_sub_u32_e32 v41, v54, v40
	v_and_b32_e32 v56, 0x1f8, v44
	v_sub_u32_e32 v42, v18, v17
	v_and_b32_e32 v58, 0x3f8, v44
	;; [unrolled: 2-line block ×3, first 2 shown]
	v_sub_u32_e32 v49, v24, v23
	v_cmp_ge_i32_e32 vcc, v46, v32
	v_cmp_ge_i32_e64 s[6:7], v54, v40
	v_sub_u32_e32 v35, v48, v34
	v_sub_u32_e32 v37, v50, v36
	;; [unrolled: 1-line block ×6, first 2 shown]
	v_cndmask_b32_e32 v25, 0, v33, vcc
	v_sub_u32_e32 v26, v2, v1
	v_cmp_ge_i32_e64 s[0:1], v48, v34
	v_sub_u32_e32 v28, v5, v4
	v_cmp_ge_i32_e64 s[2:3], v50, v36
	;; [unrolled: 2-line block ×3, first 2 shown]
	v_sub_u32_e32 v32, v11, v10
	v_cndmask_b32_e64 v33, 0, v41, s[6:7]
	v_sub_u32_e32 v34, v14, v13
	v_cmp_ge_i32_e64 s[8:9], v56, v42
	v_sub_u32_e32 v36, v17, v16
	v_cmp_ge_i32_e64 s[10:11], v58, v45
	;; [unrolled: 2-line block ×3, first 2 shown]
	v_sub_u32_e32 v40, v23, v22
	v_mov_b32_e32 v41, 0x800
	v_min_i32_e32 v26, v46, v26
	v_cndmask_b32_e64 v27, 0, v35, s[0:1]
	v_min_i32_e32 v28, v48, v28
	v_cndmask_b32_e64 v29, 0, v37, s[2:3]
	v_min_i32_e32 v30, v50, v30
	v_cndmask_b32_e64 v31, 0, v39, s[4:5]
	v_min_i32_e32 v32, v52, v32
	v_min_i32_e32 v34, v54, v34
	v_cndmask_b32_e64 v35, 0, v43, s[8:9]
	v_min_i32_e32 v36, v56, v36
	v_cndmask_b32_e64 v37, 0, v47, s[10:11]
	;; [unrolled: 2-line block ×3, first 2 shown]
	v_min_i32_e32 v40, v60, v40
	v_sub_u32_e64 v42, v44, v41 clamp
	v_min_i32_e32 v43, 0x800, v44
	v_add_u32_e32 v45, v2, v46
	v_lshlrev_b32_e32 v46, 2, v46
	v_add_u32_e32 v47, v5, v48
	v_lshlrev_b32_e32 v48, 2, v48
	;; [unrolled: 2-line block ×8, first 2 shown]
	v_lshlrev_b32_e32 v61, 5, v0
	v_cmp_lt_i32_e32 vcc, v25, v26
	v_cmp_lt_i32_e64 s[0:1], v27, v28
	v_cmp_lt_i32_e64 s[2:3], v29, v30
	;; [unrolled: 1-line block ×8, first 2 shown]
	v_add_u32_e32 v44, 0x800, v44
	v_lshl_add_u32 v46, v2, 2, v46
	v_lshl_add_u32 v48, v5, 2, v48
	;; [unrolled: 1-line block ×8, first 2 shown]
	v_lshlrev_b32_e32 v62, 2, v1
	v_lshlrev_b32_e32 v63, 2, v4
	;; [unrolled: 1-line block ×8, first 2 shown]
	v_add_u32_e32 v70, 0x2000, v61
	s_branch .LBB38_2
.LBB38_1:                               ;   in Loop: Header=BB38_2 Depth=1
	s_or_b64 exec, exec, s[30:31]
	v_cndmask_b32_e64 v82, v73, v74, s[18:19]
	v_cndmask_b32_e64 v76, v75, v76, s[20:21]
	v_cmp_ge_i32_e64 s[18:19], v89, v41
	s_waitcnt lgkmcnt(0)
	v_cmp_lt_i32_e64 s[20:21], v90, v88
	v_cndmask_b32_e64 v81, v71, v72, s[16:17]
	v_cmp_gt_i32_e64 s[16:17], s33, v87
	s_or_b64 s[18:19], s[18:19], s[20:21]
	s_and_b64 s[16:17], s[16:17], s[18:19]
	s_add_i32 s41, s41, 1
	v_cndmask_b32_e64 v75, v77, v78, s[22:23]
	v_cndmask_b32_e64 v72, v79, v80, s[24:25]
	;; [unrolled: 1-line block ×4, first 2 shown]
	s_cmp_eq_u32 s41, 10
	v_cndmask_b32_e64 v73, v88, v90, s[16:17]
	s_cbranch_scc1 .LBB38_290
.LBB38_2:                               ; =>This Loop Header: Depth=1
                                        ;     Child Loop BB38_4 Depth 2
                                        ;     Child Loop BB38_36 Depth 2
	;; [unrolled: 1-line block ×9, first 2 shown]
	s_waitcnt vmcnt(0)
	v_cmp_lt_i32_e64 s[16:17], v82, v81
	v_cndmask_b32_e64 v77, v81, v82, s[16:17]
	v_cndmask_b32_e64 v78, v82, v81, s[16:17]
	v_cmp_lt_i32_e64 s[16:17], v75, v76
	v_min_i32_e32 v79, v82, v81
	v_max_i32_e32 v80, v82, v81
	v_cndmask_b32_e64 v81, v75, v76, s[16:17]
	v_cndmask_b32_e64 v82, v76, v75, s[16:17]
	v_cmp_lt_i32_e64 s[16:17], v74, v72
	v_max_i32_e32 v83, v75, v76
	v_min_i32_e32 v75, v75, v76
	v_cndmask_b32_e64 v76, v74, v72, s[16:17]
	v_cndmask_b32_e64 v84, v72, v74, s[16:17]
	v_cmp_lt_i32_e64 s[16:17], v73, v71
	v_max_i32_e32 v85, v74, v72
	v_min_i32_e32 v72, v74, v72
	;; [unrolled: 5-line block ×3, first 2 shown]
	v_cndmask_b32_e64 v73, v82, v80, s[16:17]
	v_cndmask_b32_e64 v78, v78, v75, s[16:17]
	v_cmp_lt_i32_e64 s[16:17], v72, v83
	v_cndmask_b32_e64 v84, v84, v83, s[16:17]
	v_cndmask_b32_e64 v81, v81, v72, s[16:17]
	v_cmp_lt_i32_e64 s[16:17], v71, v85
	v_max_i32_e32 v82, v75, v80
	v_min_i32_e32 v80, v75, v80
	v_max_i32_e32 v88, v72, v83
	v_min_i32_e32 v72, v72, v83
	v_cndmask_b32_e64 v83, v86, v85, s[16:17]
	v_cndmask_b32_e64 v76, v76, v71, s[16:17]
	v_cmp_lt_i32_e64 s[16:17], v75, v79
	v_max_i32_e32 v86, v71, v85
	v_min_i32_e32 v71, v71, v85
	v_cndmask_b32_e64 v75, v77, v80, s[16:17]
	v_cndmask_b32_e64 v77, v78, v79, s[16:17]
	;; [unrolled: 1-line block ×4, first 2 shown]
	v_cmp_lt_i32_e64 s[16:17], v72, v82
	v_cndmask_b32_e64 v80, v81, v82, s[16:17]
	v_cndmask_b32_e64 v73, v73, v72, s[16:17]
	v_cmp_lt_i32_e64 s[16:17], v71, v88
	v_max_i32_e32 v81, v72, v82
	v_min_i32_e32 v72, v72, v82
	v_cndmask_b32_e64 v76, v76, v88, s[16:17]
	v_cndmask_b32_e64 v82, v84, v71, s[16:17]
	v_cmp_gt_i32_e64 s[16:17], v85, v87
	v_max_i32_e32 v84, v71, v88
	v_min_i32_e32 v71, v71, v88
	v_cndmask_b32_e64 v74, v74, v86, s[16:17]
	v_cndmask_b32_e64 v83, v83, v87, s[16:17]
	;; [unrolled: 1-line block ×4, first 2 shown]
	v_cmp_lt_i32_e64 s[16:17], v72, v79
	v_cndmask_b32_e64 v73, v73, v79, s[16:17]
	v_cndmask_b32_e64 v77, v77, v72, s[16:17]
	v_cmp_lt_i32_e64 s[16:17], v71, v81
	v_max_i32_e32 v87, v72, v79
	v_min_i32_e32 v72, v72, v79
	v_cndmask_b32_e64 v79, v82, v81, s[16:17]
	v_cndmask_b32_e64 v80, v80, v71, s[16:17]
	v_cmp_lt_i32_e64 s[16:17], v86, v84
	v_max_i32_e32 v82, v71, v81
	v_min_i32_e32 v71, v71, v81
	;; [unrolled: 5-line block ×3, first 2 shown]
	v_cndmask_b32_e64 v75, v75, v72, s[16:17]
	v_cndmask_b32_e64 v77, v77, v78, s[16:17]
	v_cmp_lt_i32_e64 s[16:17], v71, v87
	v_min_i32_e32 v86, v72, v78
	v_max_i32_e32 v72, v72, v78
	v_cndmask_b32_e64 v78, v80, v87, s[16:17]
	v_cndmask_b32_e64 v73, v73, v71, s[16:17]
	v_cmp_lt_i32_e64 s[16:17], v84, v82
	v_max_i32_e32 v80, v71, v87
	v_min_i32_e32 v71, v71, v87
	v_cndmask_b32_e64 v76, v76, v82, s[16:17]
	v_cndmask_b32_e64 v79, v79, v84, s[16:17]
	v_cmp_lt_i32_e64 s[16:17], v85, v83
	v_max_i32_e32 v87, v84, v82
	v_min_i32_e32 v82, v84, v82
	;; [unrolled: 5-line block ×3, first 2 shown]
	v_cndmask_b32_e64 v77, v77, v71, s[16:17]
	v_cndmask_b32_e64 v73, v73, v72, s[16:17]
	v_cmp_lt_i32_e64 s[16:17], v82, v80
	v_cndmask_b32_e64 v79, v79, v80, s[16:17]
	v_cndmask_b32_e64 v78, v78, v82, s[16:17]
	v_cmp_lt_i32_e64 s[16:17], v83, v87
	v_max_i32_e32 v85, v71, v72
	v_min_i32_e32 v72, v71, v72
	v_max_i32_e32 v88, v82, v80
	v_min_i32_e32 v80, v82, v80
	v_cndmask_b32_e64 v81, v81, v87, s[16:17]
	v_cndmask_b32_e64 v76, v76, v83, s[16:17]
	v_cmp_lt_i32_e64 s[16:17], v71, v86
	v_max_i32_e32 v82, v83, v87
	v_min_i32_e32 v83, v83, v87
	v_cndmask_b32_e64 v71, v75, v72, s[16:17]
	v_cndmask_b32_e64 v75, v77, v86, s[16:17]
	;; [unrolled: 1-line block ×3, first 2 shown]
	v_cmp_lt_i32_e64 s[16:17], v80, v85
	v_cndmask_b32_e64 v73, v73, v80, s[16:17]
	v_cndmask_b32_e64 v77, v78, v85, s[16:17]
	v_cmp_lt_i32_e64 s[16:17], v83, v88
	v_max_i32_e32 v78, v80, v85
	v_min_i32_e32 v80, v80, v85
	v_cndmask_b32_e64 v76, v76, v88, s[16:17]
	v_cndmask_b32_e64 v79, v79, v83, s[16:17]
	v_cmp_gt_i32_e64 s[16:17], v87, v84
	v_max_i32_e32 v85, v83, v88
	v_min_i32_e32 v83, v83, v88
	v_cndmask_b32_e64 v74, v74, v82, s[16:17]
	v_cndmask_b32_e64 v81, v81, v84, s[16:17]
	;; [unrolled: 1-line block ×3, first 2 shown]
	v_cmp_lt_i32_e64 s[16:17], v80, v72
	v_cndmask_b32_e64 v72, v73, v72, s[16:17]
	v_cndmask_b32_e64 v73, v75, v80, s[16:17]
	v_cmp_lt_i32_e64 s[16:17], v83, v78
	v_cndmask_b32_e64 v75, v79, v78, s[16:17]
	v_cndmask_b32_e64 v77, v77, v83, s[16:17]
	;; [unrolled: 3-line block ×3, first 2 shown]
	s_barrier
	ds_write2_b32 v61, v71, v73 offset1:1
	ds_write2_b32 v61, v72, v77 offset0:2 offset1:3
	ds_write2_b32 v61, v75, v76 offset0:4 offset1:5
	;; [unrolled: 1-line block ×3, first 2 shown]
	v_mov_b32_e32 v73, v25
	s_waitcnt lgkmcnt(0)
	s_barrier
	s_and_saveexec_b64 s[18:19], vcc
	s_cbranch_execz .LBB38_6
; %bb.3:                                ;   in Loop: Header=BB38_2 Depth=1
	s_mov_b64 s[20:21], 0
	v_mov_b32_e32 v73, v25
	v_mov_b32_e32 v71, v26
.LBB38_4:                               ;   Parent Loop BB38_2 Depth=1
                                        ; =>  This Inner Loop Header: Depth=2
	v_sub_u32_e32 v72, v71, v73
	v_lshrrev_b32_e32 v72, 1, v72
	v_add_u32_e32 v72, v72, v73
	v_not_b32_e32 v75, v72
	v_lshl_add_u32 v74, v72, 2, v62
	v_lshl_add_u32 v75, v75, 2, v46
	ds_read_b32 v74, v74
	ds_read_b32 v75, v75
	v_add_u32_e32 v76, 1, v72
	s_waitcnt lgkmcnt(0)
	v_cmp_lt_i32_e64 s[16:17], v75, v74
	v_cndmask_b32_e64 v71, v71, v72, s[16:17]
	v_cndmask_b32_e64 v73, v76, v73, s[16:17]
	v_cmp_ge_i32_e64 s[16:17], v73, v71
	s_or_b64 s[20:21], s[16:17], s[20:21]
	s_andn2_b64 exec, exec, s[20:21]
	s_cbranch_execnz .LBB38_4
; %bb.5:                                ;   in Loop: Header=BB38_2 Depth=1
	s_or_b64 exec, exec, s[20:21]
.LBB38_6:                               ;   in Loop: Header=BB38_2 Depth=1
	s_or_b64 exec, exec, s[18:19]
	v_sub_u32_e32 v75, v45, v73
	v_lshl_add_u32 v74, v73, 2, v62
	v_lshlrev_b32_e32 v77, 2, v75
	ds_read_b32 v71, v74
	ds_read_b32 v72, v77
	v_add_u32_e32 v76, v73, v1
	v_cmp_le_i32_e64 s[18:19], v2, v76
	v_cmp_gt_i32_e64 s[16:17], v3, v75
                                        ; implicit-def: $vgpr73
	s_waitcnt lgkmcnt(0)
	v_cmp_lt_i32_e64 s[20:21], v72, v71
	s_or_b64 s[18:19], s[18:19], s[20:21]
	s_and_b64 s[16:17], s[16:17], s[18:19]
	s_xor_b64 s[18:19], s[16:17], -1
	s_and_saveexec_b64 s[20:21], s[18:19]
	s_xor_b64 s[18:19], exec, s[20:21]
; %bb.7:                                ;   in Loop: Header=BB38_2 Depth=1
	ds_read_b32 v73, v74 offset:4
                                        ; implicit-def: $vgpr77
; %bb.8:                                ;   in Loop: Header=BB38_2 Depth=1
	s_or_saveexec_b64 s[18:19], s[18:19]
	v_mov_b32_e32 v74, v72
	s_xor_b64 exec, exec, s[18:19]
	s_cbranch_execz .LBB38_10
; %bb.9:                                ;   in Loop: Header=BB38_2 Depth=1
	ds_read_b32 v74, v77 offset:4
	s_waitcnt lgkmcnt(1)
	v_mov_b32_e32 v73, v71
.LBB38_10:                              ;   in Loop: Header=BB38_2 Depth=1
	s_or_b64 exec, exec, s[18:19]
	v_add_u32_e32 v78, 1, v76
	v_add_u32_e32 v77, 1, v75
	v_cndmask_b32_e64 v78, v78, v76, s[16:17]
	v_cndmask_b32_e64 v77, v75, v77, s[16:17]
	v_cmp_ge_i32_e64 s[20:21], v78, v2
	s_waitcnt lgkmcnt(0)
	v_cmp_lt_i32_e64 s[22:23], v74, v73
	v_cmp_lt_i32_e64 s[18:19], v77, v3
	s_or_b64 s[20:21], s[20:21], s[22:23]
	s_and_b64 s[18:19], s[18:19], s[20:21]
	s_xor_b64 s[20:21], s[18:19], -1
                                        ; implicit-def: $vgpr75
	s_and_saveexec_b64 s[22:23], s[20:21]
	s_xor_b64 s[20:21], exec, s[22:23]
; %bb.11:                               ;   in Loop: Header=BB38_2 Depth=1
	v_lshlrev_b32_e32 v75, 2, v78
	ds_read_b32 v75, v75 offset:4
; %bb.12:                               ;   in Loop: Header=BB38_2 Depth=1
	s_or_saveexec_b64 s[20:21], s[20:21]
	v_mov_b32_e32 v76, v74
	s_xor_b64 exec, exec, s[20:21]
	s_cbranch_execz .LBB38_14
; %bb.13:                               ;   in Loop: Header=BB38_2 Depth=1
	s_waitcnt lgkmcnt(0)
	v_lshlrev_b32_e32 v75, 2, v77
	ds_read_b32 v76, v75 offset:4
	v_mov_b32_e32 v75, v73
.LBB38_14:                              ;   in Loop: Header=BB38_2 Depth=1
	s_or_b64 exec, exec, s[20:21]
	v_add_u32_e32 v80, 1, v78
	v_add_u32_e32 v79, 1, v77
	v_cndmask_b32_e64 v80, v80, v78, s[18:19]
	v_cndmask_b32_e64 v79, v77, v79, s[18:19]
	v_cmp_ge_i32_e64 s[22:23], v80, v2
	s_waitcnt lgkmcnt(0)
	v_cmp_lt_i32_e64 s[24:25], v76, v75
	v_cmp_lt_i32_e64 s[20:21], v79, v3
	s_or_b64 s[22:23], s[22:23], s[24:25]
	s_and_b64 s[20:21], s[20:21], s[22:23]
	s_xor_b64 s[22:23], s[20:21], -1
                                        ; implicit-def: $vgpr77
	s_and_saveexec_b64 s[24:25], s[22:23]
	s_xor_b64 s[22:23], exec, s[24:25]
; %bb.15:                               ;   in Loop: Header=BB38_2 Depth=1
	v_lshlrev_b32_e32 v77, 2, v80
	ds_read_b32 v77, v77 offset:4
; %bb.16:                               ;   in Loop: Header=BB38_2 Depth=1
	s_or_saveexec_b64 s[22:23], s[22:23]
	v_mov_b32_e32 v78, v76
	s_xor_b64 exec, exec, s[22:23]
	s_cbranch_execz .LBB38_18
; %bb.17:                               ;   in Loop: Header=BB38_2 Depth=1
	s_waitcnt lgkmcnt(0)
	v_lshlrev_b32_e32 v77, 2, v79
	ds_read_b32 v78, v77 offset:4
	v_mov_b32_e32 v77, v75
.LBB38_18:                              ;   in Loop: Header=BB38_2 Depth=1
	s_or_b64 exec, exec, s[22:23]
	v_add_u32_e32 v82, 1, v80
	v_add_u32_e32 v81, 1, v79
	v_cndmask_b32_e64 v82, v82, v80, s[20:21]
	v_cndmask_b32_e64 v81, v79, v81, s[20:21]
	v_cmp_ge_i32_e64 s[24:25], v82, v2
	s_waitcnt lgkmcnt(0)
	v_cmp_lt_i32_e64 s[26:27], v78, v77
	v_cmp_lt_i32_e64 s[22:23], v81, v3
	s_or_b64 s[24:25], s[24:25], s[26:27]
	s_and_b64 s[22:23], s[22:23], s[24:25]
	s_xor_b64 s[24:25], s[22:23], -1
                                        ; implicit-def: $vgpr79
	s_and_saveexec_b64 s[26:27], s[24:25]
	s_xor_b64 s[24:25], exec, s[26:27]
; %bb.19:                               ;   in Loop: Header=BB38_2 Depth=1
	v_lshlrev_b32_e32 v79, 2, v82
	ds_read_b32 v79, v79 offset:4
; %bb.20:                               ;   in Loop: Header=BB38_2 Depth=1
	s_or_saveexec_b64 s[24:25], s[24:25]
	v_mov_b32_e32 v80, v78
	s_xor_b64 exec, exec, s[24:25]
	s_cbranch_execz .LBB38_22
; %bb.21:                               ;   in Loop: Header=BB38_2 Depth=1
	s_waitcnt lgkmcnt(0)
	v_lshlrev_b32_e32 v79, 2, v81
	ds_read_b32 v80, v79 offset:4
	v_mov_b32_e32 v79, v77
.LBB38_22:                              ;   in Loop: Header=BB38_2 Depth=1
	s_or_b64 exec, exec, s[24:25]
	v_add_u32_e32 v84, 1, v82
	v_add_u32_e32 v83, 1, v81
	v_cndmask_b32_e64 v84, v84, v82, s[22:23]
	v_cndmask_b32_e64 v83, v81, v83, s[22:23]
	v_cmp_ge_i32_e64 s[26:27], v84, v2
	s_waitcnt lgkmcnt(0)
	v_cmp_lt_i32_e64 s[28:29], v80, v79
	v_cmp_lt_i32_e64 s[24:25], v83, v3
	s_or_b64 s[26:27], s[26:27], s[28:29]
	s_and_b64 s[24:25], s[24:25], s[26:27]
	s_xor_b64 s[26:27], s[24:25], -1
                                        ; implicit-def: $vgpr81
	s_and_saveexec_b64 s[28:29], s[26:27]
	s_xor_b64 s[26:27], exec, s[28:29]
; %bb.23:                               ;   in Loop: Header=BB38_2 Depth=1
	v_lshlrev_b32_e32 v81, 2, v84
	ds_read_b32 v81, v81 offset:4
; %bb.24:                               ;   in Loop: Header=BB38_2 Depth=1
	s_or_saveexec_b64 s[26:27], s[26:27]
	v_mov_b32_e32 v82, v80
	s_xor_b64 exec, exec, s[26:27]
	s_cbranch_execz .LBB38_26
; %bb.25:                               ;   in Loop: Header=BB38_2 Depth=1
	s_waitcnt lgkmcnt(0)
	v_lshlrev_b32_e32 v81, 2, v83
	ds_read_b32 v82, v81 offset:4
	v_mov_b32_e32 v81, v79
.LBB38_26:                              ;   in Loop: Header=BB38_2 Depth=1
	s_or_b64 exec, exec, s[26:27]
	v_add_u32_e32 v86, 1, v84
	v_add_u32_e32 v85, 1, v83
	v_cndmask_b32_e64 v86, v86, v84, s[24:25]
	v_cndmask_b32_e64 v85, v83, v85, s[24:25]
	v_cmp_ge_i32_e64 s[28:29], v86, v2
	s_waitcnt lgkmcnt(0)
	v_cmp_lt_i32_e64 s[30:31], v82, v81
	v_cmp_lt_i32_e64 s[26:27], v85, v3
	s_or_b64 s[28:29], s[28:29], s[30:31]
	s_and_b64 s[26:27], s[26:27], s[28:29]
	s_xor_b64 s[28:29], s[26:27], -1
                                        ; implicit-def: $vgpr83
	s_and_saveexec_b64 s[30:31], s[28:29]
	s_xor_b64 s[28:29], exec, s[30:31]
; %bb.27:                               ;   in Loop: Header=BB38_2 Depth=1
	v_lshlrev_b32_e32 v83, 2, v86
	ds_read_b32 v83, v83 offset:4
; %bb.28:                               ;   in Loop: Header=BB38_2 Depth=1
	s_or_saveexec_b64 s[28:29], s[28:29]
	v_mov_b32_e32 v84, v82
	s_xor_b64 exec, exec, s[28:29]
	s_cbranch_execz .LBB38_30
; %bb.29:                               ;   in Loop: Header=BB38_2 Depth=1
	s_waitcnt lgkmcnt(0)
	v_lshlrev_b32_e32 v83, 2, v85
	ds_read_b32 v84, v83 offset:4
	v_mov_b32_e32 v83, v81
.LBB38_30:                              ;   in Loop: Header=BB38_2 Depth=1
	s_or_b64 exec, exec, s[28:29]
	v_add_u32_e32 v88, 1, v86
	v_add_u32_e32 v87, 1, v85
	v_cndmask_b32_e64 v86, v88, v86, s[26:27]
	v_cndmask_b32_e64 v85, v85, v87, s[26:27]
	v_cmp_ge_i32_e64 s[30:31], v86, v2
	s_waitcnt lgkmcnt(0)
	v_cmp_lt_i32_e64 s[34:35], v84, v83
	v_cmp_lt_i32_e64 s[28:29], v85, v3
	s_or_b64 s[30:31], s[30:31], s[34:35]
	s_and_b64 s[28:29], s[28:29], s[30:31]
	s_xor_b64 s[30:31], s[28:29], -1
                                        ; implicit-def: $vgpr87
	s_and_saveexec_b64 s[34:35], s[30:31]
	s_xor_b64 s[30:31], exec, s[34:35]
; %bb.31:                               ;   in Loop: Header=BB38_2 Depth=1
	v_lshlrev_b32_e32 v87, 2, v86
	ds_read_b32 v87, v87 offset:4
; %bb.32:                               ;   in Loop: Header=BB38_2 Depth=1
	s_or_saveexec_b64 s[30:31], s[30:31]
	v_mov_b32_e32 v88, v84
	s_xor_b64 exec, exec, s[30:31]
	s_cbranch_execz .LBB38_34
; %bb.33:                               ;   in Loop: Header=BB38_2 Depth=1
	s_waitcnt lgkmcnt(0)
	v_lshlrev_b32_e32 v87, 2, v85
	ds_read_b32 v88, v87 offset:4
	v_mov_b32_e32 v87, v83
.LBB38_34:                              ;   in Loop: Header=BB38_2 Depth=1
	s_or_b64 exec, exec, s[30:31]
	v_cndmask_b32_e64 v83, v83, v84, s[28:29]
	v_add_u32_e32 v84, 1, v85
	v_add_u32_e32 v89, 1, v86
	v_cndmask_b32_e64 v84, v85, v84, s[28:29]
	v_cndmask_b32_e64 v85, v89, v86, s[28:29]
	;; [unrolled: 1-line block ×4, first 2 shown]
	v_cmp_ge_i32_e64 s[18:19], v85, v2
	s_waitcnt lgkmcnt(0)
	v_cmp_lt_i32_e64 s[20:21], v88, v87
	v_cndmask_b32_e64 v71, v71, v72, s[16:17]
	v_cmp_lt_i32_e64 s[16:17], v84, v3
	s_or_b64 s[18:19], s[18:19], s[20:21]
	s_and_b64 s[16:17], s[16:17], s[18:19]
	v_cndmask_b32_e64 v81, v81, v82, s[26:27]
	v_cndmask_b32_e64 v79, v79, v80, s[24:25]
	;; [unrolled: 1-line block ×4, first 2 shown]
	s_barrier
	ds_write2_b32 v61, v71, v73 offset1:1
	ds_write2_b32 v61, v75, v77 offset0:2 offset1:3
	ds_write2_b32 v61, v79, v81 offset0:4 offset1:5
	;; [unrolled: 1-line block ×3, first 2 shown]
	v_mov_b32_e32 v73, v27
	s_waitcnt lgkmcnt(0)
	s_barrier
	s_and_saveexec_b64 s[18:19], s[0:1]
	s_cbranch_execz .LBB38_38
; %bb.35:                               ;   in Loop: Header=BB38_2 Depth=1
	s_mov_b64 s[20:21], 0
	v_mov_b32_e32 v73, v27
	v_mov_b32_e32 v71, v28
.LBB38_36:                              ;   Parent Loop BB38_2 Depth=1
                                        ; =>  This Inner Loop Header: Depth=2
	v_sub_u32_e32 v72, v71, v73
	v_lshrrev_b32_e32 v72, 1, v72
	v_add_u32_e32 v72, v72, v73
	v_not_b32_e32 v75, v72
	v_lshl_add_u32 v74, v72, 2, v63
	v_lshl_add_u32 v75, v75, 2, v48
	ds_read_b32 v74, v74
	ds_read_b32 v75, v75
	v_add_u32_e32 v76, 1, v72
	s_waitcnt lgkmcnt(0)
	v_cmp_lt_i32_e64 s[16:17], v75, v74
	v_cndmask_b32_e64 v71, v71, v72, s[16:17]
	v_cndmask_b32_e64 v73, v76, v73, s[16:17]
	v_cmp_ge_i32_e64 s[16:17], v73, v71
	s_or_b64 s[20:21], s[16:17], s[20:21]
	s_andn2_b64 exec, exec, s[20:21]
	s_cbranch_execnz .LBB38_36
; %bb.37:                               ;   in Loop: Header=BB38_2 Depth=1
	s_or_b64 exec, exec, s[20:21]
.LBB38_38:                              ;   in Loop: Header=BB38_2 Depth=1
	s_or_b64 exec, exec, s[18:19]
	v_sub_u32_e32 v75, v47, v73
	v_lshl_add_u32 v74, v73, 2, v63
	v_lshlrev_b32_e32 v77, 2, v75
	ds_read_b32 v71, v74
	ds_read_b32 v72, v77
	v_add_u32_e32 v76, v73, v4
	v_cmp_le_i32_e64 s[18:19], v5, v76
	v_cmp_gt_i32_e64 s[16:17], v6, v75
                                        ; implicit-def: $vgpr73
	s_waitcnt lgkmcnt(0)
	v_cmp_lt_i32_e64 s[20:21], v72, v71
	s_or_b64 s[18:19], s[18:19], s[20:21]
	s_and_b64 s[16:17], s[16:17], s[18:19]
	s_xor_b64 s[18:19], s[16:17], -1
	s_and_saveexec_b64 s[20:21], s[18:19]
	s_xor_b64 s[18:19], exec, s[20:21]
; %bb.39:                               ;   in Loop: Header=BB38_2 Depth=1
	ds_read_b32 v73, v74 offset:4
                                        ; implicit-def: $vgpr77
; %bb.40:                               ;   in Loop: Header=BB38_2 Depth=1
	s_or_saveexec_b64 s[18:19], s[18:19]
	v_mov_b32_e32 v74, v72
	s_xor_b64 exec, exec, s[18:19]
	s_cbranch_execz .LBB38_42
; %bb.41:                               ;   in Loop: Header=BB38_2 Depth=1
	ds_read_b32 v74, v77 offset:4
	s_waitcnt lgkmcnt(1)
	v_mov_b32_e32 v73, v71
.LBB38_42:                              ;   in Loop: Header=BB38_2 Depth=1
	s_or_b64 exec, exec, s[18:19]
	v_add_u32_e32 v78, 1, v76
	v_add_u32_e32 v77, 1, v75
	v_cndmask_b32_e64 v78, v78, v76, s[16:17]
	v_cndmask_b32_e64 v77, v75, v77, s[16:17]
	v_cmp_ge_i32_e64 s[20:21], v78, v5
	s_waitcnt lgkmcnt(0)
	v_cmp_lt_i32_e64 s[22:23], v74, v73
	v_cmp_lt_i32_e64 s[18:19], v77, v6
	s_or_b64 s[20:21], s[20:21], s[22:23]
	s_and_b64 s[18:19], s[18:19], s[20:21]
	s_xor_b64 s[20:21], s[18:19], -1
                                        ; implicit-def: $vgpr75
	s_and_saveexec_b64 s[22:23], s[20:21]
	s_xor_b64 s[20:21], exec, s[22:23]
; %bb.43:                               ;   in Loop: Header=BB38_2 Depth=1
	v_lshlrev_b32_e32 v75, 2, v78
	ds_read_b32 v75, v75 offset:4
; %bb.44:                               ;   in Loop: Header=BB38_2 Depth=1
	s_or_saveexec_b64 s[20:21], s[20:21]
	v_mov_b32_e32 v76, v74
	s_xor_b64 exec, exec, s[20:21]
	s_cbranch_execz .LBB38_46
; %bb.45:                               ;   in Loop: Header=BB38_2 Depth=1
	s_waitcnt lgkmcnt(0)
	v_lshlrev_b32_e32 v75, 2, v77
	ds_read_b32 v76, v75 offset:4
	v_mov_b32_e32 v75, v73
.LBB38_46:                              ;   in Loop: Header=BB38_2 Depth=1
	s_or_b64 exec, exec, s[20:21]
	v_add_u32_e32 v80, 1, v78
	v_add_u32_e32 v79, 1, v77
	v_cndmask_b32_e64 v80, v80, v78, s[18:19]
	v_cndmask_b32_e64 v79, v77, v79, s[18:19]
	v_cmp_ge_i32_e64 s[22:23], v80, v5
	s_waitcnt lgkmcnt(0)
	v_cmp_lt_i32_e64 s[24:25], v76, v75
	v_cmp_lt_i32_e64 s[20:21], v79, v6
	s_or_b64 s[22:23], s[22:23], s[24:25]
	s_and_b64 s[20:21], s[20:21], s[22:23]
	s_xor_b64 s[22:23], s[20:21], -1
                                        ; implicit-def: $vgpr77
	s_and_saveexec_b64 s[24:25], s[22:23]
	s_xor_b64 s[22:23], exec, s[24:25]
; %bb.47:                               ;   in Loop: Header=BB38_2 Depth=1
	v_lshlrev_b32_e32 v77, 2, v80
	ds_read_b32 v77, v77 offset:4
; %bb.48:                               ;   in Loop: Header=BB38_2 Depth=1
	s_or_saveexec_b64 s[22:23], s[22:23]
	v_mov_b32_e32 v78, v76
	s_xor_b64 exec, exec, s[22:23]
	s_cbranch_execz .LBB38_50
; %bb.49:                               ;   in Loop: Header=BB38_2 Depth=1
	s_waitcnt lgkmcnt(0)
	v_lshlrev_b32_e32 v77, 2, v79
	ds_read_b32 v78, v77 offset:4
	v_mov_b32_e32 v77, v75
.LBB38_50:                              ;   in Loop: Header=BB38_2 Depth=1
	s_or_b64 exec, exec, s[22:23]
	v_add_u32_e32 v82, 1, v80
	v_add_u32_e32 v81, 1, v79
	v_cndmask_b32_e64 v82, v82, v80, s[20:21]
	v_cndmask_b32_e64 v81, v79, v81, s[20:21]
	v_cmp_ge_i32_e64 s[24:25], v82, v5
	s_waitcnt lgkmcnt(0)
	v_cmp_lt_i32_e64 s[26:27], v78, v77
	v_cmp_lt_i32_e64 s[22:23], v81, v6
	s_or_b64 s[24:25], s[24:25], s[26:27]
	s_and_b64 s[22:23], s[22:23], s[24:25]
	s_xor_b64 s[24:25], s[22:23], -1
                                        ; implicit-def: $vgpr79
	s_and_saveexec_b64 s[26:27], s[24:25]
	s_xor_b64 s[24:25], exec, s[26:27]
; %bb.51:                               ;   in Loop: Header=BB38_2 Depth=1
	v_lshlrev_b32_e32 v79, 2, v82
	ds_read_b32 v79, v79 offset:4
; %bb.52:                               ;   in Loop: Header=BB38_2 Depth=1
	s_or_saveexec_b64 s[24:25], s[24:25]
	v_mov_b32_e32 v80, v78
	s_xor_b64 exec, exec, s[24:25]
	s_cbranch_execz .LBB38_54
; %bb.53:                               ;   in Loop: Header=BB38_2 Depth=1
	s_waitcnt lgkmcnt(0)
	v_lshlrev_b32_e32 v79, 2, v81
	ds_read_b32 v80, v79 offset:4
	v_mov_b32_e32 v79, v77
.LBB38_54:                              ;   in Loop: Header=BB38_2 Depth=1
	s_or_b64 exec, exec, s[24:25]
	v_add_u32_e32 v84, 1, v82
	v_add_u32_e32 v83, 1, v81
	v_cndmask_b32_e64 v84, v84, v82, s[22:23]
	v_cndmask_b32_e64 v83, v81, v83, s[22:23]
	v_cmp_ge_i32_e64 s[26:27], v84, v5
	s_waitcnt lgkmcnt(0)
	v_cmp_lt_i32_e64 s[28:29], v80, v79
	v_cmp_lt_i32_e64 s[24:25], v83, v6
	s_or_b64 s[26:27], s[26:27], s[28:29]
	s_and_b64 s[24:25], s[24:25], s[26:27]
	s_xor_b64 s[26:27], s[24:25], -1
                                        ; implicit-def: $vgpr81
	s_and_saveexec_b64 s[28:29], s[26:27]
	s_xor_b64 s[26:27], exec, s[28:29]
; %bb.55:                               ;   in Loop: Header=BB38_2 Depth=1
	v_lshlrev_b32_e32 v81, 2, v84
	ds_read_b32 v81, v81 offset:4
; %bb.56:                               ;   in Loop: Header=BB38_2 Depth=1
	s_or_saveexec_b64 s[26:27], s[26:27]
	v_mov_b32_e32 v82, v80
	s_xor_b64 exec, exec, s[26:27]
	s_cbranch_execz .LBB38_58
; %bb.57:                               ;   in Loop: Header=BB38_2 Depth=1
	s_waitcnt lgkmcnt(0)
	v_lshlrev_b32_e32 v81, 2, v83
	ds_read_b32 v82, v81 offset:4
	v_mov_b32_e32 v81, v79
.LBB38_58:                              ;   in Loop: Header=BB38_2 Depth=1
	s_or_b64 exec, exec, s[26:27]
	v_add_u32_e32 v86, 1, v84
	v_add_u32_e32 v85, 1, v83
	v_cndmask_b32_e64 v86, v86, v84, s[24:25]
	v_cndmask_b32_e64 v85, v83, v85, s[24:25]
	v_cmp_ge_i32_e64 s[28:29], v86, v5
	s_waitcnt lgkmcnt(0)
	v_cmp_lt_i32_e64 s[30:31], v82, v81
	v_cmp_lt_i32_e64 s[26:27], v85, v6
	s_or_b64 s[28:29], s[28:29], s[30:31]
	s_and_b64 s[26:27], s[26:27], s[28:29]
	s_xor_b64 s[28:29], s[26:27], -1
                                        ; implicit-def: $vgpr83
	s_and_saveexec_b64 s[30:31], s[28:29]
	s_xor_b64 s[28:29], exec, s[30:31]
; %bb.59:                               ;   in Loop: Header=BB38_2 Depth=1
	v_lshlrev_b32_e32 v83, 2, v86
	ds_read_b32 v83, v83 offset:4
; %bb.60:                               ;   in Loop: Header=BB38_2 Depth=1
	s_or_saveexec_b64 s[28:29], s[28:29]
	v_mov_b32_e32 v84, v82
	s_xor_b64 exec, exec, s[28:29]
	s_cbranch_execz .LBB38_62
; %bb.61:                               ;   in Loop: Header=BB38_2 Depth=1
	s_waitcnt lgkmcnt(0)
	v_lshlrev_b32_e32 v83, 2, v85
	ds_read_b32 v84, v83 offset:4
	v_mov_b32_e32 v83, v81
.LBB38_62:                              ;   in Loop: Header=BB38_2 Depth=1
	s_or_b64 exec, exec, s[28:29]
	v_add_u32_e32 v88, 1, v86
	v_add_u32_e32 v87, 1, v85
	v_cndmask_b32_e64 v86, v88, v86, s[26:27]
	v_cndmask_b32_e64 v85, v85, v87, s[26:27]
	v_cmp_ge_i32_e64 s[30:31], v86, v5
	s_waitcnt lgkmcnt(0)
	v_cmp_lt_i32_e64 s[34:35], v84, v83
	v_cmp_lt_i32_e64 s[28:29], v85, v6
	s_or_b64 s[30:31], s[30:31], s[34:35]
	s_and_b64 s[28:29], s[28:29], s[30:31]
	s_xor_b64 s[30:31], s[28:29], -1
                                        ; implicit-def: $vgpr87
	s_and_saveexec_b64 s[34:35], s[30:31]
	s_xor_b64 s[30:31], exec, s[34:35]
; %bb.63:                               ;   in Loop: Header=BB38_2 Depth=1
	v_lshlrev_b32_e32 v87, 2, v86
	ds_read_b32 v87, v87 offset:4
; %bb.64:                               ;   in Loop: Header=BB38_2 Depth=1
	s_or_saveexec_b64 s[30:31], s[30:31]
	v_mov_b32_e32 v88, v84
	s_xor_b64 exec, exec, s[30:31]
	s_cbranch_execz .LBB38_66
; %bb.65:                               ;   in Loop: Header=BB38_2 Depth=1
	s_waitcnt lgkmcnt(0)
	v_lshlrev_b32_e32 v87, 2, v85
	ds_read_b32 v88, v87 offset:4
	v_mov_b32_e32 v87, v83
.LBB38_66:                              ;   in Loop: Header=BB38_2 Depth=1
	s_or_b64 exec, exec, s[30:31]
	v_cndmask_b32_e64 v83, v83, v84, s[28:29]
	v_add_u32_e32 v84, 1, v85
	v_add_u32_e32 v89, 1, v86
	v_cndmask_b32_e64 v84, v85, v84, s[28:29]
	v_cndmask_b32_e64 v85, v89, v86, s[28:29]
	v_cndmask_b32_e64 v75, v75, v76, s[20:21]
	v_cndmask_b32_e64 v73, v73, v74, s[18:19]
	v_cmp_ge_i32_e64 s[18:19], v85, v5
	s_waitcnt lgkmcnt(0)
	v_cmp_lt_i32_e64 s[20:21], v88, v87
	v_cndmask_b32_e64 v71, v71, v72, s[16:17]
	v_cmp_lt_i32_e64 s[16:17], v84, v6
	s_or_b64 s[18:19], s[18:19], s[20:21]
	s_and_b64 s[16:17], s[16:17], s[18:19]
	v_cndmask_b32_e64 v81, v81, v82, s[26:27]
	v_cndmask_b32_e64 v79, v79, v80, s[24:25]
	;; [unrolled: 1-line block ×4, first 2 shown]
	s_barrier
	ds_write2_b32 v61, v71, v73 offset1:1
	ds_write2_b32 v61, v75, v77 offset0:2 offset1:3
	ds_write2_b32 v61, v79, v81 offset0:4 offset1:5
	;; [unrolled: 1-line block ×3, first 2 shown]
	v_mov_b32_e32 v73, v29
	s_waitcnt lgkmcnt(0)
	s_barrier
	s_and_saveexec_b64 s[18:19], s[2:3]
	s_cbranch_execz .LBB38_70
; %bb.67:                               ;   in Loop: Header=BB38_2 Depth=1
	s_mov_b64 s[20:21], 0
	v_mov_b32_e32 v73, v29
	v_mov_b32_e32 v71, v30
.LBB38_68:                              ;   Parent Loop BB38_2 Depth=1
                                        ; =>  This Inner Loop Header: Depth=2
	v_sub_u32_e32 v72, v71, v73
	v_lshrrev_b32_e32 v72, 1, v72
	v_add_u32_e32 v72, v72, v73
	v_not_b32_e32 v75, v72
	v_lshl_add_u32 v74, v72, 2, v64
	v_lshl_add_u32 v75, v75, 2, v50
	ds_read_b32 v74, v74
	ds_read_b32 v75, v75
	v_add_u32_e32 v76, 1, v72
	s_waitcnt lgkmcnt(0)
	v_cmp_lt_i32_e64 s[16:17], v75, v74
	v_cndmask_b32_e64 v71, v71, v72, s[16:17]
	v_cndmask_b32_e64 v73, v76, v73, s[16:17]
	v_cmp_ge_i32_e64 s[16:17], v73, v71
	s_or_b64 s[20:21], s[16:17], s[20:21]
	s_andn2_b64 exec, exec, s[20:21]
	s_cbranch_execnz .LBB38_68
; %bb.69:                               ;   in Loop: Header=BB38_2 Depth=1
	s_or_b64 exec, exec, s[20:21]
.LBB38_70:                              ;   in Loop: Header=BB38_2 Depth=1
	s_or_b64 exec, exec, s[18:19]
	v_sub_u32_e32 v75, v49, v73
	v_lshl_add_u32 v74, v73, 2, v64
	v_lshlrev_b32_e32 v77, 2, v75
	ds_read_b32 v71, v74
	ds_read_b32 v72, v77
	v_add_u32_e32 v76, v73, v7
	v_cmp_le_i32_e64 s[18:19], v8, v76
	v_cmp_gt_i32_e64 s[16:17], v9, v75
                                        ; implicit-def: $vgpr73
	s_waitcnt lgkmcnt(0)
	v_cmp_lt_i32_e64 s[20:21], v72, v71
	s_or_b64 s[18:19], s[18:19], s[20:21]
	s_and_b64 s[16:17], s[16:17], s[18:19]
	s_xor_b64 s[18:19], s[16:17], -1
	s_and_saveexec_b64 s[20:21], s[18:19]
	s_xor_b64 s[18:19], exec, s[20:21]
; %bb.71:                               ;   in Loop: Header=BB38_2 Depth=1
	ds_read_b32 v73, v74 offset:4
                                        ; implicit-def: $vgpr77
; %bb.72:                               ;   in Loop: Header=BB38_2 Depth=1
	s_or_saveexec_b64 s[18:19], s[18:19]
	v_mov_b32_e32 v74, v72
	s_xor_b64 exec, exec, s[18:19]
	s_cbranch_execz .LBB38_74
; %bb.73:                               ;   in Loop: Header=BB38_2 Depth=1
	ds_read_b32 v74, v77 offset:4
	s_waitcnt lgkmcnt(1)
	v_mov_b32_e32 v73, v71
.LBB38_74:                              ;   in Loop: Header=BB38_2 Depth=1
	s_or_b64 exec, exec, s[18:19]
	v_add_u32_e32 v78, 1, v76
	v_add_u32_e32 v77, 1, v75
	v_cndmask_b32_e64 v78, v78, v76, s[16:17]
	v_cndmask_b32_e64 v77, v75, v77, s[16:17]
	v_cmp_ge_i32_e64 s[20:21], v78, v8
	s_waitcnt lgkmcnt(0)
	v_cmp_lt_i32_e64 s[22:23], v74, v73
	v_cmp_lt_i32_e64 s[18:19], v77, v9
	s_or_b64 s[20:21], s[20:21], s[22:23]
	s_and_b64 s[18:19], s[18:19], s[20:21]
	s_xor_b64 s[20:21], s[18:19], -1
                                        ; implicit-def: $vgpr75
	s_and_saveexec_b64 s[22:23], s[20:21]
	s_xor_b64 s[20:21], exec, s[22:23]
; %bb.75:                               ;   in Loop: Header=BB38_2 Depth=1
	v_lshlrev_b32_e32 v75, 2, v78
	ds_read_b32 v75, v75 offset:4
; %bb.76:                               ;   in Loop: Header=BB38_2 Depth=1
	s_or_saveexec_b64 s[20:21], s[20:21]
	v_mov_b32_e32 v76, v74
	s_xor_b64 exec, exec, s[20:21]
	s_cbranch_execz .LBB38_78
; %bb.77:                               ;   in Loop: Header=BB38_2 Depth=1
	s_waitcnt lgkmcnt(0)
	v_lshlrev_b32_e32 v75, 2, v77
	ds_read_b32 v76, v75 offset:4
	v_mov_b32_e32 v75, v73
.LBB38_78:                              ;   in Loop: Header=BB38_2 Depth=1
	s_or_b64 exec, exec, s[20:21]
	v_add_u32_e32 v80, 1, v78
	v_add_u32_e32 v79, 1, v77
	v_cndmask_b32_e64 v80, v80, v78, s[18:19]
	v_cndmask_b32_e64 v79, v77, v79, s[18:19]
	v_cmp_ge_i32_e64 s[22:23], v80, v8
	s_waitcnt lgkmcnt(0)
	v_cmp_lt_i32_e64 s[24:25], v76, v75
	v_cmp_lt_i32_e64 s[20:21], v79, v9
	s_or_b64 s[22:23], s[22:23], s[24:25]
	s_and_b64 s[20:21], s[20:21], s[22:23]
	s_xor_b64 s[22:23], s[20:21], -1
                                        ; implicit-def: $vgpr77
	s_and_saveexec_b64 s[24:25], s[22:23]
	s_xor_b64 s[22:23], exec, s[24:25]
; %bb.79:                               ;   in Loop: Header=BB38_2 Depth=1
	v_lshlrev_b32_e32 v77, 2, v80
	ds_read_b32 v77, v77 offset:4
; %bb.80:                               ;   in Loop: Header=BB38_2 Depth=1
	s_or_saveexec_b64 s[22:23], s[22:23]
	v_mov_b32_e32 v78, v76
	s_xor_b64 exec, exec, s[22:23]
	s_cbranch_execz .LBB38_82
; %bb.81:                               ;   in Loop: Header=BB38_2 Depth=1
	s_waitcnt lgkmcnt(0)
	v_lshlrev_b32_e32 v77, 2, v79
	ds_read_b32 v78, v77 offset:4
	v_mov_b32_e32 v77, v75
.LBB38_82:                              ;   in Loop: Header=BB38_2 Depth=1
	s_or_b64 exec, exec, s[22:23]
	v_add_u32_e32 v82, 1, v80
	v_add_u32_e32 v81, 1, v79
	v_cndmask_b32_e64 v82, v82, v80, s[20:21]
	v_cndmask_b32_e64 v81, v79, v81, s[20:21]
	v_cmp_ge_i32_e64 s[24:25], v82, v8
	s_waitcnt lgkmcnt(0)
	v_cmp_lt_i32_e64 s[26:27], v78, v77
	v_cmp_lt_i32_e64 s[22:23], v81, v9
	s_or_b64 s[24:25], s[24:25], s[26:27]
	s_and_b64 s[22:23], s[22:23], s[24:25]
	s_xor_b64 s[24:25], s[22:23], -1
                                        ; implicit-def: $vgpr79
	s_and_saveexec_b64 s[26:27], s[24:25]
	s_xor_b64 s[24:25], exec, s[26:27]
; %bb.83:                               ;   in Loop: Header=BB38_2 Depth=1
	v_lshlrev_b32_e32 v79, 2, v82
	ds_read_b32 v79, v79 offset:4
; %bb.84:                               ;   in Loop: Header=BB38_2 Depth=1
	s_or_saveexec_b64 s[24:25], s[24:25]
	v_mov_b32_e32 v80, v78
	s_xor_b64 exec, exec, s[24:25]
	s_cbranch_execz .LBB38_86
; %bb.85:                               ;   in Loop: Header=BB38_2 Depth=1
	s_waitcnt lgkmcnt(0)
	v_lshlrev_b32_e32 v79, 2, v81
	ds_read_b32 v80, v79 offset:4
	v_mov_b32_e32 v79, v77
.LBB38_86:                              ;   in Loop: Header=BB38_2 Depth=1
	s_or_b64 exec, exec, s[24:25]
	v_add_u32_e32 v84, 1, v82
	v_add_u32_e32 v83, 1, v81
	v_cndmask_b32_e64 v84, v84, v82, s[22:23]
	v_cndmask_b32_e64 v83, v81, v83, s[22:23]
	v_cmp_ge_i32_e64 s[26:27], v84, v8
	s_waitcnt lgkmcnt(0)
	v_cmp_lt_i32_e64 s[28:29], v80, v79
	v_cmp_lt_i32_e64 s[24:25], v83, v9
	s_or_b64 s[26:27], s[26:27], s[28:29]
	s_and_b64 s[24:25], s[24:25], s[26:27]
	s_xor_b64 s[26:27], s[24:25], -1
                                        ; implicit-def: $vgpr81
	s_and_saveexec_b64 s[28:29], s[26:27]
	s_xor_b64 s[26:27], exec, s[28:29]
; %bb.87:                               ;   in Loop: Header=BB38_2 Depth=1
	v_lshlrev_b32_e32 v81, 2, v84
	ds_read_b32 v81, v81 offset:4
; %bb.88:                               ;   in Loop: Header=BB38_2 Depth=1
	s_or_saveexec_b64 s[26:27], s[26:27]
	v_mov_b32_e32 v82, v80
	s_xor_b64 exec, exec, s[26:27]
	s_cbranch_execz .LBB38_90
; %bb.89:                               ;   in Loop: Header=BB38_2 Depth=1
	s_waitcnt lgkmcnt(0)
	v_lshlrev_b32_e32 v81, 2, v83
	ds_read_b32 v82, v81 offset:4
	v_mov_b32_e32 v81, v79
.LBB38_90:                              ;   in Loop: Header=BB38_2 Depth=1
	s_or_b64 exec, exec, s[26:27]
	v_add_u32_e32 v86, 1, v84
	v_add_u32_e32 v85, 1, v83
	v_cndmask_b32_e64 v86, v86, v84, s[24:25]
	v_cndmask_b32_e64 v85, v83, v85, s[24:25]
	v_cmp_ge_i32_e64 s[28:29], v86, v8
	s_waitcnt lgkmcnt(0)
	v_cmp_lt_i32_e64 s[30:31], v82, v81
	v_cmp_lt_i32_e64 s[26:27], v85, v9
	s_or_b64 s[28:29], s[28:29], s[30:31]
	s_and_b64 s[26:27], s[26:27], s[28:29]
	s_xor_b64 s[28:29], s[26:27], -1
                                        ; implicit-def: $vgpr83
	s_and_saveexec_b64 s[30:31], s[28:29]
	s_xor_b64 s[28:29], exec, s[30:31]
; %bb.91:                               ;   in Loop: Header=BB38_2 Depth=1
	v_lshlrev_b32_e32 v83, 2, v86
	ds_read_b32 v83, v83 offset:4
; %bb.92:                               ;   in Loop: Header=BB38_2 Depth=1
	s_or_saveexec_b64 s[28:29], s[28:29]
	v_mov_b32_e32 v84, v82
	s_xor_b64 exec, exec, s[28:29]
	s_cbranch_execz .LBB38_94
; %bb.93:                               ;   in Loop: Header=BB38_2 Depth=1
	s_waitcnt lgkmcnt(0)
	v_lshlrev_b32_e32 v83, 2, v85
	ds_read_b32 v84, v83 offset:4
	v_mov_b32_e32 v83, v81
.LBB38_94:                              ;   in Loop: Header=BB38_2 Depth=1
	s_or_b64 exec, exec, s[28:29]
	v_add_u32_e32 v88, 1, v86
	v_add_u32_e32 v87, 1, v85
	v_cndmask_b32_e64 v86, v88, v86, s[26:27]
	v_cndmask_b32_e64 v85, v85, v87, s[26:27]
	v_cmp_ge_i32_e64 s[30:31], v86, v8
	s_waitcnt lgkmcnt(0)
	v_cmp_lt_i32_e64 s[34:35], v84, v83
	v_cmp_lt_i32_e64 s[28:29], v85, v9
	s_or_b64 s[30:31], s[30:31], s[34:35]
	s_and_b64 s[28:29], s[28:29], s[30:31]
	s_xor_b64 s[30:31], s[28:29], -1
                                        ; implicit-def: $vgpr87
	s_and_saveexec_b64 s[34:35], s[30:31]
	s_xor_b64 s[30:31], exec, s[34:35]
; %bb.95:                               ;   in Loop: Header=BB38_2 Depth=1
	v_lshlrev_b32_e32 v87, 2, v86
	ds_read_b32 v87, v87 offset:4
; %bb.96:                               ;   in Loop: Header=BB38_2 Depth=1
	s_or_saveexec_b64 s[30:31], s[30:31]
	v_mov_b32_e32 v88, v84
	s_xor_b64 exec, exec, s[30:31]
	s_cbranch_execz .LBB38_98
; %bb.97:                               ;   in Loop: Header=BB38_2 Depth=1
	s_waitcnt lgkmcnt(0)
	v_lshlrev_b32_e32 v87, 2, v85
	ds_read_b32 v88, v87 offset:4
	v_mov_b32_e32 v87, v83
.LBB38_98:                              ;   in Loop: Header=BB38_2 Depth=1
	s_or_b64 exec, exec, s[30:31]
	v_cndmask_b32_e64 v83, v83, v84, s[28:29]
	v_add_u32_e32 v84, 1, v85
	v_add_u32_e32 v89, 1, v86
	v_cndmask_b32_e64 v84, v85, v84, s[28:29]
	v_cndmask_b32_e64 v85, v89, v86, s[28:29]
	;; [unrolled: 1-line block ×4, first 2 shown]
	v_cmp_ge_i32_e64 s[18:19], v85, v8
	s_waitcnt lgkmcnt(0)
	v_cmp_lt_i32_e64 s[20:21], v88, v87
	v_cndmask_b32_e64 v71, v71, v72, s[16:17]
	v_cmp_lt_i32_e64 s[16:17], v84, v9
	s_or_b64 s[18:19], s[18:19], s[20:21]
	s_and_b64 s[16:17], s[16:17], s[18:19]
	v_cndmask_b32_e64 v81, v81, v82, s[26:27]
	v_cndmask_b32_e64 v79, v79, v80, s[24:25]
	;; [unrolled: 1-line block ×4, first 2 shown]
	s_barrier
	ds_write2_b32 v61, v71, v73 offset1:1
	ds_write2_b32 v61, v75, v77 offset0:2 offset1:3
	ds_write2_b32 v61, v79, v81 offset0:4 offset1:5
	;; [unrolled: 1-line block ×3, first 2 shown]
	v_mov_b32_e32 v73, v31
	s_waitcnt lgkmcnt(0)
	s_barrier
	s_and_saveexec_b64 s[18:19], s[4:5]
	s_cbranch_execz .LBB38_102
; %bb.99:                               ;   in Loop: Header=BB38_2 Depth=1
	s_mov_b64 s[20:21], 0
	v_mov_b32_e32 v73, v31
	v_mov_b32_e32 v71, v32
.LBB38_100:                             ;   Parent Loop BB38_2 Depth=1
                                        ; =>  This Inner Loop Header: Depth=2
	v_sub_u32_e32 v72, v71, v73
	v_lshrrev_b32_e32 v72, 1, v72
	v_add_u32_e32 v72, v72, v73
	v_not_b32_e32 v75, v72
	v_lshl_add_u32 v74, v72, 2, v65
	v_lshl_add_u32 v75, v75, 2, v52
	ds_read_b32 v74, v74
	ds_read_b32 v75, v75
	v_add_u32_e32 v76, 1, v72
	s_waitcnt lgkmcnt(0)
	v_cmp_lt_i32_e64 s[16:17], v75, v74
	v_cndmask_b32_e64 v71, v71, v72, s[16:17]
	v_cndmask_b32_e64 v73, v76, v73, s[16:17]
	v_cmp_ge_i32_e64 s[16:17], v73, v71
	s_or_b64 s[20:21], s[16:17], s[20:21]
	s_andn2_b64 exec, exec, s[20:21]
	s_cbranch_execnz .LBB38_100
; %bb.101:                              ;   in Loop: Header=BB38_2 Depth=1
	s_or_b64 exec, exec, s[20:21]
.LBB38_102:                             ;   in Loop: Header=BB38_2 Depth=1
	s_or_b64 exec, exec, s[18:19]
	v_sub_u32_e32 v75, v51, v73
	v_lshl_add_u32 v74, v73, 2, v65
	v_lshlrev_b32_e32 v77, 2, v75
	ds_read_b32 v71, v74
	ds_read_b32 v72, v77
	v_add_u32_e32 v76, v73, v10
	v_cmp_le_i32_e64 s[18:19], v11, v76
	v_cmp_gt_i32_e64 s[16:17], v12, v75
                                        ; implicit-def: $vgpr73
	s_waitcnt lgkmcnt(0)
	v_cmp_lt_i32_e64 s[20:21], v72, v71
	s_or_b64 s[18:19], s[18:19], s[20:21]
	s_and_b64 s[16:17], s[16:17], s[18:19]
	s_xor_b64 s[18:19], s[16:17], -1
	s_and_saveexec_b64 s[20:21], s[18:19]
	s_xor_b64 s[18:19], exec, s[20:21]
; %bb.103:                              ;   in Loop: Header=BB38_2 Depth=1
	ds_read_b32 v73, v74 offset:4
                                        ; implicit-def: $vgpr77
; %bb.104:                              ;   in Loop: Header=BB38_2 Depth=1
	s_or_saveexec_b64 s[18:19], s[18:19]
	v_mov_b32_e32 v74, v72
	s_xor_b64 exec, exec, s[18:19]
	s_cbranch_execz .LBB38_106
; %bb.105:                              ;   in Loop: Header=BB38_2 Depth=1
	ds_read_b32 v74, v77 offset:4
	s_waitcnt lgkmcnt(1)
	v_mov_b32_e32 v73, v71
.LBB38_106:                             ;   in Loop: Header=BB38_2 Depth=1
	s_or_b64 exec, exec, s[18:19]
	v_add_u32_e32 v78, 1, v76
	v_add_u32_e32 v77, 1, v75
	v_cndmask_b32_e64 v78, v78, v76, s[16:17]
	v_cndmask_b32_e64 v77, v75, v77, s[16:17]
	v_cmp_ge_i32_e64 s[20:21], v78, v11
	s_waitcnt lgkmcnt(0)
	v_cmp_lt_i32_e64 s[22:23], v74, v73
	v_cmp_lt_i32_e64 s[18:19], v77, v12
	s_or_b64 s[20:21], s[20:21], s[22:23]
	s_and_b64 s[18:19], s[18:19], s[20:21]
	s_xor_b64 s[20:21], s[18:19], -1
                                        ; implicit-def: $vgpr75
	s_and_saveexec_b64 s[22:23], s[20:21]
	s_xor_b64 s[20:21], exec, s[22:23]
; %bb.107:                              ;   in Loop: Header=BB38_2 Depth=1
	v_lshlrev_b32_e32 v75, 2, v78
	ds_read_b32 v75, v75 offset:4
; %bb.108:                              ;   in Loop: Header=BB38_2 Depth=1
	s_or_saveexec_b64 s[20:21], s[20:21]
	v_mov_b32_e32 v76, v74
	s_xor_b64 exec, exec, s[20:21]
	s_cbranch_execz .LBB38_110
; %bb.109:                              ;   in Loop: Header=BB38_2 Depth=1
	s_waitcnt lgkmcnt(0)
	v_lshlrev_b32_e32 v75, 2, v77
	ds_read_b32 v76, v75 offset:4
	v_mov_b32_e32 v75, v73
.LBB38_110:                             ;   in Loop: Header=BB38_2 Depth=1
	s_or_b64 exec, exec, s[20:21]
	v_add_u32_e32 v80, 1, v78
	v_add_u32_e32 v79, 1, v77
	v_cndmask_b32_e64 v80, v80, v78, s[18:19]
	v_cndmask_b32_e64 v79, v77, v79, s[18:19]
	v_cmp_ge_i32_e64 s[22:23], v80, v11
	s_waitcnt lgkmcnt(0)
	v_cmp_lt_i32_e64 s[24:25], v76, v75
	v_cmp_lt_i32_e64 s[20:21], v79, v12
	s_or_b64 s[22:23], s[22:23], s[24:25]
	s_and_b64 s[20:21], s[20:21], s[22:23]
	s_xor_b64 s[22:23], s[20:21], -1
                                        ; implicit-def: $vgpr77
	s_and_saveexec_b64 s[24:25], s[22:23]
	s_xor_b64 s[22:23], exec, s[24:25]
; %bb.111:                              ;   in Loop: Header=BB38_2 Depth=1
	v_lshlrev_b32_e32 v77, 2, v80
	ds_read_b32 v77, v77 offset:4
; %bb.112:                              ;   in Loop: Header=BB38_2 Depth=1
	s_or_saveexec_b64 s[22:23], s[22:23]
	v_mov_b32_e32 v78, v76
	s_xor_b64 exec, exec, s[22:23]
	s_cbranch_execz .LBB38_114
; %bb.113:                              ;   in Loop: Header=BB38_2 Depth=1
	s_waitcnt lgkmcnt(0)
	v_lshlrev_b32_e32 v77, 2, v79
	ds_read_b32 v78, v77 offset:4
	v_mov_b32_e32 v77, v75
.LBB38_114:                             ;   in Loop: Header=BB38_2 Depth=1
	s_or_b64 exec, exec, s[22:23]
	v_add_u32_e32 v82, 1, v80
	v_add_u32_e32 v81, 1, v79
	v_cndmask_b32_e64 v82, v82, v80, s[20:21]
	v_cndmask_b32_e64 v81, v79, v81, s[20:21]
	v_cmp_ge_i32_e64 s[24:25], v82, v11
	s_waitcnt lgkmcnt(0)
	v_cmp_lt_i32_e64 s[26:27], v78, v77
	v_cmp_lt_i32_e64 s[22:23], v81, v12
	s_or_b64 s[24:25], s[24:25], s[26:27]
	s_and_b64 s[22:23], s[22:23], s[24:25]
	s_xor_b64 s[24:25], s[22:23], -1
                                        ; implicit-def: $vgpr79
	s_and_saveexec_b64 s[26:27], s[24:25]
	s_xor_b64 s[24:25], exec, s[26:27]
; %bb.115:                              ;   in Loop: Header=BB38_2 Depth=1
	v_lshlrev_b32_e32 v79, 2, v82
	ds_read_b32 v79, v79 offset:4
; %bb.116:                              ;   in Loop: Header=BB38_2 Depth=1
	s_or_saveexec_b64 s[24:25], s[24:25]
	v_mov_b32_e32 v80, v78
	s_xor_b64 exec, exec, s[24:25]
	s_cbranch_execz .LBB38_118
; %bb.117:                              ;   in Loop: Header=BB38_2 Depth=1
	s_waitcnt lgkmcnt(0)
	v_lshlrev_b32_e32 v79, 2, v81
	ds_read_b32 v80, v79 offset:4
	v_mov_b32_e32 v79, v77
.LBB38_118:                             ;   in Loop: Header=BB38_2 Depth=1
	s_or_b64 exec, exec, s[24:25]
	v_add_u32_e32 v84, 1, v82
	v_add_u32_e32 v83, 1, v81
	v_cndmask_b32_e64 v84, v84, v82, s[22:23]
	v_cndmask_b32_e64 v83, v81, v83, s[22:23]
	v_cmp_ge_i32_e64 s[26:27], v84, v11
	s_waitcnt lgkmcnt(0)
	v_cmp_lt_i32_e64 s[28:29], v80, v79
	v_cmp_lt_i32_e64 s[24:25], v83, v12
	s_or_b64 s[26:27], s[26:27], s[28:29]
	s_and_b64 s[24:25], s[24:25], s[26:27]
	s_xor_b64 s[26:27], s[24:25], -1
                                        ; implicit-def: $vgpr81
	s_and_saveexec_b64 s[28:29], s[26:27]
	s_xor_b64 s[26:27], exec, s[28:29]
; %bb.119:                              ;   in Loop: Header=BB38_2 Depth=1
	v_lshlrev_b32_e32 v81, 2, v84
	ds_read_b32 v81, v81 offset:4
; %bb.120:                              ;   in Loop: Header=BB38_2 Depth=1
	s_or_saveexec_b64 s[26:27], s[26:27]
	v_mov_b32_e32 v82, v80
	s_xor_b64 exec, exec, s[26:27]
	s_cbranch_execz .LBB38_122
; %bb.121:                              ;   in Loop: Header=BB38_2 Depth=1
	s_waitcnt lgkmcnt(0)
	v_lshlrev_b32_e32 v81, 2, v83
	ds_read_b32 v82, v81 offset:4
	v_mov_b32_e32 v81, v79
.LBB38_122:                             ;   in Loop: Header=BB38_2 Depth=1
	s_or_b64 exec, exec, s[26:27]
	v_add_u32_e32 v86, 1, v84
	v_add_u32_e32 v85, 1, v83
	v_cndmask_b32_e64 v86, v86, v84, s[24:25]
	v_cndmask_b32_e64 v85, v83, v85, s[24:25]
	v_cmp_ge_i32_e64 s[28:29], v86, v11
	s_waitcnt lgkmcnt(0)
	v_cmp_lt_i32_e64 s[30:31], v82, v81
	v_cmp_lt_i32_e64 s[26:27], v85, v12
	s_or_b64 s[28:29], s[28:29], s[30:31]
	s_and_b64 s[26:27], s[26:27], s[28:29]
	s_xor_b64 s[28:29], s[26:27], -1
                                        ; implicit-def: $vgpr83
	s_and_saveexec_b64 s[30:31], s[28:29]
	s_xor_b64 s[28:29], exec, s[30:31]
; %bb.123:                              ;   in Loop: Header=BB38_2 Depth=1
	v_lshlrev_b32_e32 v83, 2, v86
	ds_read_b32 v83, v83 offset:4
; %bb.124:                              ;   in Loop: Header=BB38_2 Depth=1
	s_or_saveexec_b64 s[28:29], s[28:29]
	v_mov_b32_e32 v84, v82
	s_xor_b64 exec, exec, s[28:29]
	s_cbranch_execz .LBB38_126
; %bb.125:                              ;   in Loop: Header=BB38_2 Depth=1
	s_waitcnt lgkmcnt(0)
	v_lshlrev_b32_e32 v83, 2, v85
	ds_read_b32 v84, v83 offset:4
	v_mov_b32_e32 v83, v81
.LBB38_126:                             ;   in Loop: Header=BB38_2 Depth=1
	s_or_b64 exec, exec, s[28:29]
	v_add_u32_e32 v88, 1, v86
	v_add_u32_e32 v87, 1, v85
	v_cndmask_b32_e64 v86, v88, v86, s[26:27]
	v_cndmask_b32_e64 v85, v85, v87, s[26:27]
	v_cmp_ge_i32_e64 s[30:31], v86, v11
	s_waitcnt lgkmcnt(0)
	v_cmp_lt_i32_e64 s[34:35], v84, v83
	v_cmp_lt_i32_e64 s[28:29], v85, v12
	s_or_b64 s[30:31], s[30:31], s[34:35]
	s_and_b64 s[28:29], s[28:29], s[30:31]
	s_xor_b64 s[30:31], s[28:29], -1
                                        ; implicit-def: $vgpr87
	s_and_saveexec_b64 s[34:35], s[30:31]
	s_xor_b64 s[30:31], exec, s[34:35]
; %bb.127:                              ;   in Loop: Header=BB38_2 Depth=1
	v_lshlrev_b32_e32 v87, 2, v86
	ds_read_b32 v87, v87 offset:4
; %bb.128:                              ;   in Loop: Header=BB38_2 Depth=1
	s_or_saveexec_b64 s[30:31], s[30:31]
	v_mov_b32_e32 v88, v84
	s_xor_b64 exec, exec, s[30:31]
	s_cbranch_execz .LBB38_130
; %bb.129:                              ;   in Loop: Header=BB38_2 Depth=1
	s_waitcnt lgkmcnt(0)
	v_lshlrev_b32_e32 v87, 2, v85
	ds_read_b32 v88, v87 offset:4
	v_mov_b32_e32 v87, v83
.LBB38_130:                             ;   in Loop: Header=BB38_2 Depth=1
	s_or_b64 exec, exec, s[30:31]
	v_cndmask_b32_e64 v83, v83, v84, s[28:29]
	v_add_u32_e32 v84, 1, v85
	v_add_u32_e32 v89, 1, v86
	v_cndmask_b32_e64 v84, v85, v84, s[28:29]
	v_cndmask_b32_e64 v85, v89, v86, s[28:29]
	;; [unrolled: 1-line block ×4, first 2 shown]
	v_cmp_ge_i32_e64 s[18:19], v85, v11
	s_waitcnt lgkmcnt(0)
	v_cmp_lt_i32_e64 s[20:21], v88, v87
	v_cndmask_b32_e64 v71, v71, v72, s[16:17]
	v_cmp_lt_i32_e64 s[16:17], v84, v12
	s_or_b64 s[18:19], s[18:19], s[20:21]
	s_and_b64 s[16:17], s[16:17], s[18:19]
	v_cndmask_b32_e64 v81, v81, v82, s[26:27]
	v_cndmask_b32_e64 v79, v79, v80, s[24:25]
	v_cndmask_b32_e64 v77, v77, v78, s[22:23]
	v_cndmask_b32_e64 v72, v87, v88, s[16:17]
	s_barrier
	ds_write2_b32 v61, v71, v73 offset1:1
	ds_write2_b32 v61, v75, v77 offset0:2 offset1:3
	ds_write2_b32 v61, v79, v81 offset0:4 offset1:5
	;; [unrolled: 1-line block ×3, first 2 shown]
	v_mov_b32_e32 v73, v33
	s_waitcnt lgkmcnt(0)
	s_barrier
	s_and_saveexec_b64 s[18:19], s[6:7]
	s_cbranch_execz .LBB38_134
; %bb.131:                              ;   in Loop: Header=BB38_2 Depth=1
	s_mov_b64 s[20:21], 0
	v_mov_b32_e32 v73, v33
	v_mov_b32_e32 v71, v34
.LBB38_132:                             ;   Parent Loop BB38_2 Depth=1
                                        ; =>  This Inner Loop Header: Depth=2
	v_sub_u32_e32 v72, v71, v73
	v_lshrrev_b32_e32 v72, 1, v72
	v_add_u32_e32 v72, v72, v73
	v_not_b32_e32 v75, v72
	v_lshl_add_u32 v74, v72, 2, v66
	v_lshl_add_u32 v75, v75, 2, v54
	ds_read_b32 v74, v74
	ds_read_b32 v75, v75
	v_add_u32_e32 v76, 1, v72
	s_waitcnt lgkmcnt(0)
	v_cmp_lt_i32_e64 s[16:17], v75, v74
	v_cndmask_b32_e64 v71, v71, v72, s[16:17]
	v_cndmask_b32_e64 v73, v76, v73, s[16:17]
	v_cmp_ge_i32_e64 s[16:17], v73, v71
	s_or_b64 s[20:21], s[16:17], s[20:21]
	s_andn2_b64 exec, exec, s[20:21]
	s_cbranch_execnz .LBB38_132
; %bb.133:                              ;   in Loop: Header=BB38_2 Depth=1
	s_or_b64 exec, exec, s[20:21]
.LBB38_134:                             ;   in Loop: Header=BB38_2 Depth=1
	s_or_b64 exec, exec, s[18:19]
	v_sub_u32_e32 v75, v53, v73
	v_lshl_add_u32 v74, v73, 2, v66
	v_lshlrev_b32_e32 v77, 2, v75
	ds_read_b32 v71, v74
	ds_read_b32 v72, v77
	v_add_u32_e32 v76, v73, v13
	v_cmp_le_i32_e64 s[18:19], v14, v76
	v_cmp_gt_i32_e64 s[16:17], v15, v75
                                        ; implicit-def: $vgpr73
	s_waitcnt lgkmcnt(0)
	v_cmp_lt_i32_e64 s[20:21], v72, v71
	s_or_b64 s[18:19], s[18:19], s[20:21]
	s_and_b64 s[16:17], s[16:17], s[18:19]
	s_xor_b64 s[18:19], s[16:17], -1
	s_and_saveexec_b64 s[20:21], s[18:19]
	s_xor_b64 s[18:19], exec, s[20:21]
; %bb.135:                              ;   in Loop: Header=BB38_2 Depth=1
	ds_read_b32 v73, v74 offset:4
                                        ; implicit-def: $vgpr77
; %bb.136:                              ;   in Loop: Header=BB38_2 Depth=1
	s_or_saveexec_b64 s[18:19], s[18:19]
	v_mov_b32_e32 v74, v72
	s_xor_b64 exec, exec, s[18:19]
	s_cbranch_execz .LBB38_138
; %bb.137:                              ;   in Loop: Header=BB38_2 Depth=1
	ds_read_b32 v74, v77 offset:4
	s_waitcnt lgkmcnt(1)
	v_mov_b32_e32 v73, v71
.LBB38_138:                             ;   in Loop: Header=BB38_2 Depth=1
	s_or_b64 exec, exec, s[18:19]
	v_add_u32_e32 v78, 1, v76
	v_add_u32_e32 v77, 1, v75
	v_cndmask_b32_e64 v78, v78, v76, s[16:17]
	v_cndmask_b32_e64 v77, v75, v77, s[16:17]
	v_cmp_ge_i32_e64 s[20:21], v78, v14
	s_waitcnt lgkmcnt(0)
	v_cmp_lt_i32_e64 s[22:23], v74, v73
	v_cmp_lt_i32_e64 s[18:19], v77, v15
	s_or_b64 s[20:21], s[20:21], s[22:23]
	s_and_b64 s[18:19], s[18:19], s[20:21]
	s_xor_b64 s[20:21], s[18:19], -1
                                        ; implicit-def: $vgpr75
	s_and_saveexec_b64 s[22:23], s[20:21]
	s_xor_b64 s[20:21], exec, s[22:23]
; %bb.139:                              ;   in Loop: Header=BB38_2 Depth=1
	v_lshlrev_b32_e32 v75, 2, v78
	ds_read_b32 v75, v75 offset:4
; %bb.140:                              ;   in Loop: Header=BB38_2 Depth=1
	s_or_saveexec_b64 s[20:21], s[20:21]
	v_mov_b32_e32 v76, v74
	s_xor_b64 exec, exec, s[20:21]
	s_cbranch_execz .LBB38_142
; %bb.141:                              ;   in Loop: Header=BB38_2 Depth=1
	s_waitcnt lgkmcnt(0)
	v_lshlrev_b32_e32 v75, 2, v77
	ds_read_b32 v76, v75 offset:4
	v_mov_b32_e32 v75, v73
.LBB38_142:                             ;   in Loop: Header=BB38_2 Depth=1
	s_or_b64 exec, exec, s[20:21]
	v_add_u32_e32 v80, 1, v78
	v_add_u32_e32 v79, 1, v77
	v_cndmask_b32_e64 v80, v80, v78, s[18:19]
	v_cndmask_b32_e64 v79, v77, v79, s[18:19]
	v_cmp_ge_i32_e64 s[22:23], v80, v14
	s_waitcnt lgkmcnt(0)
	v_cmp_lt_i32_e64 s[24:25], v76, v75
	v_cmp_lt_i32_e64 s[20:21], v79, v15
	s_or_b64 s[22:23], s[22:23], s[24:25]
	s_and_b64 s[20:21], s[20:21], s[22:23]
	s_xor_b64 s[22:23], s[20:21], -1
                                        ; implicit-def: $vgpr77
	s_and_saveexec_b64 s[24:25], s[22:23]
	s_xor_b64 s[22:23], exec, s[24:25]
; %bb.143:                              ;   in Loop: Header=BB38_2 Depth=1
	v_lshlrev_b32_e32 v77, 2, v80
	ds_read_b32 v77, v77 offset:4
; %bb.144:                              ;   in Loop: Header=BB38_2 Depth=1
	s_or_saveexec_b64 s[22:23], s[22:23]
	v_mov_b32_e32 v78, v76
	s_xor_b64 exec, exec, s[22:23]
	s_cbranch_execz .LBB38_146
; %bb.145:                              ;   in Loop: Header=BB38_2 Depth=1
	s_waitcnt lgkmcnt(0)
	v_lshlrev_b32_e32 v77, 2, v79
	ds_read_b32 v78, v77 offset:4
	v_mov_b32_e32 v77, v75
.LBB38_146:                             ;   in Loop: Header=BB38_2 Depth=1
	s_or_b64 exec, exec, s[22:23]
	v_add_u32_e32 v82, 1, v80
	v_add_u32_e32 v81, 1, v79
	v_cndmask_b32_e64 v82, v82, v80, s[20:21]
	v_cndmask_b32_e64 v81, v79, v81, s[20:21]
	v_cmp_ge_i32_e64 s[24:25], v82, v14
	s_waitcnt lgkmcnt(0)
	v_cmp_lt_i32_e64 s[26:27], v78, v77
	v_cmp_lt_i32_e64 s[22:23], v81, v15
	s_or_b64 s[24:25], s[24:25], s[26:27]
	s_and_b64 s[22:23], s[22:23], s[24:25]
	s_xor_b64 s[24:25], s[22:23], -1
                                        ; implicit-def: $vgpr79
	s_and_saveexec_b64 s[26:27], s[24:25]
	s_xor_b64 s[24:25], exec, s[26:27]
; %bb.147:                              ;   in Loop: Header=BB38_2 Depth=1
	v_lshlrev_b32_e32 v79, 2, v82
	ds_read_b32 v79, v79 offset:4
; %bb.148:                              ;   in Loop: Header=BB38_2 Depth=1
	s_or_saveexec_b64 s[24:25], s[24:25]
	v_mov_b32_e32 v80, v78
	s_xor_b64 exec, exec, s[24:25]
	s_cbranch_execz .LBB38_150
; %bb.149:                              ;   in Loop: Header=BB38_2 Depth=1
	s_waitcnt lgkmcnt(0)
	v_lshlrev_b32_e32 v79, 2, v81
	ds_read_b32 v80, v79 offset:4
	v_mov_b32_e32 v79, v77
.LBB38_150:                             ;   in Loop: Header=BB38_2 Depth=1
	s_or_b64 exec, exec, s[24:25]
	v_add_u32_e32 v84, 1, v82
	v_add_u32_e32 v83, 1, v81
	v_cndmask_b32_e64 v84, v84, v82, s[22:23]
	v_cndmask_b32_e64 v83, v81, v83, s[22:23]
	v_cmp_ge_i32_e64 s[26:27], v84, v14
	s_waitcnt lgkmcnt(0)
	v_cmp_lt_i32_e64 s[28:29], v80, v79
	v_cmp_lt_i32_e64 s[24:25], v83, v15
	s_or_b64 s[26:27], s[26:27], s[28:29]
	s_and_b64 s[24:25], s[24:25], s[26:27]
	s_xor_b64 s[26:27], s[24:25], -1
                                        ; implicit-def: $vgpr81
	s_and_saveexec_b64 s[28:29], s[26:27]
	s_xor_b64 s[26:27], exec, s[28:29]
; %bb.151:                              ;   in Loop: Header=BB38_2 Depth=1
	v_lshlrev_b32_e32 v81, 2, v84
	ds_read_b32 v81, v81 offset:4
; %bb.152:                              ;   in Loop: Header=BB38_2 Depth=1
	s_or_saveexec_b64 s[26:27], s[26:27]
	v_mov_b32_e32 v82, v80
	s_xor_b64 exec, exec, s[26:27]
	s_cbranch_execz .LBB38_154
; %bb.153:                              ;   in Loop: Header=BB38_2 Depth=1
	s_waitcnt lgkmcnt(0)
	v_lshlrev_b32_e32 v81, 2, v83
	ds_read_b32 v82, v81 offset:4
	v_mov_b32_e32 v81, v79
.LBB38_154:                             ;   in Loop: Header=BB38_2 Depth=1
	s_or_b64 exec, exec, s[26:27]
	v_add_u32_e32 v86, 1, v84
	v_add_u32_e32 v85, 1, v83
	v_cndmask_b32_e64 v86, v86, v84, s[24:25]
	v_cndmask_b32_e64 v85, v83, v85, s[24:25]
	v_cmp_ge_i32_e64 s[28:29], v86, v14
	s_waitcnt lgkmcnt(0)
	v_cmp_lt_i32_e64 s[30:31], v82, v81
	v_cmp_lt_i32_e64 s[26:27], v85, v15
	s_or_b64 s[28:29], s[28:29], s[30:31]
	s_and_b64 s[26:27], s[26:27], s[28:29]
	s_xor_b64 s[28:29], s[26:27], -1
                                        ; implicit-def: $vgpr83
	s_and_saveexec_b64 s[30:31], s[28:29]
	s_xor_b64 s[28:29], exec, s[30:31]
; %bb.155:                              ;   in Loop: Header=BB38_2 Depth=1
	v_lshlrev_b32_e32 v83, 2, v86
	ds_read_b32 v83, v83 offset:4
; %bb.156:                              ;   in Loop: Header=BB38_2 Depth=1
	s_or_saveexec_b64 s[28:29], s[28:29]
	v_mov_b32_e32 v84, v82
	s_xor_b64 exec, exec, s[28:29]
	s_cbranch_execz .LBB38_158
; %bb.157:                              ;   in Loop: Header=BB38_2 Depth=1
	s_waitcnt lgkmcnt(0)
	v_lshlrev_b32_e32 v83, 2, v85
	ds_read_b32 v84, v83 offset:4
	v_mov_b32_e32 v83, v81
.LBB38_158:                             ;   in Loop: Header=BB38_2 Depth=1
	s_or_b64 exec, exec, s[28:29]
	v_add_u32_e32 v88, 1, v86
	v_add_u32_e32 v87, 1, v85
	v_cndmask_b32_e64 v86, v88, v86, s[26:27]
	v_cndmask_b32_e64 v85, v85, v87, s[26:27]
	v_cmp_ge_i32_e64 s[30:31], v86, v14
	s_waitcnt lgkmcnt(0)
	v_cmp_lt_i32_e64 s[34:35], v84, v83
	v_cmp_lt_i32_e64 s[28:29], v85, v15
	s_or_b64 s[30:31], s[30:31], s[34:35]
	s_and_b64 s[28:29], s[28:29], s[30:31]
	s_xor_b64 s[30:31], s[28:29], -1
                                        ; implicit-def: $vgpr87
	s_and_saveexec_b64 s[34:35], s[30:31]
	s_xor_b64 s[30:31], exec, s[34:35]
; %bb.159:                              ;   in Loop: Header=BB38_2 Depth=1
	v_lshlrev_b32_e32 v87, 2, v86
	ds_read_b32 v87, v87 offset:4
; %bb.160:                              ;   in Loop: Header=BB38_2 Depth=1
	s_or_saveexec_b64 s[30:31], s[30:31]
	v_mov_b32_e32 v88, v84
	s_xor_b64 exec, exec, s[30:31]
	s_cbranch_execz .LBB38_162
; %bb.161:                              ;   in Loop: Header=BB38_2 Depth=1
	s_waitcnt lgkmcnt(0)
	v_lshlrev_b32_e32 v87, 2, v85
	ds_read_b32 v88, v87 offset:4
	v_mov_b32_e32 v87, v83
.LBB38_162:                             ;   in Loop: Header=BB38_2 Depth=1
	s_or_b64 exec, exec, s[30:31]
	v_cndmask_b32_e64 v83, v83, v84, s[28:29]
	v_add_u32_e32 v84, 1, v85
	v_add_u32_e32 v89, 1, v86
	v_cndmask_b32_e64 v84, v85, v84, s[28:29]
	v_cndmask_b32_e64 v85, v89, v86, s[28:29]
	;; [unrolled: 1-line block ×4, first 2 shown]
	v_cmp_ge_i32_e64 s[18:19], v85, v14
	s_waitcnt lgkmcnt(0)
	v_cmp_lt_i32_e64 s[20:21], v88, v87
	v_cndmask_b32_e64 v71, v71, v72, s[16:17]
	v_cmp_lt_i32_e64 s[16:17], v84, v15
	s_or_b64 s[18:19], s[18:19], s[20:21]
	s_and_b64 s[16:17], s[16:17], s[18:19]
	v_cndmask_b32_e64 v81, v81, v82, s[26:27]
	v_cndmask_b32_e64 v79, v79, v80, s[24:25]
	;; [unrolled: 1-line block ×4, first 2 shown]
	s_barrier
	ds_write2_b32 v61, v71, v73 offset1:1
	ds_write2_b32 v61, v75, v77 offset0:2 offset1:3
	ds_write2_b32 v61, v79, v81 offset0:4 offset1:5
	;; [unrolled: 1-line block ×3, first 2 shown]
	v_mov_b32_e32 v73, v35
	s_waitcnt lgkmcnt(0)
	s_barrier
	s_and_saveexec_b64 s[18:19], s[8:9]
	s_cbranch_execz .LBB38_166
; %bb.163:                              ;   in Loop: Header=BB38_2 Depth=1
	s_mov_b64 s[20:21], 0
	v_mov_b32_e32 v73, v35
	v_mov_b32_e32 v71, v36
.LBB38_164:                             ;   Parent Loop BB38_2 Depth=1
                                        ; =>  This Inner Loop Header: Depth=2
	v_sub_u32_e32 v72, v71, v73
	v_lshrrev_b32_e32 v72, 1, v72
	v_add_u32_e32 v72, v72, v73
	v_not_b32_e32 v75, v72
	v_lshl_add_u32 v74, v72, 2, v67
	v_lshl_add_u32 v75, v75, 2, v56
	ds_read_b32 v74, v74
	ds_read_b32 v75, v75
	v_add_u32_e32 v76, 1, v72
	s_waitcnt lgkmcnt(0)
	v_cmp_lt_i32_e64 s[16:17], v75, v74
	v_cndmask_b32_e64 v71, v71, v72, s[16:17]
	v_cndmask_b32_e64 v73, v76, v73, s[16:17]
	v_cmp_ge_i32_e64 s[16:17], v73, v71
	s_or_b64 s[20:21], s[16:17], s[20:21]
	s_andn2_b64 exec, exec, s[20:21]
	s_cbranch_execnz .LBB38_164
; %bb.165:                              ;   in Loop: Header=BB38_2 Depth=1
	s_or_b64 exec, exec, s[20:21]
.LBB38_166:                             ;   in Loop: Header=BB38_2 Depth=1
	s_or_b64 exec, exec, s[18:19]
	v_sub_u32_e32 v75, v55, v73
	v_lshl_add_u32 v74, v73, 2, v67
	v_lshlrev_b32_e32 v77, 2, v75
	ds_read_b32 v71, v74
	ds_read_b32 v72, v77
	v_add_u32_e32 v76, v73, v16
	v_cmp_le_i32_e64 s[18:19], v17, v76
	v_cmp_gt_i32_e64 s[16:17], v18, v75
                                        ; implicit-def: $vgpr73
	s_waitcnt lgkmcnt(0)
	v_cmp_lt_i32_e64 s[20:21], v72, v71
	s_or_b64 s[18:19], s[18:19], s[20:21]
	s_and_b64 s[16:17], s[16:17], s[18:19]
	s_xor_b64 s[18:19], s[16:17], -1
	s_and_saveexec_b64 s[20:21], s[18:19]
	s_xor_b64 s[18:19], exec, s[20:21]
; %bb.167:                              ;   in Loop: Header=BB38_2 Depth=1
	ds_read_b32 v73, v74 offset:4
                                        ; implicit-def: $vgpr77
; %bb.168:                              ;   in Loop: Header=BB38_2 Depth=1
	s_or_saveexec_b64 s[18:19], s[18:19]
	v_mov_b32_e32 v74, v72
	s_xor_b64 exec, exec, s[18:19]
	s_cbranch_execz .LBB38_170
; %bb.169:                              ;   in Loop: Header=BB38_2 Depth=1
	ds_read_b32 v74, v77 offset:4
	s_waitcnt lgkmcnt(1)
	v_mov_b32_e32 v73, v71
.LBB38_170:                             ;   in Loop: Header=BB38_2 Depth=1
	s_or_b64 exec, exec, s[18:19]
	v_add_u32_e32 v78, 1, v76
	v_add_u32_e32 v77, 1, v75
	v_cndmask_b32_e64 v78, v78, v76, s[16:17]
	v_cndmask_b32_e64 v77, v75, v77, s[16:17]
	v_cmp_ge_i32_e64 s[20:21], v78, v17
	s_waitcnt lgkmcnt(0)
	v_cmp_lt_i32_e64 s[22:23], v74, v73
	v_cmp_lt_i32_e64 s[18:19], v77, v18
	s_or_b64 s[20:21], s[20:21], s[22:23]
	s_and_b64 s[18:19], s[18:19], s[20:21]
	s_xor_b64 s[20:21], s[18:19], -1
                                        ; implicit-def: $vgpr75
	s_and_saveexec_b64 s[22:23], s[20:21]
	s_xor_b64 s[20:21], exec, s[22:23]
; %bb.171:                              ;   in Loop: Header=BB38_2 Depth=1
	v_lshlrev_b32_e32 v75, 2, v78
	ds_read_b32 v75, v75 offset:4
; %bb.172:                              ;   in Loop: Header=BB38_2 Depth=1
	s_or_saveexec_b64 s[20:21], s[20:21]
	v_mov_b32_e32 v76, v74
	s_xor_b64 exec, exec, s[20:21]
	s_cbranch_execz .LBB38_174
; %bb.173:                              ;   in Loop: Header=BB38_2 Depth=1
	s_waitcnt lgkmcnt(0)
	v_lshlrev_b32_e32 v75, 2, v77
	ds_read_b32 v76, v75 offset:4
	v_mov_b32_e32 v75, v73
.LBB38_174:                             ;   in Loop: Header=BB38_2 Depth=1
	s_or_b64 exec, exec, s[20:21]
	v_add_u32_e32 v80, 1, v78
	v_add_u32_e32 v79, 1, v77
	v_cndmask_b32_e64 v80, v80, v78, s[18:19]
	v_cndmask_b32_e64 v79, v77, v79, s[18:19]
	v_cmp_ge_i32_e64 s[22:23], v80, v17
	s_waitcnt lgkmcnt(0)
	v_cmp_lt_i32_e64 s[24:25], v76, v75
	v_cmp_lt_i32_e64 s[20:21], v79, v18
	s_or_b64 s[22:23], s[22:23], s[24:25]
	s_and_b64 s[20:21], s[20:21], s[22:23]
	s_xor_b64 s[22:23], s[20:21], -1
                                        ; implicit-def: $vgpr77
	s_and_saveexec_b64 s[24:25], s[22:23]
	s_xor_b64 s[22:23], exec, s[24:25]
; %bb.175:                              ;   in Loop: Header=BB38_2 Depth=1
	v_lshlrev_b32_e32 v77, 2, v80
	ds_read_b32 v77, v77 offset:4
; %bb.176:                              ;   in Loop: Header=BB38_2 Depth=1
	s_or_saveexec_b64 s[22:23], s[22:23]
	v_mov_b32_e32 v78, v76
	s_xor_b64 exec, exec, s[22:23]
	s_cbranch_execz .LBB38_178
; %bb.177:                              ;   in Loop: Header=BB38_2 Depth=1
	s_waitcnt lgkmcnt(0)
	v_lshlrev_b32_e32 v77, 2, v79
	ds_read_b32 v78, v77 offset:4
	v_mov_b32_e32 v77, v75
.LBB38_178:                             ;   in Loop: Header=BB38_2 Depth=1
	s_or_b64 exec, exec, s[22:23]
	v_add_u32_e32 v82, 1, v80
	v_add_u32_e32 v81, 1, v79
	v_cndmask_b32_e64 v82, v82, v80, s[20:21]
	v_cndmask_b32_e64 v81, v79, v81, s[20:21]
	v_cmp_ge_i32_e64 s[24:25], v82, v17
	s_waitcnt lgkmcnt(0)
	v_cmp_lt_i32_e64 s[26:27], v78, v77
	v_cmp_lt_i32_e64 s[22:23], v81, v18
	s_or_b64 s[24:25], s[24:25], s[26:27]
	s_and_b64 s[22:23], s[22:23], s[24:25]
	s_xor_b64 s[24:25], s[22:23], -1
                                        ; implicit-def: $vgpr79
	s_and_saveexec_b64 s[26:27], s[24:25]
	s_xor_b64 s[24:25], exec, s[26:27]
; %bb.179:                              ;   in Loop: Header=BB38_2 Depth=1
	v_lshlrev_b32_e32 v79, 2, v82
	ds_read_b32 v79, v79 offset:4
; %bb.180:                              ;   in Loop: Header=BB38_2 Depth=1
	s_or_saveexec_b64 s[24:25], s[24:25]
	v_mov_b32_e32 v80, v78
	s_xor_b64 exec, exec, s[24:25]
	s_cbranch_execz .LBB38_182
; %bb.181:                              ;   in Loop: Header=BB38_2 Depth=1
	s_waitcnt lgkmcnt(0)
	v_lshlrev_b32_e32 v79, 2, v81
	ds_read_b32 v80, v79 offset:4
	v_mov_b32_e32 v79, v77
.LBB38_182:                             ;   in Loop: Header=BB38_2 Depth=1
	s_or_b64 exec, exec, s[24:25]
	v_add_u32_e32 v84, 1, v82
	v_add_u32_e32 v83, 1, v81
	v_cndmask_b32_e64 v84, v84, v82, s[22:23]
	v_cndmask_b32_e64 v83, v81, v83, s[22:23]
	v_cmp_ge_i32_e64 s[26:27], v84, v17
	s_waitcnt lgkmcnt(0)
	v_cmp_lt_i32_e64 s[28:29], v80, v79
	v_cmp_lt_i32_e64 s[24:25], v83, v18
	s_or_b64 s[26:27], s[26:27], s[28:29]
	s_and_b64 s[24:25], s[24:25], s[26:27]
	s_xor_b64 s[26:27], s[24:25], -1
                                        ; implicit-def: $vgpr81
	s_and_saveexec_b64 s[28:29], s[26:27]
	s_xor_b64 s[26:27], exec, s[28:29]
; %bb.183:                              ;   in Loop: Header=BB38_2 Depth=1
	v_lshlrev_b32_e32 v81, 2, v84
	ds_read_b32 v81, v81 offset:4
; %bb.184:                              ;   in Loop: Header=BB38_2 Depth=1
	s_or_saveexec_b64 s[26:27], s[26:27]
	v_mov_b32_e32 v82, v80
	s_xor_b64 exec, exec, s[26:27]
	s_cbranch_execz .LBB38_186
; %bb.185:                              ;   in Loop: Header=BB38_2 Depth=1
	s_waitcnt lgkmcnt(0)
	v_lshlrev_b32_e32 v81, 2, v83
	ds_read_b32 v82, v81 offset:4
	v_mov_b32_e32 v81, v79
.LBB38_186:                             ;   in Loop: Header=BB38_2 Depth=1
	s_or_b64 exec, exec, s[26:27]
	v_add_u32_e32 v86, 1, v84
	v_add_u32_e32 v85, 1, v83
	v_cndmask_b32_e64 v86, v86, v84, s[24:25]
	v_cndmask_b32_e64 v85, v83, v85, s[24:25]
	v_cmp_ge_i32_e64 s[28:29], v86, v17
	s_waitcnt lgkmcnt(0)
	v_cmp_lt_i32_e64 s[30:31], v82, v81
	v_cmp_lt_i32_e64 s[26:27], v85, v18
	s_or_b64 s[28:29], s[28:29], s[30:31]
	s_and_b64 s[26:27], s[26:27], s[28:29]
	s_xor_b64 s[28:29], s[26:27], -1
                                        ; implicit-def: $vgpr83
	s_and_saveexec_b64 s[30:31], s[28:29]
	s_xor_b64 s[28:29], exec, s[30:31]
; %bb.187:                              ;   in Loop: Header=BB38_2 Depth=1
	v_lshlrev_b32_e32 v83, 2, v86
	ds_read_b32 v83, v83 offset:4
; %bb.188:                              ;   in Loop: Header=BB38_2 Depth=1
	s_or_saveexec_b64 s[28:29], s[28:29]
	v_mov_b32_e32 v84, v82
	s_xor_b64 exec, exec, s[28:29]
	s_cbranch_execz .LBB38_190
; %bb.189:                              ;   in Loop: Header=BB38_2 Depth=1
	s_waitcnt lgkmcnt(0)
	v_lshlrev_b32_e32 v83, 2, v85
	ds_read_b32 v84, v83 offset:4
	v_mov_b32_e32 v83, v81
.LBB38_190:                             ;   in Loop: Header=BB38_2 Depth=1
	s_or_b64 exec, exec, s[28:29]
	v_add_u32_e32 v88, 1, v86
	v_add_u32_e32 v87, 1, v85
	v_cndmask_b32_e64 v86, v88, v86, s[26:27]
	v_cndmask_b32_e64 v85, v85, v87, s[26:27]
	v_cmp_ge_i32_e64 s[30:31], v86, v17
	s_waitcnt lgkmcnt(0)
	v_cmp_lt_i32_e64 s[34:35], v84, v83
	v_cmp_lt_i32_e64 s[28:29], v85, v18
	s_or_b64 s[30:31], s[30:31], s[34:35]
	s_and_b64 s[28:29], s[28:29], s[30:31]
	s_xor_b64 s[30:31], s[28:29], -1
                                        ; implicit-def: $vgpr87
	s_and_saveexec_b64 s[34:35], s[30:31]
	s_xor_b64 s[30:31], exec, s[34:35]
; %bb.191:                              ;   in Loop: Header=BB38_2 Depth=1
	v_lshlrev_b32_e32 v87, 2, v86
	ds_read_b32 v87, v87 offset:4
; %bb.192:                              ;   in Loop: Header=BB38_2 Depth=1
	s_or_saveexec_b64 s[30:31], s[30:31]
	v_mov_b32_e32 v88, v84
	s_xor_b64 exec, exec, s[30:31]
	s_cbranch_execz .LBB38_194
; %bb.193:                              ;   in Loop: Header=BB38_2 Depth=1
	s_waitcnt lgkmcnt(0)
	v_lshlrev_b32_e32 v87, 2, v85
	ds_read_b32 v88, v87 offset:4
	v_mov_b32_e32 v87, v83
.LBB38_194:                             ;   in Loop: Header=BB38_2 Depth=1
	s_or_b64 exec, exec, s[30:31]
	v_cndmask_b32_e64 v83, v83, v84, s[28:29]
	v_add_u32_e32 v84, 1, v85
	v_add_u32_e32 v89, 1, v86
	v_cndmask_b32_e64 v84, v85, v84, s[28:29]
	v_cndmask_b32_e64 v85, v89, v86, s[28:29]
	;; [unrolled: 1-line block ×4, first 2 shown]
	v_cmp_ge_i32_e64 s[18:19], v85, v17
	s_waitcnt lgkmcnt(0)
	v_cmp_lt_i32_e64 s[20:21], v88, v87
	v_cndmask_b32_e64 v71, v71, v72, s[16:17]
	v_cmp_lt_i32_e64 s[16:17], v84, v18
	s_or_b64 s[18:19], s[18:19], s[20:21]
	s_and_b64 s[16:17], s[16:17], s[18:19]
	v_cndmask_b32_e64 v81, v81, v82, s[26:27]
	v_cndmask_b32_e64 v79, v79, v80, s[24:25]
	v_cndmask_b32_e64 v77, v77, v78, s[22:23]
	v_cndmask_b32_e64 v72, v87, v88, s[16:17]
	s_barrier
	ds_write2_b32 v61, v71, v73 offset1:1
	ds_write2_b32 v61, v75, v77 offset0:2 offset1:3
	ds_write2_b32 v61, v79, v81 offset0:4 offset1:5
	ds_write2_b32 v61, v83, v72 offset0:6 offset1:7
	v_mov_b32_e32 v73, v37
	s_waitcnt lgkmcnt(0)
	s_barrier
	s_and_saveexec_b64 s[18:19], s[10:11]
	s_cbranch_execz .LBB38_198
; %bb.195:                              ;   in Loop: Header=BB38_2 Depth=1
	s_mov_b64 s[20:21], 0
	v_mov_b32_e32 v73, v37
	v_mov_b32_e32 v71, v38
.LBB38_196:                             ;   Parent Loop BB38_2 Depth=1
                                        ; =>  This Inner Loop Header: Depth=2
	v_sub_u32_e32 v72, v71, v73
	v_lshrrev_b32_e32 v72, 1, v72
	v_add_u32_e32 v72, v72, v73
	v_not_b32_e32 v75, v72
	v_lshl_add_u32 v74, v72, 2, v68
	v_lshl_add_u32 v75, v75, 2, v58
	ds_read_b32 v74, v74
	ds_read_b32 v75, v75
	v_add_u32_e32 v76, 1, v72
	s_waitcnt lgkmcnt(0)
	v_cmp_lt_i32_e64 s[16:17], v75, v74
	v_cndmask_b32_e64 v71, v71, v72, s[16:17]
	v_cndmask_b32_e64 v73, v76, v73, s[16:17]
	v_cmp_ge_i32_e64 s[16:17], v73, v71
	s_or_b64 s[20:21], s[16:17], s[20:21]
	s_andn2_b64 exec, exec, s[20:21]
	s_cbranch_execnz .LBB38_196
; %bb.197:                              ;   in Loop: Header=BB38_2 Depth=1
	s_or_b64 exec, exec, s[20:21]
.LBB38_198:                             ;   in Loop: Header=BB38_2 Depth=1
	s_or_b64 exec, exec, s[18:19]
	v_sub_u32_e32 v75, v57, v73
	v_lshl_add_u32 v74, v73, 2, v68
	v_lshlrev_b32_e32 v77, 2, v75
	ds_read_b32 v71, v74
	ds_read_b32 v72, v77
	v_add_u32_e32 v76, v73, v19
	v_cmp_le_i32_e64 s[18:19], v20, v76
	v_cmp_gt_i32_e64 s[16:17], v21, v75
                                        ; implicit-def: $vgpr73
	s_waitcnt lgkmcnt(0)
	v_cmp_lt_i32_e64 s[20:21], v72, v71
	s_or_b64 s[18:19], s[18:19], s[20:21]
	s_and_b64 s[16:17], s[16:17], s[18:19]
	s_xor_b64 s[18:19], s[16:17], -1
	s_and_saveexec_b64 s[20:21], s[18:19]
	s_xor_b64 s[18:19], exec, s[20:21]
; %bb.199:                              ;   in Loop: Header=BB38_2 Depth=1
	ds_read_b32 v73, v74 offset:4
                                        ; implicit-def: $vgpr77
; %bb.200:                              ;   in Loop: Header=BB38_2 Depth=1
	s_or_saveexec_b64 s[18:19], s[18:19]
	v_mov_b32_e32 v74, v72
	s_xor_b64 exec, exec, s[18:19]
	s_cbranch_execz .LBB38_202
; %bb.201:                              ;   in Loop: Header=BB38_2 Depth=1
	ds_read_b32 v74, v77 offset:4
	s_waitcnt lgkmcnt(1)
	v_mov_b32_e32 v73, v71
.LBB38_202:                             ;   in Loop: Header=BB38_2 Depth=1
	s_or_b64 exec, exec, s[18:19]
	v_add_u32_e32 v78, 1, v76
	v_add_u32_e32 v77, 1, v75
	v_cndmask_b32_e64 v78, v78, v76, s[16:17]
	v_cndmask_b32_e64 v77, v75, v77, s[16:17]
	v_cmp_ge_i32_e64 s[20:21], v78, v20
	s_waitcnt lgkmcnt(0)
	v_cmp_lt_i32_e64 s[22:23], v74, v73
	v_cmp_lt_i32_e64 s[18:19], v77, v21
	s_or_b64 s[20:21], s[20:21], s[22:23]
	s_and_b64 s[18:19], s[18:19], s[20:21]
	s_xor_b64 s[20:21], s[18:19], -1
                                        ; implicit-def: $vgpr75
	s_and_saveexec_b64 s[22:23], s[20:21]
	s_xor_b64 s[20:21], exec, s[22:23]
; %bb.203:                              ;   in Loop: Header=BB38_2 Depth=1
	v_lshlrev_b32_e32 v75, 2, v78
	ds_read_b32 v75, v75 offset:4
; %bb.204:                              ;   in Loop: Header=BB38_2 Depth=1
	s_or_saveexec_b64 s[20:21], s[20:21]
	v_mov_b32_e32 v76, v74
	s_xor_b64 exec, exec, s[20:21]
	s_cbranch_execz .LBB38_206
; %bb.205:                              ;   in Loop: Header=BB38_2 Depth=1
	s_waitcnt lgkmcnt(0)
	v_lshlrev_b32_e32 v75, 2, v77
	ds_read_b32 v76, v75 offset:4
	v_mov_b32_e32 v75, v73
.LBB38_206:                             ;   in Loop: Header=BB38_2 Depth=1
	s_or_b64 exec, exec, s[20:21]
	v_add_u32_e32 v80, 1, v78
	v_add_u32_e32 v79, 1, v77
	v_cndmask_b32_e64 v80, v80, v78, s[18:19]
	v_cndmask_b32_e64 v79, v77, v79, s[18:19]
	v_cmp_ge_i32_e64 s[22:23], v80, v20
	s_waitcnt lgkmcnt(0)
	v_cmp_lt_i32_e64 s[24:25], v76, v75
	v_cmp_lt_i32_e64 s[20:21], v79, v21
	s_or_b64 s[22:23], s[22:23], s[24:25]
	s_and_b64 s[20:21], s[20:21], s[22:23]
	s_xor_b64 s[22:23], s[20:21], -1
                                        ; implicit-def: $vgpr77
	s_and_saveexec_b64 s[24:25], s[22:23]
	s_xor_b64 s[22:23], exec, s[24:25]
; %bb.207:                              ;   in Loop: Header=BB38_2 Depth=1
	v_lshlrev_b32_e32 v77, 2, v80
	ds_read_b32 v77, v77 offset:4
; %bb.208:                              ;   in Loop: Header=BB38_2 Depth=1
	s_or_saveexec_b64 s[22:23], s[22:23]
	v_mov_b32_e32 v78, v76
	s_xor_b64 exec, exec, s[22:23]
	s_cbranch_execz .LBB38_210
; %bb.209:                              ;   in Loop: Header=BB38_2 Depth=1
	s_waitcnt lgkmcnt(0)
	v_lshlrev_b32_e32 v77, 2, v79
	ds_read_b32 v78, v77 offset:4
	v_mov_b32_e32 v77, v75
.LBB38_210:                             ;   in Loop: Header=BB38_2 Depth=1
	s_or_b64 exec, exec, s[22:23]
	v_add_u32_e32 v82, 1, v80
	v_add_u32_e32 v81, 1, v79
	v_cndmask_b32_e64 v82, v82, v80, s[20:21]
	v_cndmask_b32_e64 v81, v79, v81, s[20:21]
	v_cmp_ge_i32_e64 s[24:25], v82, v20
	s_waitcnt lgkmcnt(0)
	v_cmp_lt_i32_e64 s[26:27], v78, v77
	v_cmp_lt_i32_e64 s[22:23], v81, v21
	s_or_b64 s[24:25], s[24:25], s[26:27]
	s_and_b64 s[22:23], s[22:23], s[24:25]
	s_xor_b64 s[24:25], s[22:23], -1
                                        ; implicit-def: $vgpr79
	s_and_saveexec_b64 s[26:27], s[24:25]
	s_xor_b64 s[24:25], exec, s[26:27]
; %bb.211:                              ;   in Loop: Header=BB38_2 Depth=1
	v_lshlrev_b32_e32 v79, 2, v82
	ds_read_b32 v79, v79 offset:4
; %bb.212:                              ;   in Loop: Header=BB38_2 Depth=1
	s_or_saveexec_b64 s[24:25], s[24:25]
	v_mov_b32_e32 v80, v78
	s_xor_b64 exec, exec, s[24:25]
	s_cbranch_execz .LBB38_214
; %bb.213:                              ;   in Loop: Header=BB38_2 Depth=1
	s_waitcnt lgkmcnt(0)
	v_lshlrev_b32_e32 v79, 2, v81
	ds_read_b32 v80, v79 offset:4
	v_mov_b32_e32 v79, v77
.LBB38_214:                             ;   in Loop: Header=BB38_2 Depth=1
	s_or_b64 exec, exec, s[24:25]
	v_add_u32_e32 v84, 1, v82
	v_add_u32_e32 v83, 1, v81
	v_cndmask_b32_e64 v84, v84, v82, s[22:23]
	v_cndmask_b32_e64 v83, v81, v83, s[22:23]
	v_cmp_ge_i32_e64 s[26:27], v84, v20
	s_waitcnt lgkmcnt(0)
	v_cmp_lt_i32_e64 s[28:29], v80, v79
	v_cmp_lt_i32_e64 s[24:25], v83, v21
	s_or_b64 s[26:27], s[26:27], s[28:29]
	s_and_b64 s[24:25], s[24:25], s[26:27]
	s_xor_b64 s[26:27], s[24:25], -1
                                        ; implicit-def: $vgpr81
	s_and_saveexec_b64 s[28:29], s[26:27]
	s_xor_b64 s[26:27], exec, s[28:29]
; %bb.215:                              ;   in Loop: Header=BB38_2 Depth=1
	v_lshlrev_b32_e32 v81, 2, v84
	ds_read_b32 v81, v81 offset:4
; %bb.216:                              ;   in Loop: Header=BB38_2 Depth=1
	s_or_saveexec_b64 s[26:27], s[26:27]
	v_mov_b32_e32 v82, v80
	s_xor_b64 exec, exec, s[26:27]
	s_cbranch_execz .LBB38_218
; %bb.217:                              ;   in Loop: Header=BB38_2 Depth=1
	s_waitcnt lgkmcnt(0)
	v_lshlrev_b32_e32 v81, 2, v83
	ds_read_b32 v82, v81 offset:4
	v_mov_b32_e32 v81, v79
.LBB38_218:                             ;   in Loop: Header=BB38_2 Depth=1
	s_or_b64 exec, exec, s[26:27]
	v_add_u32_e32 v86, 1, v84
	v_add_u32_e32 v85, 1, v83
	v_cndmask_b32_e64 v86, v86, v84, s[24:25]
	v_cndmask_b32_e64 v85, v83, v85, s[24:25]
	v_cmp_ge_i32_e64 s[28:29], v86, v20
	s_waitcnt lgkmcnt(0)
	v_cmp_lt_i32_e64 s[30:31], v82, v81
	v_cmp_lt_i32_e64 s[26:27], v85, v21
	s_or_b64 s[28:29], s[28:29], s[30:31]
	s_and_b64 s[26:27], s[26:27], s[28:29]
	s_xor_b64 s[28:29], s[26:27], -1
                                        ; implicit-def: $vgpr83
	s_and_saveexec_b64 s[30:31], s[28:29]
	s_xor_b64 s[28:29], exec, s[30:31]
; %bb.219:                              ;   in Loop: Header=BB38_2 Depth=1
	v_lshlrev_b32_e32 v83, 2, v86
	ds_read_b32 v83, v83 offset:4
; %bb.220:                              ;   in Loop: Header=BB38_2 Depth=1
	s_or_saveexec_b64 s[28:29], s[28:29]
	v_mov_b32_e32 v84, v82
	s_xor_b64 exec, exec, s[28:29]
	s_cbranch_execz .LBB38_222
; %bb.221:                              ;   in Loop: Header=BB38_2 Depth=1
	s_waitcnt lgkmcnt(0)
	v_lshlrev_b32_e32 v83, 2, v85
	ds_read_b32 v84, v83 offset:4
	v_mov_b32_e32 v83, v81
.LBB38_222:                             ;   in Loop: Header=BB38_2 Depth=1
	s_or_b64 exec, exec, s[28:29]
	v_add_u32_e32 v88, 1, v86
	v_add_u32_e32 v87, 1, v85
	v_cndmask_b32_e64 v86, v88, v86, s[26:27]
	v_cndmask_b32_e64 v85, v85, v87, s[26:27]
	v_cmp_ge_i32_e64 s[30:31], v86, v20
	s_waitcnt lgkmcnt(0)
	v_cmp_lt_i32_e64 s[34:35], v84, v83
	v_cmp_lt_i32_e64 s[28:29], v85, v21
	s_or_b64 s[30:31], s[30:31], s[34:35]
	s_and_b64 s[28:29], s[28:29], s[30:31]
	s_xor_b64 s[30:31], s[28:29], -1
                                        ; implicit-def: $vgpr87
	s_and_saveexec_b64 s[34:35], s[30:31]
	s_xor_b64 s[30:31], exec, s[34:35]
; %bb.223:                              ;   in Loop: Header=BB38_2 Depth=1
	v_lshlrev_b32_e32 v87, 2, v86
	ds_read_b32 v87, v87 offset:4
; %bb.224:                              ;   in Loop: Header=BB38_2 Depth=1
	s_or_saveexec_b64 s[30:31], s[30:31]
	v_mov_b32_e32 v88, v84
	s_xor_b64 exec, exec, s[30:31]
	s_cbranch_execz .LBB38_226
; %bb.225:                              ;   in Loop: Header=BB38_2 Depth=1
	s_waitcnt lgkmcnt(0)
	v_lshlrev_b32_e32 v87, 2, v85
	ds_read_b32 v88, v87 offset:4
	v_mov_b32_e32 v87, v83
.LBB38_226:                             ;   in Loop: Header=BB38_2 Depth=1
	s_or_b64 exec, exec, s[30:31]
	v_cndmask_b32_e64 v83, v83, v84, s[28:29]
	v_add_u32_e32 v84, 1, v85
	v_add_u32_e32 v89, 1, v86
	v_cndmask_b32_e64 v84, v85, v84, s[28:29]
	v_cndmask_b32_e64 v85, v89, v86, s[28:29]
	;; [unrolled: 1-line block ×4, first 2 shown]
	v_cmp_ge_i32_e64 s[18:19], v85, v20
	s_waitcnt lgkmcnt(0)
	v_cmp_lt_i32_e64 s[20:21], v88, v87
	v_cndmask_b32_e64 v71, v71, v72, s[16:17]
	v_cmp_lt_i32_e64 s[16:17], v84, v21
	s_or_b64 s[18:19], s[18:19], s[20:21]
	s_and_b64 s[16:17], s[16:17], s[18:19]
	v_cndmask_b32_e64 v81, v81, v82, s[26:27]
	v_cndmask_b32_e64 v79, v79, v80, s[24:25]
	;; [unrolled: 1-line block ×4, first 2 shown]
	s_barrier
	ds_write2_b32 v61, v71, v73 offset1:1
	ds_write2_b32 v61, v75, v77 offset0:2 offset1:3
	ds_write2_b32 v61, v79, v81 offset0:4 offset1:5
	;; [unrolled: 1-line block ×3, first 2 shown]
	v_mov_b32_e32 v73, v39
	s_waitcnt lgkmcnt(0)
	s_barrier
	s_and_saveexec_b64 s[18:19], s[12:13]
	s_cbranch_execz .LBB38_230
; %bb.227:                              ;   in Loop: Header=BB38_2 Depth=1
	s_mov_b64 s[20:21], 0
	v_mov_b32_e32 v73, v39
	v_mov_b32_e32 v71, v40
.LBB38_228:                             ;   Parent Loop BB38_2 Depth=1
                                        ; =>  This Inner Loop Header: Depth=2
	v_sub_u32_e32 v72, v71, v73
	v_lshrrev_b32_e32 v72, 1, v72
	v_add_u32_e32 v72, v72, v73
	v_not_b32_e32 v75, v72
	v_lshl_add_u32 v74, v72, 2, v69
	v_lshl_add_u32 v75, v75, 2, v60
	ds_read_b32 v74, v74
	ds_read_b32 v75, v75
	v_add_u32_e32 v76, 1, v72
	s_waitcnt lgkmcnt(0)
	v_cmp_lt_i32_e64 s[16:17], v75, v74
	v_cndmask_b32_e64 v71, v71, v72, s[16:17]
	v_cndmask_b32_e64 v73, v76, v73, s[16:17]
	v_cmp_ge_i32_e64 s[16:17], v73, v71
	s_or_b64 s[20:21], s[16:17], s[20:21]
	s_andn2_b64 exec, exec, s[20:21]
	s_cbranch_execnz .LBB38_228
; %bb.229:                              ;   in Loop: Header=BB38_2 Depth=1
	s_or_b64 exec, exec, s[20:21]
.LBB38_230:                             ;   in Loop: Header=BB38_2 Depth=1
	s_or_b64 exec, exec, s[18:19]
	v_sub_u32_e32 v75, v59, v73
	v_lshl_add_u32 v74, v73, 2, v69
	v_lshlrev_b32_e32 v77, 2, v75
	ds_read_b32 v71, v74
	ds_read_b32 v72, v77
	v_add_u32_e32 v76, v73, v22
	v_cmp_le_i32_e64 s[18:19], v23, v76
	v_cmp_gt_i32_e64 s[16:17], v24, v75
                                        ; implicit-def: $vgpr73
	s_waitcnt lgkmcnt(0)
	v_cmp_lt_i32_e64 s[20:21], v72, v71
	s_or_b64 s[18:19], s[18:19], s[20:21]
	s_and_b64 s[16:17], s[16:17], s[18:19]
	s_xor_b64 s[18:19], s[16:17], -1
	s_and_saveexec_b64 s[20:21], s[18:19]
	s_xor_b64 s[18:19], exec, s[20:21]
; %bb.231:                              ;   in Loop: Header=BB38_2 Depth=1
	ds_read_b32 v73, v74 offset:4
                                        ; implicit-def: $vgpr77
; %bb.232:                              ;   in Loop: Header=BB38_2 Depth=1
	s_or_saveexec_b64 s[18:19], s[18:19]
	v_mov_b32_e32 v74, v72
	s_xor_b64 exec, exec, s[18:19]
	s_cbranch_execz .LBB38_234
; %bb.233:                              ;   in Loop: Header=BB38_2 Depth=1
	ds_read_b32 v74, v77 offset:4
	s_waitcnt lgkmcnt(1)
	v_mov_b32_e32 v73, v71
.LBB38_234:                             ;   in Loop: Header=BB38_2 Depth=1
	s_or_b64 exec, exec, s[18:19]
	v_add_u32_e32 v78, 1, v76
	v_add_u32_e32 v77, 1, v75
	v_cndmask_b32_e64 v78, v78, v76, s[16:17]
	v_cndmask_b32_e64 v77, v75, v77, s[16:17]
	v_cmp_ge_i32_e64 s[20:21], v78, v23
	s_waitcnt lgkmcnt(0)
	v_cmp_lt_i32_e64 s[22:23], v74, v73
	v_cmp_lt_i32_e64 s[18:19], v77, v24
	s_or_b64 s[20:21], s[20:21], s[22:23]
	s_and_b64 s[18:19], s[18:19], s[20:21]
	s_xor_b64 s[20:21], s[18:19], -1
                                        ; implicit-def: $vgpr75
	s_and_saveexec_b64 s[22:23], s[20:21]
	s_xor_b64 s[20:21], exec, s[22:23]
; %bb.235:                              ;   in Loop: Header=BB38_2 Depth=1
	v_lshlrev_b32_e32 v75, 2, v78
	ds_read_b32 v75, v75 offset:4
; %bb.236:                              ;   in Loop: Header=BB38_2 Depth=1
	s_or_saveexec_b64 s[20:21], s[20:21]
	v_mov_b32_e32 v76, v74
	s_xor_b64 exec, exec, s[20:21]
	s_cbranch_execz .LBB38_238
; %bb.237:                              ;   in Loop: Header=BB38_2 Depth=1
	s_waitcnt lgkmcnt(0)
	v_lshlrev_b32_e32 v75, 2, v77
	ds_read_b32 v76, v75 offset:4
	v_mov_b32_e32 v75, v73
.LBB38_238:                             ;   in Loop: Header=BB38_2 Depth=1
	s_or_b64 exec, exec, s[20:21]
	v_add_u32_e32 v80, 1, v78
	v_add_u32_e32 v79, 1, v77
	v_cndmask_b32_e64 v80, v80, v78, s[18:19]
	v_cndmask_b32_e64 v79, v77, v79, s[18:19]
	v_cmp_ge_i32_e64 s[22:23], v80, v23
	s_waitcnt lgkmcnt(0)
	v_cmp_lt_i32_e64 s[24:25], v76, v75
	v_cmp_lt_i32_e64 s[20:21], v79, v24
	s_or_b64 s[22:23], s[22:23], s[24:25]
	s_and_b64 s[20:21], s[20:21], s[22:23]
	s_xor_b64 s[22:23], s[20:21], -1
                                        ; implicit-def: $vgpr77
	s_and_saveexec_b64 s[24:25], s[22:23]
	s_xor_b64 s[22:23], exec, s[24:25]
; %bb.239:                              ;   in Loop: Header=BB38_2 Depth=1
	v_lshlrev_b32_e32 v77, 2, v80
	ds_read_b32 v77, v77 offset:4
; %bb.240:                              ;   in Loop: Header=BB38_2 Depth=1
	s_or_saveexec_b64 s[22:23], s[22:23]
	v_mov_b32_e32 v78, v76
	s_xor_b64 exec, exec, s[22:23]
	s_cbranch_execz .LBB38_242
; %bb.241:                              ;   in Loop: Header=BB38_2 Depth=1
	s_waitcnt lgkmcnt(0)
	v_lshlrev_b32_e32 v77, 2, v79
	ds_read_b32 v78, v77 offset:4
	v_mov_b32_e32 v77, v75
.LBB38_242:                             ;   in Loop: Header=BB38_2 Depth=1
	s_or_b64 exec, exec, s[22:23]
	v_add_u32_e32 v82, 1, v80
	v_add_u32_e32 v81, 1, v79
	v_cndmask_b32_e64 v82, v82, v80, s[20:21]
	v_cndmask_b32_e64 v81, v79, v81, s[20:21]
	v_cmp_ge_i32_e64 s[24:25], v82, v23
	s_waitcnt lgkmcnt(0)
	v_cmp_lt_i32_e64 s[26:27], v78, v77
	v_cmp_lt_i32_e64 s[22:23], v81, v24
	s_or_b64 s[24:25], s[24:25], s[26:27]
	s_and_b64 s[22:23], s[22:23], s[24:25]
	s_xor_b64 s[24:25], s[22:23], -1
                                        ; implicit-def: $vgpr79
	s_and_saveexec_b64 s[26:27], s[24:25]
	s_xor_b64 s[24:25], exec, s[26:27]
; %bb.243:                              ;   in Loop: Header=BB38_2 Depth=1
	v_lshlrev_b32_e32 v79, 2, v82
	ds_read_b32 v79, v79 offset:4
; %bb.244:                              ;   in Loop: Header=BB38_2 Depth=1
	s_or_saveexec_b64 s[24:25], s[24:25]
	v_mov_b32_e32 v80, v78
	s_xor_b64 exec, exec, s[24:25]
	s_cbranch_execz .LBB38_246
; %bb.245:                              ;   in Loop: Header=BB38_2 Depth=1
	s_waitcnt lgkmcnt(0)
	v_lshlrev_b32_e32 v79, 2, v81
	ds_read_b32 v80, v79 offset:4
	v_mov_b32_e32 v79, v77
.LBB38_246:                             ;   in Loop: Header=BB38_2 Depth=1
	s_or_b64 exec, exec, s[24:25]
	v_add_u32_e32 v84, 1, v82
	v_add_u32_e32 v83, 1, v81
	v_cndmask_b32_e64 v84, v84, v82, s[22:23]
	v_cndmask_b32_e64 v83, v81, v83, s[22:23]
	v_cmp_ge_i32_e64 s[26:27], v84, v23
	s_waitcnt lgkmcnt(0)
	v_cmp_lt_i32_e64 s[28:29], v80, v79
	v_cmp_lt_i32_e64 s[24:25], v83, v24
	s_or_b64 s[26:27], s[26:27], s[28:29]
	s_and_b64 s[24:25], s[24:25], s[26:27]
	s_xor_b64 s[26:27], s[24:25], -1
                                        ; implicit-def: $vgpr81
	s_and_saveexec_b64 s[28:29], s[26:27]
	s_xor_b64 s[26:27], exec, s[28:29]
; %bb.247:                              ;   in Loop: Header=BB38_2 Depth=1
	v_lshlrev_b32_e32 v81, 2, v84
	ds_read_b32 v81, v81 offset:4
; %bb.248:                              ;   in Loop: Header=BB38_2 Depth=1
	s_or_saveexec_b64 s[26:27], s[26:27]
	v_mov_b32_e32 v82, v80
	s_xor_b64 exec, exec, s[26:27]
	s_cbranch_execz .LBB38_250
; %bb.249:                              ;   in Loop: Header=BB38_2 Depth=1
	s_waitcnt lgkmcnt(0)
	v_lshlrev_b32_e32 v81, 2, v83
	ds_read_b32 v82, v81 offset:4
	v_mov_b32_e32 v81, v79
.LBB38_250:                             ;   in Loop: Header=BB38_2 Depth=1
	s_or_b64 exec, exec, s[26:27]
	v_add_u32_e32 v86, 1, v84
	v_add_u32_e32 v85, 1, v83
	v_cndmask_b32_e64 v86, v86, v84, s[24:25]
	v_cndmask_b32_e64 v85, v83, v85, s[24:25]
	v_cmp_ge_i32_e64 s[28:29], v86, v23
	s_waitcnt lgkmcnt(0)
	v_cmp_lt_i32_e64 s[30:31], v82, v81
	v_cmp_lt_i32_e64 s[26:27], v85, v24
	s_or_b64 s[28:29], s[28:29], s[30:31]
	s_and_b64 s[26:27], s[26:27], s[28:29]
	s_xor_b64 s[28:29], s[26:27], -1
                                        ; implicit-def: $vgpr83
	s_and_saveexec_b64 s[30:31], s[28:29]
	s_xor_b64 s[28:29], exec, s[30:31]
; %bb.251:                              ;   in Loop: Header=BB38_2 Depth=1
	v_lshlrev_b32_e32 v83, 2, v86
	ds_read_b32 v83, v83 offset:4
; %bb.252:                              ;   in Loop: Header=BB38_2 Depth=1
	s_or_saveexec_b64 s[28:29], s[28:29]
	v_mov_b32_e32 v84, v82
	s_xor_b64 exec, exec, s[28:29]
	s_cbranch_execz .LBB38_254
; %bb.253:                              ;   in Loop: Header=BB38_2 Depth=1
	s_waitcnt lgkmcnt(0)
	v_lshlrev_b32_e32 v83, 2, v85
	ds_read_b32 v84, v83 offset:4
	v_mov_b32_e32 v83, v81
.LBB38_254:                             ;   in Loop: Header=BB38_2 Depth=1
	s_or_b64 exec, exec, s[28:29]
	v_add_u32_e32 v88, 1, v86
	v_add_u32_e32 v87, 1, v85
	v_cndmask_b32_e64 v86, v88, v86, s[26:27]
	v_cndmask_b32_e64 v85, v85, v87, s[26:27]
	v_cmp_ge_i32_e64 s[30:31], v86, v23
	s_waitcnt lgkmcnt(0)
	v_cmp_lt_i32_e64 s[34:35], v84, v83
	v_cmp_lt_i32_e64 s[28:29], v85, v24
	s_or_b64 s[30:31], s[30:31], s[34:35]
	s_and_b64 s[28:29], s[28:29], s[30:31]
	s_xor_b64 s[30:31], s[28:29], -1
                                        ; implicit-def: $vgpr87
	s_and_saveexec_b64 s[34:35], s[30:31]
	s_xor_b64 s[30:31], exec, s[34:35]
; %bb.255:                              ;   in Loop: Header=BB38_2 Depth=1
	v_lshlrev_b32_e32 v87, 2, v86
	ds_read_b32 v87, v87 offset:4
; %bb.256:                              ;   in Loop: Header=BB38_2 Depth=1
	s_or_saveexec_b64 s[30:31], s[30:31]
	v_mov_b32_e32 v88, v84
	s_xor_b64 exec, exec, s[30:31]
	s_cbranch_execz .LBB38_258
; %bb.257:                              ;   in Loop: Header=BB38_2 Depth=1
	s_waitcnt lgkmcnt(0)
	v_lshlrev_b32_e32 v87, 2, v85
	ds_read_b32 v88, v87 offset:4
	v_mov_b32_e32 v87, v83
.LBB38_258:                             ;   in Loop: Header=BB38_2 Depth=1
	s_or_b64 exec, exec, s[30:31]
	v_cndmask_b32_e64 v83, v83, v84, s[28:29]
	v_add_u32_e32 v84, 1, v85
	v_add_u32_e32 v89, 1, v86
	v_cndmask_b32_e64 v84, v85, v84, s[28:29]
	v_cndmask_b32_e64 v85, v89, v86, s[28:29]
	;; [unrolled: 1-line block ×4, first 2 shown]
	v_cmp_ge_i32_e64 s[18:19], v85, v23
	s_waitcnt lgkmcnt(0)
	v_cmp_lt_i32_e64 s[20:21], v88, v87
	v_cndmask_b32_e64 v71, v71, v72, s[16:17]
	v_cmp_lt_i32_e64 s[16:17], v84, v24
	s_or_b64 s[18:19], s[18:19], s[20:21]
	s_and_b64 s[16:17], s[16:17], s[18:19]
	v_cndmask_b32_e64 v81, v81, v82, s[26:27]
	v_cndmask_b32_e64 v79, v79, v80, s[24:25]
	;; [unrolled: 1-line block ×4, first 2 shown]
	s_barrier
	ds_write2_b32 v61, v71, v73 offset1:1
	ds_write2_b32 v61, v75, v77 offset0:2 offset1:3
	ds_write2_b32 v61, v79, v81 offset0:4 offset1:5
	;; [unrolled: 1-line block ×3, first 2 shown]
	v_mov_b32_e32 v75, v42
	s_waitcnt lgkmcnt(0)
	s_barrier
	s_and_saveexec_b64 s[18:19], s[14:15]
	s_cbranch_execz .LBB38_262
; %bb.259:                              ;   in Loop: Header=BB38_2 Depth=1
	s_mov_b64 s[20:21], 0
	v_mov_b32_e32 v75, v42
	v_mov_b32_e32 v71, v43
.LBB38_260:                             ;   Parent Loop BB38_2 Depth=1
                                        ; =>  This Inner Loop Header: Depth=2
	v_sub_u32_e32 v72, v71, v75
	v_lshrrev_b32_e32 v72, 1, v72
	v_add_u32_e32 v72, v72, v75
	v_not_b32_e32 v74, v72
	v_lshlrev_b32_e32 v73, 2, v72
	v_lshl_add_u32 v74, v74, 2, v70
	ds_read_b32 v73, v73
	ds_read_b32 v74, v74
	v_add_u32_e32 v76, 1, v72
	s_waitcnt lgkmcnt(0)
	v_cmp_lt_i32_e64 s[16:17], v74, v73
	v_cndmask_b32_e64 v71, v71, v72, s[16:17]
	v_cndmask_b32_e64 v75, v76, v75, s[16:17]
	v_cmp_ge_i32_e64 s[16:17], v75, v71
	s_or_b64 s[20:21], s[16:17], s[20:21]
	s_andn2_b64 exec, exec, s[20:21]
	s_cbranch_execnz .LBB38_260
; %bb.261:                              ;   in Loop: Header=BB38_2 Depth=1
	s_or_b64 exec, exec, s[20:21]
.LBB38_262:                             ;   in Loop: Header=BB38_2 Depth=1
	s_or_b64 exec, exec, s[18:19]
	v_sub_u32_e32 v76, v44, v75
	v_lshlrev_b32_e32 v74, 2, v75
	v_lshlrev_b32_e32 v77, 2, v76
	ds_read_b32 v71, v74
	ds_read_b32 v72, v77
	v_cmp_le_i32_e64 s[18:19], v41, v75
	v_cmp_gt_i32_e64 s[16:17], s33, v76
                                        ; implicit-def: $vgpr73
	s_waitcnt lgkmcnt(0)
	v_cmp_lt_i32_e64 s[20:21], v72, v71
	s_or_b64 s[18:19], s[18:19], s[20:21]
	s_and_b64 s[16:17], s[16:17], s[18:19]
	s_xor_b64 s[18:19], s[16:17], -1
	s_and_saveexec_b64 s[20:21], s[18:19]
	s_xor_b64 s[18:19], exec, s[20:21]
; %bb.263:                              ;   in Loop: Header=BB38_2 Depth=1
	ds_read_b32 v73, v74 offset:4
                                        ; implicit-def: $vgpr77
; %bb.264:                              ;   in Loop: Header=BB38_2 Depth=1
	s_or_saveexec_b64 s[18:19], s[18:19]
	v_mov_b32_e32 v74, v72
	s_xor_b64 exec, exec, s[18:19]
	s_cbranch_execz .LBB38_266
; %bb.265:                              ;   in Loop: Header=BB38_2 Depth=1
	ds_read_b32 v74, v77 offset:4
	s_waitcnt lgkmcnt(1)
	v_mov_b32_e32 v73, v71
.LBB38_266:                             ;   in Loop: Header=BB38_2 Depth=1
	s_or_b64 exec, exec, s[18:19]
	v_add_u32_e32 v78, 1, v75
	v_add_u32_e32 v77, 1, v76
	v_cndmask_b32_e64 v78, v78, v75, s[16:17]
	v_cndmask_b32_e64 v77, v76, v77, s[16:17]
	v_cmp_ge_i32_e64 s[20:21], v78, v41
	s_waitcnt lgkmcnt(0)
	v_cmp_lt_i32_e64 s[22:23], v74, v73
	v_cmp_gt_i32_e64 s[18:19], s33, v77
	s_or_b64 s[20:21], s[20:21], s[22:23]
	s_and_b64 s[18:19], s[18:19], s[20:21]
	s_xor_b64 s[20:21], s[18:19], -1
                                        ; implicit-def: $vgpr75
	s_and_saveexec_b64 s[22:23], s[20:21]
	s_xor_b64 s[20:21], exec, s[22:23]
; %bb.267:                              ;   in Loop: Header=BB38_2 Depth=1
	v_lshlrev_b32_e32 v75, 2, v78
	ds_read_b32 v75, v75 offset:4
; %bb.268:                              ;   in Loop: Header=BB38_2 Depth=1
	s_or_saveexec_b64 s[20:21], s[20:21]
	v_mov_b32_e32 v76, v74
	s_xor_b64 exec, exec, s[20:21]
	s_cbranch_execz .LBB38_270
; %bb.269:                              ;   in Loop: Header=BB38_2 Depth=1
	s_waitcnt lgkmcnt(0)
	v_lshlrev_b32_e32 v75, 2, v77
	ds_read_b32 v76, v75 offset:4
	v_mov_b32_e32 v75, v73
.LBB38_270:                             ;   in Loop: Header=BB38_2 Depth=1
	s_or_b64 exec, exec, s[20:21]
	v_add_u32_e32 v80, 1, v78
	v_add_u32_e32 v79, 1, v77
	v_cndmask_b32_e64 v80, v80, v78, s[18:19]
	v_cndmask_b32_e64 v79, v77, v79, s[18:19]
	v_cmp_ge_i32_e64 s[22:23], v80, v41
	s_waitcnt lgkmcnt(0)
	v_cmp_lt_i32_e64 s[24:25], v76, v75
	v_cmp_gt_i32_e64 s[20:21], s33, v79
	s_or_b64 s[22:23], s[22:23], s[24:25]
	s_and_b64 s[20:21], s[20:21], s[22:23]
	s_xor_b64 s[22:23], s[20:21], -1
                                        ; implicit-def: $vgpr77
	s_and_saveexec_b64 s[24:25], s[22:23]
	s_xor_b64 s[22:23], exec, s[24:25]
; %bb.271:                              ;   in Loop: Header=BB38_2 Depth=1
	v_lshlrev_b32_e32 v77, 2, v80
	ds_read_b32 v77, v77 offset:4
; %bb.272:                              ;   in Loop: Header=BB38_2 Depth=1
	s_or_saveexec_b64 s[22:23], s[22:23]
	v_mov_b32_e32 v78, v76
	s_xor_b64 exec, exec, s[22:23]
	s_cbranch_execz .LBB38_274
; %bb.273:                              ;   in Loop: Header=BB38_2 Depth=1
	s_waitcnt lgkmcnt(0)
	v_lshlrev_b32_e32 v77, 2, v79
	ds_read_b32 v78, v77 offset:4
	v_mov_b32_e32 v77, v75
.LBB38_274:                             ;   in Loop: Header=BB38_2 Depth=1
	s_or_b64 exec, exec, s[22:23]
	v_add_u32_e32 v82, 1, v80
	v_add_u32_e32 v81, 1, v79
	v_cndmask_b32_e64 v82, v82, v80, s[20:21]
	v_cndmask_b32_e64 v81, v79, v81, s[20:21]
	v_cmp_ge_i32_e64 s[24:25], v82, v41
	s_waitcnt lgkmcnt(0)
	v_cmp_lt_i32_e64 s[26:27], v78, v77
	v_cmp_gt_i32_e64 s[22:23], s33, v81
	s_or_b64 s[24:25], s[24:25], s[26:27]
	s_and_b64 s[22:23], s[22:23], s[24:25]
	s_xor_b64 s[24:25], s[22:23], -1
                                        ; implicit-def: $vgpr79
	s_and_saveexec_b64 s[26:27], s[24:25]
	s_xor_b64 s[24:25], exec, s[26:27]
; %bb.275:                              ;   in Loop: Header=BB38_2 Depth=1
	v_lshlrev_b32_e32 v79, 2, v82
	ds_read_b32 v79, v79 offset:4
; %bb.276:                              ;   in Loop: Header=BB38_2 Depth=1
	s_or_saveexec_b64 s[24:25], s[24:25]
	v_mov_b32_e32 v80, v78
	s_xor_b64 exec, exec, s[24:25]
	s_cbranch_execz .LBB38_278
; %bb.277:                              ;   in Loop: Header=BB38_2 Depth=1
	s_waitcnt lgkmcnt(0)
	v_lshlrev_b32_e32 v79, 2, v81
	ds_read_b32 v80, v79 offset:4
	v_mov_b32_e32 v79, v77
.LBB38_278:                             ;   in Loop: Header=BB38_2 Depth=1
	s_or_b64 exec, exec, s[24:25]
	v_add_u32_e32 v84, 1, v82
	v_add_u32_e32 v83, 1, v81
	v_cndmask_b32_e64 v82, v84, v82, s[22:23]
	v_cndmask_b32_e64 v81, v81, v83, s[22:23]
	v_cmp_ge_i32_e64 s[26:27], v82, v41
	s_waitcnt lgkmcnt(0)
	v_cmp_lt_i32_e64 s[28:29], v80, v79
	v_cmp_gt_i32_e64 s[24:25], s33, v81
	s_or_b64 s[26:27], s[26:27], s[28:29]
	s_and_b64 s[24:25], s[24:25], s[26:27]
	s_xor_b64 s[26:27], s[24:25], -1
                                        ; implicit-def: $vgpr83
	s_and_saveexec_b64 s[28:29], s[26:27]
	s_xor_b64 s[26:27], exec, s[28:29]
; %bb.279:                              ;   in Loop: Header=BB38_2 Depth=1
	v_lshlrev_b32_e32 v83, 2, v82
	ds_read_b32 v83, v83 offset:4
; %bb.280:                              ;   in Loop: Header=BB38_2 Depth=1
	s_or_saveexec_b64 s[26:27], s[26:27]
	v_mov_b32_e32 v84, v80
	s_xor_b64 exec, exec, s[26:27]
	s_cbranch_execz .LBB38_282
; %bb.281:                              ;   in Loop: Header=BB38_2 Depth=1
	s_waitcnt lgkmcnt(0)
	v_lshlrev_b32_e32 v83, 2, v81
	ds_read_b32 v84, v83 offset:4
	v_mov_b32_e32 v83, v79
.LBB38_282:                             ;   in Loop: Header=BB38_2 Depth=1
	s_or_b64 exec, exec, s[26:27]
	v_add_u32_e32 v86, 1, v82
	v_add_u32_e32 v85, 1, v81
	v_cndmask_b32_e64 v82, v86, v82, s[24:25]
	v_cndmask_b32_e64 v81, v81, v85, s[24:25]
	v_cmp_ge_i32_e64 s[28:29], v82, v41
	s_waitcnt lgkmcnt(0)
	v_cmp_lt_i32_e64 s[30:31], v84, v83
	v_cmp_gt_i32_e64 s[26:27], s33, v81
	s_or_b64 s[28:29], s[28:29], s[30:31]
	s_and_b64 s[26:27], s[26:27], s[28:29]
	s_xor_b64 s[28:29], s[26:27], -1
                                        ; implicit-def: $vgpr85
	s_and_saveexec_b64 s[30:31], s[28:29]
	s_xor_b64 s[28:29], exec, s[30:31]
; %bb.283:                              ;   in Loop: Header=BB38_2 Depth=1
	v_lshlrev_b32_e32 v85, 2, v82
	ds_read_b32 v85, v85 offset:4
; %bb.284:                              ;   in Loop: Header=BB38_2 Depth=1
	s_or_saveexec_b64 s[28:29], s[28:29]
	v_mov_b32_e32 v86, v84
	s_xor_b64 exec, exec, s[28:29]
	s_cbranch_execz .LBB38_286
; %bb.285:                              ;   in Loop: Header=BB38_2 Depth=1
	s_waitcnt lgkmcnt(0)
	v_lshlrev_b32_e32 v85, 2, v81
	ds_read_b32 v86, v85 offset:4
	v_mov_b32_e32 v85, v83
.LBB38_286:                             ;   in Loop: Header=BB38_2 Depth=1
	s_or_b64 exec, exec, s[28:29]
	v_add_u32_e32 v87, 1, v81
	v_add_u32_e32 v88, 1, v82
	v_cndmask_b32_e64 v87, v81, v87, s[26:27]
	v_cndmask_b32_e64 v81, v88, v82, s[26:27]
	v_cmp_ge_i32_e64 s[30:31], v81, v41
	s_waitcnt lgkmcnt(0)
	v_cmp_lt_i32_e64 s[34:35], v86, v85
	v_cmp_gt_i32_e64 s[28:29], s33, v87
	s_or_b64 s[30:31], s[30:31], s[34:35]
	s_and_b64 s[28:29], s[28:29], s[30:31]
	s_xor_b64 s[30:31], s[28:29], -1
                                        ; implicit-def: $vgpr88
                                        ; implicit-def: $vgpr89
	s_and_saveexec_b64 s[34:35], s[30:31]
	s_xor_b64 s[30:31], exec, s[34:35]
; %bb.287:                              ;   in Loop: Header=BB38_2 Depth=1
	v_lshlrev_b32_e32 v82, 2, v81
	ds_read_b32 v88, v82 offset:4
	v_add_u32_e32 v89, 1, v81
                                        ; implicit-def: $vgpr81
; %bb.288:                              ;   in Loop: Header=BB38_2 Depth=1
	s_or_saveexec_b64 s[30:31], s[30:31]
	v_mov_b32_e32 v90, v86
	s_xor_b64 exec, exec, s[30:31]
	s_cbranch_execz .LBB38_1
; %bb.289:                              ;   in Loop: Header=BB38_2 Depth=1
	v_lshlrev_b32_e32 v82, 2, v87
	ds_read_b32 v90, v82 offset:4
	v_add_u32_e32 v87, 1, v87
	v_mov_b32_e32 v89, v81
	s_waitcnt lgkmcnt(1)
	v_mov_b32_e32 v88, v85
	s_branch .LBB38_1
.LBB38_290:
	s_add_u32 s0, s38, s42
	s_addc_u32 s1, s39, s43
	v_lshlrev_b32_e32 v0, 2, v0
	v_mov_b32_e32 v1, s1
	v_add_co_u32_e32 v2, vcc, s0, v0
	v_addc_co_u32_e32 v3, vcc, 0, v1, vcc
	global_store_dword v0, v81, s[0:1]
	global_store_dword v0, v82, s[0:1] offset:2048
	v_add_co_u32_e32 v0, vcc, 0x1000, v2
	v_addc_co_u32_e32 v1, vcc, 0, v3, vcc
	global_store_dword v[0:1], v76, off
	global_store_dword v[0:1], v75, off offset:2048
	v_add_co_u32_e32 v0, vcc, 0x2000, v2
	v_addc_co_u32_e32 v1, vcc, 0, v3, vcc
	global_store_dword v[0:1], v72, off
	global_store_dword v[0:1], v74, off offset:2048
	;; [unrolled: 4-line block ×3, first 2 shown]
	s_endpgm
	.section	.rodata,"a",@progbits
	.p2align	6, 0x0
	.amdhsa_kernel _Z16sort_keys_kernelIiLj512ELj8EN10test_utils4lessELj10EEvPKT_PS2_T2_
		.amdhsa_group_segment_fixed_size 16388
		.amdhsa_private_segment_fixed_size 0
		.amdhsa_kernarg_size 20
		.amdhsa_user_sgpr_count 6
		.amdhsa_user_sgpr_private_segment_buffer 1
		.amdhsa_user_sgpr_dispatch_ptr 0
		.amdhsa_user_sgpr_queue_ptr 0
		.amdhsa_user_sgpr_kernarg_segment_ptr 1
		.amdhsa_user_sgpr_dispatch_id 0
		.amdhsa_user_sgpr_flat_scratch_init 0
		.amdhsa_user_sgpr_private_segment_size 0
		.amdhsa_uses_dynamic_stack 0
		.amdhsa_system_sgpr_private_segment_wavefront_offset 0
		.amdhsa_system_sgpr_workgroup_id_x 1
		.amdhsa_system_sgpr_workgroup_id_y 0
		.amdhsa_system_sgpr_workgroup_id_z 0
		.amdhsa_system_sgpr_workgroup_info 0
		.amdhsa_system_vgpr_workitem_id 0
		.amdhsa_next_free_vgpr 91
		.amdhsa_next_free_sgpr 93
		.amdhsa_reserve_vcc 1
		.amdhsa_reserve_flat_scratch 0
		.amdhsa_float_round_mode_32 0
		.amdhsa_float_round_mode_16_64 0
		.amdhsa_float_denorm_mode_32 3
		.amdhsa_float_denorm_mode_16_64 3
		.amdhsa_dx10_clamp 1
		.amdhsa_ieee_mode 1
		.amdhsa_fp16_overflow 0
		.amdhsa_exception_fp_ieee_invalid_op 0
		.amdhsa_exception_fp_denorm_src 0
		.amdhsa_exception_fp_ieee_div_zero 0
		.amdhsa_exception_fp_ieee_overflow 0
		.amdhsa_exception_fp_ieee_underflow 0
		.amdhsa_exception_fp_ieee_inexact 0
		.amdhsa_exception_int_div_zero 0
	.end_amdhsa_kernel
	.section	.text._Z16sort_keys_kernelIiLj512ELj8EN10test_utils4lessELj10EEvPKT_PS2_T2_,"axG",@progbits,_Z16sort_keys_kernelIiLj512ELj8EN10test_utils4lessELj10EEvPKT_PS2_T2_,comdat
.Lfunc_end38:
	.size	_Z16sort_keys_kernelIiLj512ELj8EN10test_utils4lessELj10EEvPKT_PS2_T2_, .Lfunc_end38-_Z16sort_keys_kernelIiLj512ELj8EN10test_utils4lessELj10EEvPKT_PS2_T2_
                                        ; -- End function
	.set _Z16sort_keys_kernelIiLj512ELj8EN10test_utils4lessELj10EEvPKT_PS2_T2_.num_vgpr, 91
	.set _Z16sort_keys_kernelIiLj512ELj8EN10test_utils4lessELj10EEvPKT_PS2_T2_.num_agpr, 0
	.set _Z16sort_keys_kernelIiLj512ELj8EN10test_utils4lessELj10EEvPKT_PS2_T2_.numbered_sgpr, 44
	.set _Z16sort_keys_kernelIiLj512ELj8EN10test_utils4lessELj10EEvPKT_PS2_T2_.num_named_barrier, 0
	.set _Z16sort_keys_kernelIiLj512ELj8EN10test_utils4lessELj10EEvPKT_PS2_T2_.private_seg_size, 0
	.set _Z16sort_keys_kernelIiLj512ELj8EN10test_utils4lessELj10EEvPKT_PS2_T2_.uses_vcc, 1
	.set _Z16sort_keys_kernelIiLj512ELj8EN10test_utils4lessELj10EEvPKT_PS2_T2_.uses_flat_scratch, 0
	.set _Z16sort_keys_kernelIiLj512ELj8EN10test_utils4lessELj10EEvPKT_PS2_T2_.has_dyn_sized_stack, 0
	.set _Z16sort_keys_kernelIiLj512ELj8EN10test_utils4lessELj10EEvPKT_PS2_T2_.has_recursion, 0
	.set _Z16sort_keys_kernelIiLj512ELj8EN10test_utils4lessELj10EEvPKT_PS2_T2_.has_indirect_call, 0
	.section	.AMDGPU.csdata,"",@progbits
; Kernel info:
; codeLenInByte = 12452
; TotalNumSgprs: 48
; NumVgprs: 91
; ScratchSize: 0
; MemoryBound: 0
; FloatMode: 240
; IeeeMode: 1
; LDSByteSize: 16388 bytes/workgroup (compile time only)
; SGPRBlocks: 12
; VGPRBlocks: 22
; NumSGPRsForWavesPerEU: 97
; NumVGPRsForWavesPerEU: 91
; Occupancy: 2
; WaveLimiterHint : 1
; COMPUTE_PGM_RSRC2:SCRATCH_EN: 0
; COMPUTE_PGM_RSRC2:USER_SGPR: 6
; COMPUTE_PGM_RSRC2:TRAP_HANDLER: 0
; COMPUTE_PGM_RSRC2:TGID_X_EN: 1
; COMPUTE_PGM_RSRC2:TGID_Y_EN: 0
; COMPUTE_PGM_RSRC2:TGID_Z_EN: 0
; COMPUTE_PGM_RSRC2:TIDIG_COMP_CNT: 0
	.section	.text._Z17sort_pairs_kernelIiLj512ELj8EN10test_utils4lessELj10EEvPKT_PS2_T2_,"axG",@progbits,_Z17sort_pairs_kernelIiLj512ELj8EN10test_utils4lessELj10EEvPKT_PS2_T2_,comdat
	.protected	_Z17sort_pairs_kernelIiLj512ELj8EN10test_utils4lessELj10EEvPKT_PS2_T2_ ; -- Begin function _Z17sort_pairs_kernelIiLj512ELj8EN10test_utils4lessELj10EEvPKT_PS2_T2_
	.globl	_Z17sort_pairs_kernelIiLj512ELj8EN10test_utils4lessELj10EEvPKT_PS2_T2_
	.p2align	8
	.type	_Z17sort_pairs_kernelIiLj512ELj8EN10test_utils4lessELj10EEvPKT_PS2_T2_,@function
_Z17sort_pairs_kernelIiLj512ELj8EN10test_utils4lessELj10EEvPKT_PS2_T2_: ; @_Z17sort_pairs_kernelIiLj512ELj8EN10test_utils4lessELj10EEvPKT_PS2_T2_
; %bb.0:
	s_load_dwordx4 s[0:3], s[4:5], 0x0
	s_lshl_b32 s94, s6, 12
	s_mov_b32 s95, 0
	s_lshl_b64 s[4:5], s[94:95], 2
                                        ; implicit-def: $vgpr111 : SGPR spill to VGPR lane
	v_lshlrev_b32_e32 v27, 2, v0
	s_waitcnt lgkmcnt(0)
	s_add_u32 s0, s0, s4
	v_writelane_b32 v111, s0, 0
	v_writelane_b32 v111, s1, 1
	v_writelane_b32 v111, s2, 2
	v_writelane_b32 v111, s3, 3
	v_writelane_b32 v111, s4, 4
	s_addc_u32 s1, s1, s5
	v_mov_b32_e32 v1, s1
	v_add_co_u32_e32 v2, vcc, s0, v27
	v_addc_co_u32_e32 v1, vcc, 0, v1, vcc
	s_movk_i32 s33, 0x1000
	v_add_co_u32_e32 v21, vcc, s33, v2
	v_addc_co_u32_e32 v22, vcc, 0, v1, vcc
	s_movk_i32 s2, 0x2000
	;; [unrolled: 3-line block ×3, first 2 shown]
	v_add_co_u32_e32 v25, vcc, s2, v2
	v_addc_co_u32_e32 v26, vcc, 0, v1, vcc
	global_load_dword v88, v27, s[0:1]
	global_load_dword v84, v27, s[0:1] offset:2048
	global_load_dword v82, v[23:24], off offset:-4096
	global_load_dword v83, v[21:22], off offset:2048
	global_load_dword v81, v[23:24], off
	global_load_dword v80, v[23:24], off offset:2048
	global_load_dword v85, v[25:26], off
	global_load_dword v79, v[25:26], off offset:2048
	v_lshlrev_b32_e32 v44, 3, v0
	v_and_b32_e32 v1, 0xff0, v44
	v_and_b32_e32 v7, 0xfc0, v44
	;; [unrolled: 1-line block ×4, first 2 shown]
	v_or_b32_e32 v2, 8, v1
	v_add_u32_e32 v3, 16, v1
	v_and_b32_e32 v4, 0xfe0, v44
	v_or_b32_e32 v8, 32, v7
	v_add_u32_e32 v9, 64, v7
	v_and_b32_e32 v10, 0xf80, v44
	;; [unrolled: 3-line block ×4, first 2 shown]
	v_and_b32_e32 v46, 8, v44
	v_sub_u32_e32 v28, v3, v2
	v_or_b32_e32 v5, 16, v4
	v_add_u32_e32 v6, 32, v4
	v_and_b32_e32 v50, 56, v44
	v_sub_u32_e32 v32, v9, v8
	v_or_b32_e32 v11, 64, v10
	v_add_u32_e32 v12, 0x80, v10
	;; [unrolled: 4-line block ×4, first 2 shown]
	v_sub_u32_e32 v29, v46, v28
	v_and_b32_e32 v48, 24, v44
	v_sub_u32_e32 v30, v6, v5
	v_sub_u32_e32 v33, v50, v32
	v_and_b32_e32 v52, 0x78, v44
	v_sub_u32_e32 v34, v12, v11
	;; [unrolled: 3-line block ×4, first 2 shown]
	v_cmp_ge_i32_e32 vcc, v46, v28
	v_cmp_ge_i32_e64 s[2:3], v50, v32
	v_cmp_ge_i32_e64 s[6:7], v54, v36
	;; [unrolled: 1-line block ×3, first 2 shown]
	v_writelane_b32 v111, s5, 5
	v_sub_u32_e32 v31, v48, v30
	v_sub_u32_e32 v35, v52, v34
	;; [unrolled: 1-line block ×4, first 2 shown]
	v_cndmask_b32_e32 v25, 0, v29, vcc
	v_sub_u32_e32 v26, v2, v1
	v_cmp_ge_i32_e64 s[0:1], v48, v30
	v_sub_u32_e32 v28, v5, v4
	v_cndmask_b32_e64 v29, 0, v33, s[2:3]
	v_sub_u32_e32 v30, v8, v7
	v_cmp_ge_i32_e64 s[4:5], v52, v34
	v_sub_u32_e32 v32, v11, v10
	v_cndmask_b32_e64 v33, 0, v37, s[6:7]
	v_sub_u32_e32 v34, v14, v13
	v_cmp_ge_i32_e64 s[8:9], v56, v38
	v_sub_u32_e32 v36, v17, v16
	v_cndmask_b32_e64 v37, 0, v41, s[10:11]
	v_sub_u32_e32 v38, v20, v19
	v_cmp_ge_i32_e64 s[12:13], v60, v42
	v_sub_u32_e32 v40, v23, v22
	v_mov_b32_e32 v41, 0x800
	v_min_i32_e32 v26, v46, v26
	v_cndmask_b32_e64 v27, 0, v31, s[0:1]
	v_min_i32_e32 v28, v48, v28
	v_min_i32_e32 v30, v50, v30
	v_cndmask_b32_e64 v31, 0, v35, s[4:5]
	v_min_i32_e32 v32, v52, v32
	v_min_i32_e32 v34, v54, v34
	v_cndmask_b32_e64 v35, 0, v39, s[8:9]
	v_min_i32_e32 v36, v56, v36
	v_min_i32_e32 v38, v58, v38
	v_cndmask_b32_e64 v39, 0, v43, s[12:13]
	v_min_i32_e32 v40, v60, v40
	v_sub_u32_e64 v42, v44, v41 clamp
	v_min_i32_e32 v43, 0x800, v44
	v_add_u32_e32 v45, v2, v46
	v_lshlrev_b32_e32 v46, 2, v46
	v_add_u32_e32 v47, v5, v48
	v_lshlrev_b32_e32 v48, 2, v48
	;; [unrolled: 2-line block ×8, first 2 shown]
	v_lshlrev_b32_e32 v61, 5, v0
	v_cmp_lt_i32_e32 vcc, v25, v26
	v_cmp_lt_i32_e64 s[0:1], v27, v28
	v_cmp_lt_i32_e64 s[2:3], v29, v30
	;; [unrolled: 1-line block ×8, first 2 shown]
	v_add_u32_e32 v44, 0x800, v44
	v_lshl_add_u32 v46, v2, 2, v46
	v_lshl_add_u32 v48, v5, 2, v48
	;; [unrolled: 1-line block ×8, first 2 shown]
	s_waitcnt vmcnt(7)
	v_add_u32_e32 v71, 1, v88
	s_waitcnt vmcnt(6)
	v_add_u32_e32 v75, 1, v84
	;; [unrolled: 2-line block ×8, first 2 shown]
	v_lshlrev_b32_e32 v62, 2, v1
	v_lshlrev_b32_e32 v63, 2, v4
	;; [unrolled: 1-line block ×8, first 2 shown]
	v_add_u32_e32 v70, 0x2000, v61
	s_branch .LBB39_2
.LBB39_1:                               ;   in Loop: Header=BB39_2 Depth=1
	s_or_b64 exec, exec, s[30:31]
	v_cndmask_b32_e64 v88, v81, v82, s[16:17]
	v_cndmask_b32_e64 v84, v83, v84, s[18:19]
	;; [unrolled: 1-line block ×5, first 2 shown]
	v_cmp_ge_i32_e64 s[18:19], v108, v41
	s_waitcnt lgkmcnt(0)
	v_cmp_lt_i32_e64 s[20:21], v110, v109
	v_cndmask_b32_e64 v80, v79, v80, s[16:17]
	v_cmp_gt_i32_e64 s[16:17], s33, v106
	s_or_b64 s[18:19], s[18:19], s[20:21]
	v_cndmask_b32_e64 v83, v92, v93, s[22:23]
	v_cndmask_b32_e64 v87, v105, v104, s[24:25]
	;; [unrolled: 1-line block ×4, first 2 shown]
	s_and_b64 s[16:17], s[16:17], s[18:19]
	v_cndmask_b32_e64 v86, v108, v106, s[16:17]
	s_barrier
	ds_write2_b32 v61, v71, v72 offset1:1
	ds_write2_b32 v61, v73, v74 offset0:2 offset1:3
	ds_write2_b32 v61, v75, v76 offset0:4 offset1:5
	ds_write2_b32 v61, v77, v78 offset0:6 offset1:7
	v_lshlrev_b32_e32 v71, 2, v80
	v_lshlrev_b32_e32 v72, 2, v85
	;; [unrolled: 1-line block ×6, first 2 shown]
	s_waitcnt lgkmcnt(0)
	s_barrier
	v_lshlrev_b32_e32 v80, 2, v107
	v_lshlrev_b32_e32 v85, 2, v86
	ds_read_b32 v71, v71
	ds_read_b32 v75, v72
	;; [unrolled: 1-line block ×8, first 2 shown]
	s_add_i32 s95, s95, 1
	v_cndmask_b32_e64 v81, v97, v99, s[26:27]
	v_cndmask_b32_e64 v79, v109, v110, s[16:17]
	;; [unrolled: 1-line block ×3, first 2 shown]
	s_cmp_eq_u32 s95, 10
	v_cndmask_b32_e64 v85, v102, v103, s[28:29]
	s_cbranch_scc1 .LBB39_290
.LBB39_2:                               ; =>This Loop Header: Depth=1
                                        ;     Child Loop BB39_4 Depth 2
                                        ;     Child Loop BB39_36 Depth 2
	;; [unrolled: 1-line block ×9, first 2 shown]
	v_cmp_lt_i32_e64 s[16:17], v84, v88
	v_cmp_lt_i32_e64 s[18:19], v83, v82
	v_cmp_lt_i32_e64 s[20:21], v80, v81
	v_cmp_lt_i32_e64 s[22:23], v79, v85
	v_cndmask_b32_e64 v86, v88, v84, s[16:17]
	v_cndmask_b32_e64 v84, v84, v88, s[16:17]
	v_cndmask_b32_e64 v87, v83, v82, s[18:19]
	v_cndmask_b32_e64 v82, v82, v83, s[18:19]
	v_cndmask_b32_e64 v83, v80, v81, s[20:21]
	v_cndmask_b32_e64 v80, v81, v80, s[20:21]
	v_cndmask_b32_e64 v81, v79, v85, s[22:23]
	v_cndmask_b32_e64 v79, v85, v79, s[22:23]
	v_cmp_lt_i32_e64 s[24:25], v82, v84
	v_cmp_lt_i32_e64 s[26:27], v80, v87
	v_cmp_lt_i32_e64 s[28:29], v79, v83
	v_cndmask_b32_e64 v85, v82, v84, s[24:25]
	v_cndmask_b32_e64 v82, v84, v82, s[24:25]
	v_cndmask_b32_e64 v84, v80, v87, s[26:27]
	v_cndmask_b32_e64 v80, v87, v80, s[26:27]
	v_cndmask_b32_e64 v87, v79, v83, s[28:29]
	v_cndmask_b32_e64 v79, v83, v79, s[28:29]
	v_cmp_lt_i32_e64 s[30:31], v82, v86
	v_cmp_lt_i32_e64 s[34:35], v80, v85
	v_cmp_lt_i32_e64 s[36:37], v79, v84
	v_cmp_lt_i32_e64 s[38:39], v81, v87
	v_cndmask_b32_e64 v83, v86, v82, s[30:31]
	v_cndmask_b32_e64 v82, v82, v86, s[30:31]
	v_cndmask_b32_e64 v86, v80, v85, s[34:35]
	v_cndmask_b32_e64 v80, v85, v80, s[34:35]
	v_cndmask_b32_e64 v85, v79, v84, s[36:37]
	v_cndmask_b32_e64 v79, v84, v79, s[36:37]
	v_cndmask_b32_e64 v84, v81, v87, s[38:39]
	v_cndmask_b32_e64 v81, v87, v81, s[38:39]
	v_cmp_lt_i32_e64 s[40:41], v80, v82
	v_cmp_lt_i32_e64 s[42:43], v79, v86
	v_cmp_lt_i32_e64 s[44:45], v81, v85
	v_cndmask_b32_e64 v87, v80, v82, s[40:41]
	v_cndmask_b32_e64 v80, v82, v80, s[40:41]
	v_cndmask_b32_e64 v82, v79, v86, s[42:43]
	v_cndmask_b32_e64 v79, v86, v79, s[42:43]
	v_cndmask_b32_e64 v86, v81, v85, s[44:45]
	v_cndmask_b32_e64 v81, v85, v81, s[44:45]
	;; [unrolled: 21-line block ×3, first 2 shown]
	v_cmp_lt_i32_e64 s[60:61], v79, v85
	v_cmp_lt_i32_e64 s[62:63], v81, v86
	;; [unrolled: 1-line block ×3, first 2 shown]
	v_cndmask_b32_e64 v87, v85, v79, s[60:61]
	v_cndmask_b32_e64 v79, v79, v85, s[60:61]
	;; [unrolled: 1-line block ×6, first 2 shown]
	v_cmp_lt_i32_e64 s[66:67], v82, v83
	v_cndmask_b32_e64 v84, v82, v83, s[66:67]
	v_cndmask_b32_e64 v82, v83, v82, s[66:67]
	v_cmp_lt_i32_e64 s[68:69], v81, v79
	v_cmp_lt_i32_e64 s[70:71], v80, v85
	v_cndmask_b32_e64 v83, v81, v79, s[68:69]
	v_cndmask_b32_e64 v79, v79, v81, s[68:69]
	;; [unrolled: 1-line block ×3, first 2 shown]
	v_cmp_lt_i32_e64 s[72:73], v82, v86
	v_cndmask_b32_e64 v80, v85, v80, s[70:71]
	v_cndmask_b32_e64 v85, v82, v86, s[72:73]
	;; [unrolled: 1-line block ×3, first 2 shown]
	s_waitcnt lgkmcnt(0)
	s_barrier
	ds_write2_b32 v61, v87, v79 offset1:1
	ds_write2_b32 v61, v83, v80 offset0:2 offset1:3
	ds_write2_b32 v61, v81, v82 offset0:4 offset1:5
	;; [unrolled: 1-line block ×3, first 2 shown]
	v_mov_b32_e32 v81, v25
	s_waitcnt lgkmcnt(0)
	s_barrier
	s_and_saveexec_b64 s[76:77], vcc
	s_cbranch_execz .LBB39_6
; %bb.3:                                ;   in Loop: Header=BB39_2 Depth=1
	s_mov_b64 s[78:79], 0
	v_mov_b32_e32 v81, v25
	v_mov_b32_e32 v79, v26
.LBB39_4:                               ;   Parent Loop BB39_2 Depth=1
                                        ; =>  This Inner Loop Header: Depth=2
	v_sub_u32_e32 v80, v79, v81
	v_lshrrev_b32_e32 v80, 1, v80
	v_add_u32_e32 v80, v80, v81
	v_not_b32_e32 v83, v80
	v_lshl_add_u32 v82, v80, 2, v62
	v_lshl_add_u32 v83, v83, 2, v46
	ds_read_b32 v82, v82
	ds_read_b32 v83, v83
	v_add_u32_e32 v84, 1, v80
	s_waitcnt lgkmcnt(0)
	v_cmp_lt_i32_e64 s[74:75], v83, v82
	v_cndmask_b32_e64 v79, v79, v80, s[74:75]
	v_cndmask_b32_e64 v81, v84, v81, s[74:75]
	v_cmp_ge_i32_e64 s[74:75], v81, v79
	s_or_b64 s[78:79], s[74:75], s[78:79]
	s_andn2_b64 exec, exec, s[78:79]
	s_cbranch_execnz .LBB39_4
; %bb.5:                                ;   in Loop: Header=BB39_2 Depth=1
	s_or_b64 exec, exec, s[78:79]
.LBB39_6:                               ;   in Loop: Header=BB39_2 Depth=1
	s_or_b64 exec, exec, s[76:77]
	v_sub_u32_e32 v79, v45, v81
	v_lshl_add_u32 v84, v81, 2, v62
	v_lshlrev_b32_e32 v85, 2, v79
	ds_read_b32 v80, v84
	ds_read_b32 v82, v85
	v_add_u32_e32 v81, v81, v1
	v_cmp_le_i32_e64 s[76:77], v2, v81
	v_cmp_gt_i32_e64 s[74:75], v3, v79
                                        ; implicit-def: $vgpr83
	s_waitcnt lgkmcnt(0)
	v_cmp_lt_i32_e64 s[78:79], v82, v80
	s_or_b64 s[76:77], s[76:77], s[78:79]
	s_and_b64 s[74:75], s[74:75], s[76:77]
	s_xor_b64 s[76:77], s[74:75], -1
	s_and_saveexec_b64 s[78:79], s[76:77]
	s_xor_b64 s[76:77], exec, s[78:79]
; %bb.7:                                ;   in Loop: Header=BB39_2 Depth=1
	ds_read_b32 v83, v84 offset:4
                                        ; implicit-def: $vgpr85
; %bb.8:                                ;   in Loop: Header=BB39_2 Depth=1
	s_or_saveexec_b64 s[76:77], s[76:77]
	v_mov_b32_e32 v84, v82
	s_xor_b64 exec, exec, s[76:77]
	s_cbranch_execz .LBB39_10
; %bb.9:                                ;   in Loop: Header=BB39_2 Depth=1
	ds_read_b32 v84, v85 offset:4
	s_waitcnt lgkmcnt(1)
	v_mov_b32_e32 v83, v80
.LBB39_10:                              ;   in Loop: Header=BB39_2 Depth=1
	s_or_b64 exec, exec, s[76:77]
	v_add_u32_e32 v86, 1, v81
	v_add_u32_e32 v85, 1, v79
	v_cndmask_b32_e64 v86, v86, v81, s[74:75]
	v_cndmask_b32_e64 v85, v79, v85, s[74:75]
	v_cmp_ge_i32_e64 s[78:79], v86, v2
	s_waitcnt lgkmcnt(0)
	v_cmp_lt_i32_e64 s[80:81], v84, v83
	v_cmp_lt_i32_e64 s[76:77], v85, v3
	s_or_b64 s[78:79], s[78:79], s[80:81]
	s_and_b64 s[76:77], s[76:77], s[78:79]
	s_xor_b64 s[78:79], s[76:77], -1
                                        ; implicit-def: $vgpr87
	s_and_saveexec_b64 s[80:81], s[78:79]
	s_xor_b64 s[78:79], exec, s[80:81]
; %bb.11:                               ;   in Loop: Header=BB39_2 Depth=1
	v_lshlrev_b32_e32 v87, 2, v86
	ds_read_b32 v87, v87 offset:4
; %bb.12:                               ;   in Loop: Header=BB39_2 Depth=1
	s_or_saveexec_b64 s[78:79], s[78:79]
	v_mov_b32_e32 v88, v84
	s_xor_b64 exec, exec, s[78:79]
	s_cbranch_execz .LBB39_14
; %bb.13:                               ;   in Loop: Header=BB39_2 Depth=1
	s_waitcnt lgkmcnt(0)
	v_lshlrev_b32_e32 v87, 2, v85
	ds_read_b32 v88, v87 offset:4
	v_mov_b32_e32 v87, v83
.LBB39_14:                              ;   in Loop: Header=BB39_2 Depth=1
	s_or_b64 exec, exec, s[78:79]
	v_add_u32_e32 v90, 1, v86
	v_add_u32_e32 v89, 1, v85
	v_cndmask_b32_e64 v90, v90, v86, s[76:77]
	v_cndmask_b32_e64 v89, v85, v89, s[76:77]
	v_cmp_ge_i32_e64 s[80:81], v90, v2
	s_waitcnt lgkmcnt(0)
	v_cmp_lt_i32_e64 s[82:83], v88, v87
	v_cmp_lt_i32_e64 s[78:79], v89, v3
	s_or_b64 s[80:81], s[80:81], s[82:83]
	s_and_b64 s[78:79], s[78:79], s[80:81]
	s_xor_b64 s[80:81], s[78:79], -1
                                        ; implicit-def: $vgpr91
	s_and_saveexec_b64 s[82:83], s[80:81]
	s_xor_b64 s[80:81], exec, s[82:83]
; %bb.15:                               ;   in Loop: Header=BB39_2 Depth=1
	v_lshlrev_b32_e32 v91, 2, v90
	ds_read_b32 v91, v91 offset:4
; %bb.16:                               ;   in Loop: Header=BB39_2 Depth=1
	s_or_saveexec_b64 s[80:81], s[80:81]
	v_mov_b32_e32 v92, v88
	s_xor_b64 exec, exec, s[80:81]
	s_cbranch_execz .LBB39_18
; %bb.17:                               ;   in Loop: Header=BB39_2 Depth=1
	s_waitcnt lgkmcnt(0)
	v_lshlrev_b32_e32 v91, 2, v89
	ds_read_b32 v92, v91 offset:4
	v_mov_b32_e32 v91, v87
.LBB39_18:                              ;   in Loop: Header=BB39_2 Depth=1
	s_or_b64 exec, exec, s[80:81]
	v_add_u32_e32 v94, 1, v90
	v_add_u32_e32 v93, 1, v89
	v_cndmask_b32_e64 v94, v94, v90, s[78:79]
	v_cndmask_b32_e64 v93, v89, v93, s[78:79]
	v_cmp_ge_i32_e64 s[82:83], v94, v2
	s_waitcnt lgkmcnt(0)
	v_cmp_lt_i32_e64 s[84:85], v92, v91
	v_cmp_lt_i32_e64 s[80:81], v93, v3
	s_or_b64 s[82:83], s[82:83], s[84:85]
	s_and_b64 s[80:81], s[80:81], s[82:83]
	s_xor_b64 s[82:83], s[80:81], -1
                                        ; implicit-def: $vgpr95
	s_and_saveexec_b64 s[84:85], s[82:83]
	s_xor_b64 s[82:83], exec, s[84:85]
; %bb.19:                               ;   in Loop: Header=BB39_2 Depth=1
	v_lshlrev_b32_e32 v95, 2, v94
	ds_read_b32 v95, v95 offset:4
; %bb.20:                               ;   in Loop: Header=BB39_2 Depth=1
	s_or_saveexec_b64 s[82:83], s[82:83]
	v_mov_b32_e32 v96, v92
	s_xor_b64 exec, exec, s[82:83]
	s_cbranch_execz .LBB39_22
; %bb.21:                               ;   in Loop: Header=BB39_2 Depth=1
	s_waitcnt lgkmcnt(0)
	v_lshlrev_b32_e32 v95, 2, v93
	ds_read_b32 v96, v95 offset:4
	v_mov_b32_e32 v95, v91
.LBB39_22:                              ;   in Loop: Header=BB39_2 Depth=1
	s_or_b64 exec, exec, s[82:83]
	v_add_u32_e32 v98, 1, v94
	v_add_u32_e32 v97, 1, v93
	v_cndmask_b32_e64 v98, v98, v94, s[80:81]
	v_cndmask_b32_e64 v97, v93, v97, s[80:81]
	v_cmp_ge_i32_e64 s[84:85], v98, v2
	s_waitcnt lgkmcnt(0)
	v_cmp_lt_i32_e64 s[86:87], v96, v95
	v_cmp_lt_i32_e64 s[82:83], v97, v3
	s_or_b64 s[84:85], s[84:85], s[86:87]
	s_and_b64 s[82:83], s[82:83], s[84:85]
	s_xor_b64 s[84:85], s[82:83], -1
                                        ; implicit-def: $vgpr99
	s_and_saveexec_b64 s[86:87], s[84:85]
	s_xor_b64 s[84:85], exec, s[86:87]
; %bb.23:                               ;   in Loop: Header=BB39_2 Depth=1
	v_lshlrev_b32_e32 v99, 2, v98
	ds_read_b32 v99, v99 offset:4
; %bb.24:                               ;   in Loop: Header=BB39_2 Depth=1
	s_or_saveexec_b64 s[84:85], s[84:85]
	v_mov_b32_e32 v101, v96
	s_xor_b64 exec, exec, s[84:85]
	s_cbranch_execz .LBB39_26
; %bb.25:                               ;   in Loop: Header=BB39_2 Depth=1
	s_waitcnt lgkmcnt(0)
	v_lshlrev_b32_e32 v99, 2, v97
	ds_read_b32 v101, v99 offset:4
	v_mov_b32_e32 v99, v95
.LBB39_26:                              ;   in Loop: Header=BB39_2 Depth=1
	s_or_b64 exec, exec, s[84:85]
	v_add_u32_e32 v102, 1, v98
	v_add_u32_e32 v100, 1, v97
	v_cndmask_b32_e64 v104, v102, v98, s[82:83]
	v_cndmask_b32_e64 v103, v97, v100, s[82:83]
	v_cmp_ge_i32_e64 s[86:87], v104, v2
	s_waitcnt lgkmcnt(0)
	v_cmp_lt_i32_e64 s[88:89], v101, v99
	v_cmp_lt_i32_e64 s[84:85], v103, v3
	s_or_b64 s[86:87], s[86:87], s[88:89]
	s_and_b64 s[84:85], s[84:85], s[86:87]
	s_xor_b64 s[86:87], s[84:85], -1
                                        ; implicit-def: $vgpr105
	s_and_saveexec_b64 s[88:89], s[86:87]
	s_xor_b64 s[86:87], exec, s[88:89]
; %bb.27:                               ;   in Loop: Header=BB39_2 Depth=1
	v_lshlrev_b32_e32 v100, 2, v104
	ds_read_b32 v105, v100 offset:4
; %bb.28:                               ;   in Loop: Header=BB39_2 Depth=1
	s_or_saveexec_b64 s[86:87], s[86:87]
	v_mov_b32_e32 v106, v101
	s_xor_b64 exec, exec, s[86:87]
	s_cbranch_execz .LBB39_30
; %bb.29:                               ;   in Loop: Header=BB39_2 Depth=1
	v_lshlrev_b32_e32 v100, 2, v103
	ds_read_b32 v106, v100 offset:4
	s_waitcnt lgkmcnt(1)
	v_mov_b32_e32 v105, v99
.LBB39_30:                              ;   in Loop: Header=BB39_2 Depth=1
	s_or_b64 exec, exec, s[86:87]
	v_add_u32_e32 v102, 1, v104
	v_add_u32_e32 v100, 1, v103
	v_cndmask_b32_e64 v108, v102, v104, s[84:85]
	v_cndmask_b32_e64 v107, v103, v100, s[84:85]
	v_cmp_ge_i32_e64 s[88:89], v108, v2
	s_waitcnt lgkmcnt(0)
	v_cmp_lt_i32_e64 s[90:91], v106, v105
	v_cmp_lt_i32_e64 s[86:87], v107, v3
	s_or_b64 s[88:89], s[88:89], s[90:91]
	s_and_b64 s[86:87], s[86:87], s[88:89]
	s_xor_b64 s[88:89], s[86:87], -1
                                        ; implicit-def: $vgpr100
	s_and_saveexec_b64 s[90:91], s[88:89]
	s_xor_b64 s[88:89], exec, s[90:91]
; %bb.31:                               ;   in Loop: Header=BB39_2 Depth=1
	v_lshlrev_b32_e32 v100, 2, v108
	ds_read_b32 v100, v100 offset:4
; %bb.32:                               ;   in Loop: Header=BB39_2 Depth=1
	s_or_saveexec_b64 s[88:89], s[88:89]
	v_mov_b32_e32 v102, v106
	s_xor_b64 exec, exec, s[88:89]
	s_cbranch_execz .LBB39_34
; %bb.33:                               ;   in Loop: Header=BB39_2 Depth=1
	s_waitcnt lgkmcnt(0)
	v_lshlrev_b32_e32 v100, 2, v107
	ds_read_b32 v102, v100 offset:4
	v_mov_b32_e32 v100, v105
.LBB39_34:                              ;   in Loop: Header=BB39_2 Depth=1
	s_or_b64 exec, exec, s[88:89]
	v_cndmask_b32_e64 v79, v81, v79, s[74:75]
	v_cndmask_b32_e64 v81, v71, v75, s[16:17]
	;; [unrolled: 1-line block ×15, first 2 shown]
	v_add_u32_e32 v109, 1, v108
	v_cndmask_b32_e64 v76, v81, v71, s[30:31]
	v_cndmask_b32_e64 v71, v71, v81, s[30:31]
	;; [unrolled: 1-line block ×9, first 2 shown]
	v_add_u32_e32 v106, 1, v107
	v_cndmask_b32_e64 v109, v109, v108, s[86:87]
	v_cndmask_b32_e64 v77, v73, v71, s[40:41]
	;; [unrolled: 1-line block ×16, first 2 shown]
	v_cmp_ge_i32_e64 s[18:19], v109, v2
	s_waitcnt lgkmcnt(0)
	v_cmp_lt_i32_e64 s[20:21], v102, v100
	v_cndmask_b32_e64 v81, v72, v71, s[54:55]
	v_cndmask_b32_e64 v71, v71, v72, s[54:55]
	;; [unrolled: 1-line block ×6, first 2 shown]
	v_cmp_lt_i32_e64 s[16:17], v106, v3
	s_or_b64 s[18:19], s[18:19], s[20:21]
	v_cndmask_b32_e64 v77, v78, v71, s[60:61]
	v_cndmask_b32_e64 v71, v71, v78, s[60:61]
	;; [unrolled: 1-line block ×8, first 2 shown]
	s_and_b64 s[16:17], s[16:17], s[18:19]
	v_cndmask_b32_e64 v107, v108, v107, s[86:87]
	v_cndmask_b32_e64 v99, v99, v101, s[84:85]
	;; [unrolled: 1-line block ×19, first 2 shown]
	s_barrier
	ds_write2_b32 v61, v77, v71 offset1:1
	ds_write2_b32 v61, v76, v72 offset0:2 offset1:3
	ds_write2_b32 v61, v73, v75 offset0:4 offset1:5
	;; [unrolled: 1-line block ×3, first 2 shown]
	v_lshlrev_b32_e32 v71, 2, v79
	v_lshlrev_b32_e32 v72, 2, v84
	;; [unrolled: 1-line block ×8, first 2 shown]
	s_waitcnt lgkmcnt(0)
	s_barrier
	ds_read_b32 v71, v71
	ds_read_b32 v72, v72
	;; [unrolled: 1-line block ×8, first 2 shown]
	v_cndmask_b32_e64 v81, v100, v102, s[16:17]
	s_waitcnt lgkmcnt(0)
	s_barrier
	ds_write2_b32 v61, v80, v83 offset1:1
	ds_write2_b32 v61, v87, v91 offset0:2 offset1:3
	ds_write2_b32 v61, v95, v99 offset0:4 offset1:5
	;; [unrolled: 1-line block ×3, first 2 shown]
	v_mov_b32_e32 v81, v27
	s_waitcnt lgkmcnt(0)
	s_barrier
	s_and_saveexec_b64 s[18:19], s[0:1]
	s_cbranch_execz .LBB39_38
; %bb.35:                               ;   in Loop: Header=BB39_2 Depth=1
	s_mov_b64 s[20:21], 0
	v_mov_b32_e32 v81, v27
	v_mov_b32_e32 v79, v28
.LBB39_36:                              ;   Parent Loop BB39_2 Depth=1
                                        ; =>  This Inner Loop Header: Depth=2
	v_sub_u32_e32 v80, v79, v81
	v_lshrrev_b32_e32 v80, 1, v80
	v_add_u32_e32 v80, v80, v81
	v_not_b32_e32 v83, v80
	v_lshl_add_u32 v82, v80, 2, v63
	v_lshl_add_u32 v83, v83, 2, v48
	ds_read_b32 v82, v82
	ds_read_b32 v83, v83
	v_add_u32_e32 v84, 1, v80
	s_waitcnt lgkmcnt(0)
	v_cmp_lt_i32_e64 s[16:17], v83, v82
	v_cndmask_b32_e64 v79, v79, v80, s[16:17]
	v_cndmask_b32_e64 v81, v84, v81, s[16:17]
	v_cmp_ge_i32_e64 s[16:17], v81, v79
	s_or_b64 s[20:21], s[16:17], s[20:21]
	s_andn2_b64 exec, exec, s[20:21]
	s_cbranch_execnz .LBB39_36
; %bb.37:                               ;   in Loop: Header=BB39_2 Depth=1
	s_or_b64 exec, exec, s[20:21]
.LBB39_38:                              ;   in Loop: Header=BB39_2 Depth=1
	s_or_b64 exec, exec, s[18:19]
	v_sub_u32_e32 v79, v47, v81
	v_lshl_add_u32 v84, v81, 2, v63
	v_lshlrev_b32_e32 v85, 2, v79
	ds_read_b32 v80, v84
	ds_read_b32 v82, v85
	v_add_u32_e32 v81, v81, v4
	v_cmp_le_i32_e64 s[18:19], v5, v81
	v_cmp_gt_i32_e64 s[16:17], v6, v79
                                        ; implicit-def: $vgpr83
	s_waitcnt lgkmcnt(0)
	v_cmp_lt_i32_e64 s[20:21], v82, v80
	s_or_b64 s[18:19], s[18:19], s[20:21]
	s_and_b64 s[16:17], s[16:17], s[18:19]
	s_xor_b64 s[18:19], s[16:17], -1
	s_and_saveexec_b64 s[20:21], s[18:19]
	s_xor_b64 s[18:19], exec, s[20:21]
; %bb.39:                               ;   in Loop: Header=BB39_2 Depth=1
	ds_read_b32 v83, v84 offset:4
                                        ; implicit-def: $vgpr85
; %bb.40:                               ;   in Loop: Header=BB39_2 Depth=1
	s_or_saveexec_b64 s[18:19], s[18:19]
	v_mov_b32_e32 v84, v82
	s_xor_b64 exec, exec, s[18:19]
	s_cbranch_execz .LBB39_42
; %bb.41:                               ;   in Loop: Header=BB39_2 Depth=1
	ds_read_b32 v84, v85 offset:4
	s_waitcnt lgkmcnt(1)
	v_mov_b32_e32 v83, v80
.LBB39_42:                              ;   in Loop: Header=BB39_2 Depth=1
	s_or_b64 exec, exec, s[18:19]
	v_add_u32_e32 v86, 1, v81
	v_add_u32_e32 v85, 1, v79
	v_cndmask_b32_e64 v86, v86, v81, s[16:17]
	v_cndmask_b32_e64 v85, v79, v85, s[16:17]
	v_cmp_ge_i32_e64 s[20:21], v86, v5
	s_waitcnt lgkmcnt(0)
	v_cmp_lt_i32_e64 s[22:23], v84, v83
	v_cmp_lt_i32_e64 s[18:19], v85, v6
	s_or_b64 s[20:21], s[20:21], s[22:23]
	s_and_b64 s[18:19], s[18:19], s[20:21]
	s_xor_b64 s[20:21], s[18:19], -1
                                        ; implicit-def: $vgpr87
	s_and_saveexec_b64 s[22:23], s[20:21]
	s_xor_b64 s[20:21], exec, s[22:23]
; %bb.43:                               ;   in Loop: Header=BB39_2 Depth=1
	v_lshlrev_b32_e32 v87, 2, v86
	ds_read_b32 v87, v87 offset:4
; %bb.44:                               ;   in Loop: Header=BB39_2 Depth=1
	s_or_saveexec_b64 s[20:21], s[20:21]
	v_mov_b32_e32 v88, v84
	s_xor_b64 exec, exec, s[20:21]
	s_cbranch_execz .LBB39_46
; %bb.45:                               ;   in Loop: Header=BB39_2 Depth=1
	s_waitcnt lgkmcnt(0)
	v_lshlrev_b32_e32 v87, 2, v85
	ds_read_b32 v88, v87 offset:4
	v_mov_b32_e32 v87, v83
.LBB39_46:                              ;   in Loop: Header=BB39_2 Depth=1
	s_or_b64 exec, exec, s[20:21]
	v_add_u32_e32 v90, 1, v86
	v_add_u32_e32 v89, 1, v85
	v_cndmask_b32_e64 v90, v90, v86, s[18:19]
	v_cndmask_b32_e64 v89, v85, v89, s[18:19]
	v_cmp_ge_i32_e64 s[22:23], v90, v5
	s_waitcnt lgkmcnt(0)
	v_cmp_lt_i32_e64 s[24:25], v88, v87
	v_cmp_lt_i32_e64 s[20:21], v89, v6
	s_or_b64 s[22:23], s[22:23], s[24:25]
	s_and_b64 s[20:21], s[20:21], s[22:23]
	s_xor_b64 s[22:23], s[20:21], -1
                                        ; implicit-def: $vgpr91
	s_and_saveexec_b64 s[24:25], s[22:23]
	s_xor_b64 s[22:23], exec, s[24:25]
; %bb.47:                               ;   in Loop: Header=BB39_2 Depth=1
	v_lshlrev_b32_e32 v91, 2, v90
	ds_read_b32 v91, v91 offset:4
; %bb.48:                               ;   in Loop: Header=BB39_2 Depth=1
	s_or_saveexec_b64 s[22:23], s[22:23]
	v_mov_b32_e32 v92, v88
	s_xor_b64 exec, exec, s[22:23]
	s_cbranch_execz .LBB39_50
; %bb.49:                               ;   in Loop: Header=BB39_2 Depth=1
	s_waitcnt lgkmcnt(0)
	v_lshlrev_b32_e32 v91, 2, v89
	ds_read_b32 v92, v91 offset:4
	v_mov_b32_e32 v91, v87
.LBB39_50:                              ;   in Loop: Header=BB39_2 Depth=1
	s_or_b64 exec, exec, s[22:23]
	v_add_u32_e32 v94, 1, v90
	v_add_u32_e32 v93, 1, v89
	v_cndmask_b32_e64 v94, v94, v90, s[20:21]
	v_cndmask_b32_e64 v93, v89, v93, s[20:21]
	v_cmp_ge_i32_e64 s[24:25], v94, v5
	s_waitcnt lgkmcnt(0)
	v_cmp_lt_i32_e64 s[26:27], v92, v91
	v_cmp_lt_i32_e64 s[22:23], v93, v6
	s_or_b64 s[24:25], s[24:25], s[26:27]
	s_and_b64 s[22:23], s[22:23], s[24:25]
	s_xor_b64 s[24:25], s[22:23], -1
                                        ; implicit-def: $vgpr95
	s_and_saveexec_b64 s[26:27], s[24:25]
	s_xor_b64 s[24:25], exec, s[26:27]
; %bb.51:                               ;   in Loop: Header=BB39_2 Depth=1
	v_lshlrev_b32_e32 v95, 2, v94
	ds_read_b32 v95, v95 offset:4
; %bb.52:                               ;   in Loop: Header=BB39_2 Depth=1
	s_or_saveexec_b64 s[24:25], s[24:25]
	v_mov_b32_e32 v96, v92
	s_xor_b64 exec, exec, s[24:25]
	s_cbranch_execz .LBB39_54
; %bb.53:                               ;   in Loop: Header=BB39_2 Depth=1
	s_waitcnt lgkmcnt(0)
	v_lshlrev_b32_e32 v95, 2, v93
	ds_read_b32 v96, v95 offset:4
	v_mov_b32_e32 v95, v91
.LBB39_54:                              ;   in Loop: Header=BB39_2 Depth=1
	s_or_b64 exec, exec, s[24:25]
	v_add_u32_e32 v98, 1, v94
	v_add_u32_e32 v97, 1, v93
	v_cndmask_b32_e64 v98, v98, v94, s[22:23]
	v_cndmask_b32_e64 v97, v93, v97, s[22:23]
	v_cmp_ge_i32_e64 s[26:27], v98, v5
	s_waitcnt lgkmcnt(0)
	v_cmp_lt_i32_e64 s[28:29], v96, v95
	v_cmp_lt_i32_e64 s[24:25], v97, v6
	s_or_b64 s[26:27], s[26:27], s[28:29]
	s_and_b64 s[24:25], s[24:25], s[26:27]
	s_xor_b64 s[26:27], s[24:25], -1
                                        ; implicit-def: $vgpr99
	s_and_saveexec_b64 s[28:29], s[26:27]
	s_xor_b64 s[26:27], exec, s[28:29]
; %bb.55:                               ;   in Loop: Header=BB39_2 Depth=1
	v_lshlrev_b32_e32 v99, 2, v98
	ds_read_b32 v99, v99 offset:4
; %bb.56:                               ;   in Loop: Header=BB39_2 Depth=1
	s_or_saveexec_b64 s[26:27], s[26:27]
	v_mov_b32_e32 v100, v96
	s_xor_b64 exec, exec, s[26:27]
	s_cbranch_execz .LBB39_58
; %bb.57:                               ;   in Loop: Header=BB39_2 Depth=1
	s_waitcnt lgkmcnt(0)
	v_lshlrev_b32_e32 v99, 2, v97
	ds_read_b32 v100, v99 offset:4
	v_mov_b32_e32 v99, v95
.LBB39_58:                              ;   in Loop: Header=BB39_2 Depth=1
	s_or_b64 exec, exec, s[26:27]
	v_add_u32_e32 v102, 1, v98
	v_add_u32_e32 v101, 1, v97
	v_cndmask_b32_e64 v102, v102, v98, s[24:25]
	v_cndmask_b32_e64 v101, v97, v101, s[24:25]
	v_cmp_ge_i32_e64 s[28:29], v102, v5
	s_waitcnt lgkmcnt(0)
	v_cmp_lt_i32_e64 s[30:31], v100, v99
	v_cmp_lt_i32_e64 s[26:27], v101, v6
	s_or_b64 s[28:29], s[28:29], s[30:31]
	s_and_b64 s[26:27], s[26:27], s[28:29]
	s_xor_b64 s[28:29], s[26:27], -1
                                        ; implicit-def: $vgpr103
	s_and_saveexec_b64 s[30:31], s[28:29]
	s_xor_b64 s[28:29], exec, s[30:31]
; %bb.59:                               ;   in Loop: Header=BB39_2 Depth=1
	v_lshlrev_b32_e32 v103, 2, v102
	ds_read_b32 v103, v103 offset:4
; %bb.60:                               ;   in Loop: Header=BB39_2 Depth=1
	s_or_saveexec_b64 s[28:29], s[28:29]
	v_mov_b32_e32 v104, v100
	s_xor_b64 exec, exec, s[28:29]
	s_cbranch_execz .LBB39_62
; %bb.61:                               ;   in Loop: Header=BB39_2 Depth=1
	s_waitcnt lgkmcnt(0)
	v_lshlrev_b32_e32 v103, 2, v101
	ds_read_b32 v104, v103 offset:4
	v_mov_b32_e32 v103, v99
.LBB39_62:                              ;   in Loop: Header=BB39_2 Depth=1
	s_or_b64 exec, exec, s[28:29]
	v_add_u32_e32 v107, 1, v102
	v_add_u32_e32 v105, 1, v101
	v_cndmask_b32_e64 v107, v107, v102, s[26:27]
	v_cndmask_b32_e64 v106, v101, v105, s[26:27]
	v_cmp_ge_i32_e64 s[30:31], v107, v5
	s_waitcnt lgkmcnt(0)
	v_cmp_lt_i32_e64 s[34:35], v104, v103
	v_cmp_lt_i32_e64 s[28:29], v106, v6
	s_or_b64 s[30:31], s[30:31], s[34:35]
	s_and_b64 s[28:29], s[28:29], s[30:31]
	s_xor_b64 s[30:31], s[28:29], -1
                                        ; implicit-def: $vgpr105
	s_and_saveexec_b64 s[34:35], s[30:31]
	s_xor_b64 s[30:31], exec, s[34:35]
; %bb.63:                               ;   in Loop: Header=BB39_2 Depth=1
	v_lshlrev_b32_e32 v105, 2, v107
	ds_read_b32 v105, v105 offset:4
; %bb.64:                               ;   in Loop: Header=BB39_2 Depth=1
	s_or_saveexec_b64 s[30:31], s[30:31]
	v_mov_b32_e32 v108, v104
	s_xor_b64 exec, exec, s[30:31]
	s_cbranch_execz .LBB39_66
; %bb.65:                               ;   in Loop: Header=BB39_2 Depth=1
	s_waitcnt lgkmcnt(0)
	v_lshlrev_b32_e32 v105, 2, v106
	ds_read_b32 v108, v105 offset:4
	v_mov_b32_e32 v105, v103
.LBB39_66:                              ;   in Loop: Header=BB39_2 Depth=1
	s_or_b64 exec, exec, s[30:31]
	v_add_u32_e32 v109, 1, v107
	v_cndmask_b32_e64 v103, v103, v104, s[28:29]
	v_add_u32_e32 v104, 1, v106
	v_cndmask_b32_e64 v109, v109, v107, s[28:29]
	v_cndmask_b32_e64 v104, v106, v104, s[28:29]
	;; [unrolled: 1-line block ×6, first 2 shown]
	v_cmp_ge_i32_e64 s[18:19], v109, v5
	s_waitcnt lgkmcnt(0)
	v_cmp_lt_i32_e64 s[20:21], v108, v105
	v_cndmask_b32_e64 v80, v80, v82, s[16:17]
	v_cndmask_b32_e64 v79, v81, v79, s[16:17]
	v_cmp_lt_i32_e64 s[16:17], v104, v6
	s_or_b64 s[18:19], s[18:19], s[20:21]
	s_and_b64 s[16:17], s[16:17], s[18:19]
	v_cndmask_b32_e64 v106, v107, v106, s[28:29]
	v_cndmask_b32_e64 v99, v99, v100, s[26:27]
	v_cndmask_b32_e64 v100, v102, v101, s[26:27]
	v_cndmask_b32_e64 v95, v95, v96, s[24:25]
	v_cndmask_b32_e64 v96, v98, v97, s[24:25]
	v_cndmask_b32_e64 v91, v91, v92, s[22:23]
	v_cndmask_b32_e64 v92, v94, v93, s[22:23]
	v_cndmask_b32_e64 v82, v109, v104, s[16:17]
	s_barrier
	ds_write2_b32 v61, v71, v72 offset1:1
	ds_write2_b32 v61, v73, v74 offset0:2 offset1:3
	ds_write2_b32 v61, v75, v76 offset0:4 offset1:5
	;; [unrolled: 1-line block ×3, first 2 shown]
	v_lshlrev_b32_e32 v71, 2, v79
	v_lshlrev_b32_e32 v72, 2, v84
	;; [unrolled: 1-line block ×8, first 2 shown]
	s_waitcnt lgkmcnt(0)
	s_barrier
	ds_read_b32 v71, v71
	ds_read_b32 v72, v72
	;; [unrolled: 1-line block ×8, first 2 shown]
	v_cndmask_b32_e64 v81, v105, v108, s[16:17]
	s_waitcnt lgkmcnt(0)
	s_barrier
	ds_write2_b32 v61, v80, v83 offset1:1
	ds_write2_b32 v61, v87, v91 offset0:2 offset1:3
	ds_write2_b32 v61, v95, v99 offset0:4 offset1:5
	;; [unrolled: 1-line block ×3, first 2 shown]
	v_mov_b32_e32 v81, v29
	s_waitcnt lgkmcnt(0)
	s_barrier
	s_and_saveexec_b64 s[18:19], s[2:3]
	s_cbranch_execz .LBB39_70
; %bb.67:                               ;   in Loop: Header=BB39_2 Depth=1
	s_mov_b64 s[20:21], 0
	v_mov_b32_e32 v81, v29
	v_mov_b32_e32 v79, v30
.LBB39_68:                              ;   Parent Loop BB39_2 Depth=1
                                        ; =>  This Inner Loop Header: Depth=2
	v_sub_u32_e32 v80, v79, v81
	v_lshrrev_b32_e32 v80, 1, v80
	v_add_u32_e32 v80, v80, v81
	v_not_b32_e32 v83, v80
	v_lshl_add_u32 v82, v80, 2, v64
	v_lshl_add_u32 v83, v83, 2, v50
	ds_read_b32 v82, v82
	ds_read_b32 v83, v83
	v_add_u32_e32 v84, 1, v80
	s_waitcnt lgkmcnt(0)
	v_cmp_lt_i32_e64 s[16:17], v83, v82
	v_cndmask_b32_e64 v79, v79, v80, s[16:17]
	v_cndmask_b32_e64 v81, v84, v81, s[16:17]
	v_cmp_ge_i32_e64 s[16:17], v81, v79
	s_or_b64 s[20:21], s[16:17], s[20:21]
	s_andn2_b64 exec, exec, s[20:21]
	s_cbranch_execnz .LBB39_68
; %bb.69:                               ;   in Loop: Header=BB39_2 Depth=1
	s_or_b64 exec, exec, s[20:21]
.LBB39_70:                              ;   in Loop: Header=BB39_2 Depth=1
	s_or_b64 exec, exec, s[18:19]
	v_sub_u32_e32 v79, v49, v81
	v_lshl_add_u32 v84, v81, 2, v64
	v_lshlrev_b32_e32 v85, 2, v79
	ds_read_b32 v80, v84
	ds_read_b32 v82, v85
	v_add_u32_e32 v81, v81, v7
	v_cmp_le_i32_e64 s[18:19], v8, v81
	v_cmp_gt_i32_e64 s[16:17], v9, v79
                                        ; implicit-def: $vgpr83
	s_waitcnt lgkmcnt(0)
	v_cmp_lt_i32_e64 s[20:21], v82, v80
	s_or_b64 s[18:19], s[18:19], s[20:21]
	s_and_b64 s[16:17], s[16:17], s[18:19]
	s_xor_b64 s[18:19], s[16:17], -1
	s_and_saveexec_b64 s[20:21], s[18:19]
	s_xor_b64 s[18:19], exec, s[20:21]
; %bb.71:                               ;   in Loop: Header=BB39_2 Depth=1
	ds_read_b32 v83, v84 offset:4
                                        ; implicit-def: $vgpr85
; %bb.72:                               ;   in Loop: Header=BB39_2 Depth=1
	s_or_saveexec_b64 s[18:19], s[18:19]
	v_mov_b32_e32 v84, v82
	s_xor_b64 exec, exec, s[18:19]
	s_cbranch_execz .LBB39_74
; %bb.73:                               ;   in Loop: Header=BB39_2 Depth=1
	ds_read_b32 v84, v85 offset:4
	s_waitcnt lgkmcnt(1)
	v_mov_b32_e32 v83, v80
.LBB39_74:                              ;   in Loop: Header=BB39_2 Depth=1
	s_or_b64 exec, exec, s[18:19]
	v_add_u32_e32 v86, 1, v81
	v_add_u32_e32 v85, 1, v79
	v_cndmask_b32_e64 v86, v86, v81, s[16:17]
	v_cndmask_b32_e64 v85, v79, v85, s[16:17]
	v_cmp_ge_i32_e64 s[20:21], v86, v8
	s_waitcnt lgkmcnt(0)
	v_cmp_lt_i32_e64 s[22:23], v84, v83
	v_cmp_lt_i32_e64 s[18:19], v85, v9
	s_or_b64 s[20:21], s[20:21], s[22:23]
	s_and_b64 s[18:19], s[18:19], s[20:21]
	s_xor_b64 s[20:21], s[18:19], -1
                                        ; implicit-def: $vgpr87
	s_and_saveexec_b64 s[22:23], s[20:21]
	s_xor_b64 s[20:21], exec, s[22:23]
; %bb.75:                               ;   in Loop: Header=BB39_2 Depth=1
	v_lshlrev_b32_e32 v87, 2, v86
	ds_read_b32 v87, v87 offset:4
; %bb.76:                               ;   in Loop: Header=BB39_2 Depth=1
	s_or_saveexec_b64 s[20:21], s[20:21]
	v_mov_b32_e32 v88, v84
	s_xor_b64 exec, exec, s[20:21]
	s_cbranch_execz .LBB39_78
; %bb.77:                               ;   in Loop: Header=BB39_2 Depth=1
	s_waitcnt lgkmcnt(0)
	v_lshlrev_b32_e32 v87, 2, v85
	ds_read_b32 v88, v87 offset:4
	v_mov_b32_e32 v87, v83
.LBB39_78:                              ;   in Loop: Header=BB39_2 Depth=1
	s_or_b64 exec, exec, s[20:21]
	v_add_u32_e32 v90, 1, v86
	v_add_u32_e32 v89, 1, v85
	v_cndmask_b32_e64 v90, v90, v86, s[18:19]
	v_cndmask_b32_e64 v89, v85, v89, s[18:19]
	v_cmp_ge_i32_e64 s[22:23], v90, v8
	s_waitcnt lgkmcnt(0)
	v_cmp_lt_i32_e64 s[24:25], v88, v87
	v_cmp_lt_i32_e64 s[20:21], v89, v9
	s_or_b64 s[22:23], s[22:23], s[24:25]
	s_and_b64 s[20:21], s[20:21], s[22:23]
	s_xor_b64 s[22:23], s[20:21], -1
                                        ; implicit-def: $vgpr91
	s_and_saveexec_b64 s[24:25], s[22:23]
	s_xor_b64 s[22:23], exec, s[24:25]
; %bb.79:                               ;   in Loop: Header=BB39_2 Depth=1
	v_lshlrev_b32_e32 v91, 2, v90
	ds_read_b32 v91, v91 offset:4
; %bb.80:                               ;   in Loop: Header=BB39_2 Depth=1
	s_or_saveexec_b64 s[22:23], s[22:23]
	v_mov_b32_e32 v92, v88
	s_xor_b64 exec, exec, s[22:23]
	s_cbranch_execz .LBB39_82
; %bb.81:                               ;   in Loop: Header=BB39_2 Depth=1
	s_waitcnt lgkmcnt(0)
	v_lshlrev_b32_e32 v91, 2, v89
	ds_read_b32 v92, v91 offset:4
	v_mov_b32_e32 v91, v87
.LBB39_82:                              ;   in Loop: Header=BB39_2 Depth=1
	s_or_b64 exec, exec, s[22:23]
	v_add_u32_e32 v94, 1, v90
	v_add_u32_e32 v93, 1, v89
	v_cndmask_b32_e64 v94, v94, v90, s[20:21]
	v_cndmask_b32_e64 v93, v89, v93, s[20:21]
	v_cmp_ge_i32_e64 s[24:25], v94, v8
	s_waitcnt lgkmcnt(0)
	v_cmp_lt_i32_e64 s[26:27], v92, v91
	v_cmp_lt_i32_e64 s[22:23], v93, v9
	s_or_b64 s[24:25], s[24:25], s[26:27]
	s_and_b64 s[22:23], s[22:23], s[24:25]
	s_xor_b64 s[24:25], s[22:23], -1
                                        ; implicit-def: $vgpr95
	s_and_saveexec_b64 s[26:27], s[24:25]
	s_xor_b64 s[24:25], exec, s[26:27]
; %bb.83:                               ;   in Loop: Header=BB39_2 Depth=1
	v_lshlrev_b32_e32 v95, 2, v94
	ds_read_b32 v95, v95 offset:4
; %bb.84:                               ;   in Loop: Header=BB39_2 Depth=1
	s_or_saveexec_b64 s[24:25], s[24:25]
	v_mov_b32_e32 v96, v92
	s_xor_b64 exec, exec, s[24:25]
	s_cbranch_execz .LBB39_86
; %bb.85:                               ;   in Loop: Header=BB39_2 Depth=1
	s_waitcnt lgkmcnt(0)
	v_lshlrev_b32_e32 v95, 2, v93
	ds_read_b32 v96, v95 offset:4
	v_mov_b32_e32 v95, v91
.LBB39_86:                              ;   in Loop: Header=BB39_2 Depth=1
	s_or_b64 exec, exec, s[24:25]
	v_add_u32_e32 v98, 1, v94
	v_add_u32_e32 v97, 1, v93
	v_cndmask_b32_e64 v98, v98, v94, s[22:23]
	v_cndmask_b32_e64 v97, v93, v97, s[22:23]
	v_cmp_ge_i32_e64 s[26:27], v98, v8
	s_waitcnt lgkmcnt(0)
	v_cmp_lt_i32_e64 s[28:29], v96, v95
	v_cmp_lt_i32_e64 s[24:25], v97, v9
	s_or_b64 s[26:27], s[26:27], s[28:29]
	s_and_b64 s[24:25], s[24:25], s[26:27]
	s_xor_b64 s[26:27], s[24:25], -1
                                        ; implicit-def: $vgpr99
	s_and_saveexec_b64 s[28:29], s[26:27]
	s_xor_b64 s[26:27], exec, s[28:29]
; %bb.87:                               ;   in Loop: Header=BB39_2 Depth=1
	v_lshlrev_b32_e32 v99, 2, v98
	ds_read_b32 v99, v99 offset:4
; %bb.88:                               ;   in Loop: Header=BB39_2 Depth=1
	s_or_saveexec_b64 s[26:27], s[26:27]
	v_mov_b32_e32 v100, v96
	s_xor_b64 exec, exec, s[26:27]
	s_cbranch_execz .LBB39_90
; %bb.89:                               ;   in Loop: Header=BB39_2 Depth=1
	s_waitcnt lgkmcnt(0)
	v_lshlrev_b32_e32 v99, 2, v97
	ds_read_b32 v100, v99 offset:4
	v_mov_b32_e32 v99, v95
.LBB39_90:                              ;   in Loop: Header=BB39_2 Depth=1
	s_or_b64 exec, exec, s[26:27]
	v_add_u32_e32 v102, 1, v98
	v_add_u32_e32 v101, 1, v97
	v_cndmask_b32_e64 v102, v102, v98, s[24:25]
	v_cndmask_b32_e64 v101, v97, v101, s[24:25]
	v_cmp_ge_i32_e64 s[28:29], v102, v8
	s_waitcnt lgkmcnt(0)
	v_cmp_lt_i32_e64 s[30:31], v100, v99
	v_cmp_lt_i32_e64 s[26:27], v101, v9
	s_or_b64 s[28:29], s[28:29], s[30:31]
	s_and_b64 s[26:27], s[26:27], s[28:29]
	s_xor_b64 s[28:29], s[26:27], -1
                                        ; implicit-def: $vgpr103
	s_and_saveexec_b64 s[30:31], s[28:29]
	s_xor_b64 s[28:29], exec, s[30:31]
; %bb.91:                               ;   in Loop: Header=BB39_2 Depth=1
	v_lshlrev_b32_e32 v103, 2, v102
	ds_read_b32 v103, v103 offset:4
; %bb.92:                               ;   in Loop: Header=BB39_2 Depth=1
	s_or_saveexec_b64 s[28:29], s[28:29]
	v_mov_b32_e32 v104, v100
	s_xor_b64 exec, exec, s[28:29]
	s_cbranch_execz .LBB39_94
; %bb.93:                               ;   in Loop: Header=BB39_2 Depth=1
	s_waitcnt lgkmcnt(0)
	v_lshlrev_b32_e32 v103, 2, v101
	ds_read_b32 v104, v103 offset:4
	v_mov_b32_e32 v103, v99
.LBB39_94:                              ;   in Loop: Header=BB39_2 Depth=1
	s_or_b64 exec, exec, s[28:29]
	v_add_u32_e32 v107, 1, v102
	v_add_u32_e32 v105, 1, v101
	v_cndmask_b32_e64 v107, v107, v102, s[26:27]
	v_cndmask_b32_e64 v106, v101, v105, s[26:27]
	v_cmp_ge_i32_e64 s[30:31], v107, v8
	s_waitcnt lgkmcnt(0)
	v_cmp_lt_i32_e64 s[34:35], v104, v103
	v_cmp_lt_i32_e64 s[28:29], v106, v9
	s_or_b64 s[30:31], s[30:31], s[34:35]
	s_and_b64 s[28:29], s[28:29], s[30:31]
	s_xor_b64 s[30:31], s[28:29], -1
                                        ; implicit-def: $vgpr105
	s_and_saveexec_b64 s[34:35], s[30:31]
	s_xor_b64 s[30:31], exec, s[34:35]
; %bb.95:                               ;   in Loop: Header=BB39_2 Depth=1
	v_lshlrev_b32_e32 v105, 2, v107
	ds_read_b32 v105, v105 offset:4
; %bb.96:                               ;   in Loop: Header=BB39_2 Depth=1
	s_or_saveexec_b64 s[30:31], s[30:31]
	v_mov_b32_e32 v108, v104
	s_xor_b64 exec, exec, s[30:31]
	s_cbranch_execz .LBB39_98
; %bb.97:                               ;   in Loop: Header=BB39_2 Depth=1
	s_waitcnt lgkmcnt(0)
	v_lshlrev_b32_e32 v105, 2, v106
	ds_read_b32 v108, v105 offset:4
	v_mov_b32_e32 v105, v103
.LBB39_98:                              ;   in Loop: Header=BB39_2 Depth=1
	s_or_b64 exec, exec, s[30:31]
	v_add_u32_e32 v109, 1, v107
	v_cndmask_b32_e64 v103, v103, v104, s[28:29]
	v_add_u32_e32 v104, 1, v106
	v_cndmask_b32_e64 v109, v109, v107, s[28:29]
	v_cndmask_b32_e64 v104, v106, v104, s[28:29]
	v_cndmask_b32_e64 v87, v87, v88, s[20:21]
	v_cndmask_b32_e64 v88, v90, v89, s[20:21]
	v_cndmask_b32_e64 v83, v83, v84, s[18:19]
	v_cndmask_b32_e64 v84, v86, v85, s[18:19]
	v_cmp_ge_i32_e64 s[18:19], v109, v8
	s_waitcnt lgkmcnt(0)
	v_cmp_lt_i32_e64 s[20:21], v108, v105
	v_cndmask_b32_e64 v80, v80, v82, s[16:17]
	v_cndmask_b32_e64 v79, v81, v79, s[16:17]
	v_cmp_lt_i32_e64 s[16:17], v104, v9
	s_or_b64 s[18:19], s[18:19], s[20:21]
	s_and_b64 s[16:17], s[16:17], s[18:19]
	v_cndmask_b32_e64 v106, v107, v106, s[28:29]
	v_cndmask_b32_e64 v99, v99, v100, s[26:27]
	;; [unrolled: 1-line block ×8, first 2 shown]
	s_barrier
	ds_write2_b32 v61, v71, v72 offset1:1
	ds_write2_b32 v61, v73, v74 offset0:2 offset1:3
	ds_write2_b32 v61, v75, v76 offset0:4 offset1:5
	;; [unrolled: 1-line block ×3, first 2 shown]
	v_lshlrev_b32_e32 v71, 2, v79
	v_lshlrev_b32_e32 v72, 2, v84
	v_lshlrev_b32_e32 v73, 2, v88
	v_lshlrev_b32_e32 v74, 2, v92
	v_lshlrev_b32_e32 v75, 2, v96
	v_lshlrev_b32_e32 v76, 2, v100
	v_lshlrev_b32_e32 v77, 2, v106
	v_lshlrev_b32_e32 v78, 2, v82
	s_waitcnt lgkmcnt(0)
	s_barrier
	ds_read_b32 v71, v71
	ds_read_b32 v72, v72
	;; [unrolled: 1-line block ×8, first 2 shown]
	v_cndmask_b32_e64 v81, v105, v108, s[16:17]
	s_waitcnt lgkmcnt(0)
	s_barrier
	ds_write2_b32 v61, v80, v83 offset1:1
	ds_write2_b32 v61, v87, v91 offset0:2 offset1:3
	ds_write2_b32 v61, v95, v99 offset0:4 offset1:5
	;; [unrolled: 1-line block ×3, first 2 shown]
	v_mov_b32_e32 v81, v31
	s_waitcnt lgkmcnt(0)
	s_barrier
	s_and_saveexec_b64 s[18:19], s[4:5]
	s_cbranch_execz .LBB39_102
; %bb.99:                               ;   in Loop: Header=BB39_2 Depth=1
	s_mov_b64 s[20:21], 0
	v_mov_b32_e32 v81, v31
	v_mov_b32_e32 v79, v32
.LBB39_100:                             ;   Parent Loop BB39_2 Depth=1
                                        ; =>  This Inner Loop Header: Depth=2
	v_sub_u32_e32 v80, v79, v81
	v_lshrrev_b32_e32 v80, 1, v80
	v_add_u32_e32 v80, v80, v81
	v_not_b32_e32 v83, v80
	v_lshl_add_u32 v82, v80, 2, v65
	v_lshl_add_u32 v83, v83, 2, v52
	ds_read_b32 v82, v82
	ds_read_b32 v83, v83
	v_add_u32_e32 v84, 1, v80
	s_waitcnt lgkmcnt(0)
	v_cmp_lt_i32_e64 s[16:17], v83, v82
	v_cndmask_b32_e64 v79, v79, v80, s[16:17]
	v_cndmask_b32_e64 v81, v84, v81, s[16:17]
	v_cmp_ge_i32_e64 s[16:17], v81, v79
	s_or_b64 s[20:21], s[16:17], s[20:21]
	s_andn2_b64 exec, exec, s[20:21]
	s_cbranch_execnz .LBB39_100
; %bb.101:                              ;   in Loop: Header=BB39_2 Depth=1
	s_or_b64 exec, exec, s[20:21]
.LBB39_102:                             ;   in Loop: Header=BB39_2 Depth=1
	s_or_b64 exec, exec, s[18:19]
	v_sub_u32_e32 v79, v51, v81
	v_lshl_add_u32 v84, v81, 2, v65
	v_lshlrev_b32_e32 v85, 2, v79
	ds_read_b32 v80, v84
	ds_read_b32 v82, v85
	v_add_u32_e32 v81, v81, v10
	v_cmp_le_i32_e64 s[18:19], v11, v81
	v_cmp_gt_i32_e64 s[16:17], v12, v79
                                        ; implicit-def: $vgpr83
	s_waitcnt lgkmcnt(0)
	v_cmp_lt_i32_e64 s[20:21], v82, v80
	s_or_b64 s[18:19], s[18:19], s[20:21]
	s_and_b64 s[16:17], s[16:17], s[18:19]
	s_xor_b64 s[18:19], s[16:17], -1
	s_and_saveexec_b64 s[20:21], s[18:19]
	s_xor_b64 s[18:19], exec, s[20:21]
; %bb.103:                              ;   in Loop: Header=BB39_2 Depth=1
	ds_read_b32 v83, v84 offset:4
                                        ; implicit-def: $vgpr85
; %bb.104:                              ;   in Loop: Header=BB39_2 Depth=1
	s_or_saveexec_b64 s[18:19], s[18:19]
	v_mov_b32_e32 v84, v82
	s_xor_b64 exec, exec, s[18:19]
	s_cbranch_execz .LBB39_106
; %bb.105:                              ;   in Loop: Header=BB39_2 Depth=1
	ds_read_b32 v84, v85 offset:4
	s_waitcnt lgkmcnt(1)
	v_mov_b32_e32 v83, v80
.LBB39_106:                             ;   in Loop: Header=BB39_2 Depth=1
	s_or_b64 exec, exec, s[18:19]
	v_add_u32_e32 v86, 1, v81
	v_add_u32_e32 v85, 1, v79
	v_cndmask_b32_e64 v86, v86, v81, s[16:17]
	v_cndmask_b32_e64 v85, v79, v85, s[16:17]
	v_cmp_ge_i32_e64 s[20:21], v86, v11
	s_waitcnt lgkmcnt(0)
	v_cmp_lt_i32_e64 s[22:23], v84, v83
	v_cmp_lt_i32_e64 s[18:19], v85, v12
	s_or_b64 s[20:21], s[20:21], s[22:23]
	s_and_b64 s[18:19], s[18:19], s[20:21]
	s_xor_b64 s[20:21], s[18:19], -1
                                        ; implicit-def: $vgpr87
	s_and_saveexec_b64 s[22:23], s[20:21]
	s_xor_b64 s[20:21], exec, s[22:23]
; %bb.107:                              ;   in Loop: Header=BB39_2 Depth=1
	v_lshlrev_b32_e32 v87, 2, v86
	ds_read_b32 v87, v87 offset:4
; %bb.108:                              ;   in Loop: Header=BB39_2 Depth=1
	s_or_saveexec_b64 s[20:21], s[20:21]
	v_mov_b32_e32 v88, v84
	s_xor_b64 exec, exec, s[20:21]
	s_cbranch_execz .LBB39_110
; %bb.109:                              ;   in Loop: Header=BB39_2 Depth=1
	s_waitcnt lgkmcnt(0)
	v_lshlrev_b32_e32 v87, 2, v85
	ds_read_b32 v88, v87 offset:4
	v_mov_b32_e32 v87, v83
.LBB39_110:                             ;   in Loop: Header=BB39_2 Depth=1
	s_or_b64 exec, exec, s[20:21]
	v_add_u32_e32 v90, 1, v86
	v_add_u32_e32 v89, 1, v85
	v_cndmask_b32_e64 v90, v90, v86, s[18:19]
	v_cndmask_b32_e64 v89, v85, v89, s[18:19]
	v_cmp_ge_i32_e64 s[22:23], v90, v11
	s_waitcnt lgkmcnt(0)
	v_cmp_lt_i32_e64 s[24:25], v88, v87
	v_cmp_lt_i32_e64 s[20:21], v89, v12
	s_or_b64 s[22:23], s[22:23], s[24:25]
	s_and_b64 s[20:21], s[20:21], s[22:23]
	s_xor_b64 s[22:23], s[20:21], -1
                                        ; implicit-def: $vgpr91
	s_and_saveexec_b64 s[24:25], s[22:23]
	s_xor_b64 s[22:23], exec, s[24:25]
; %bb.111:                              ;   in Loop: Header=BB39_2 Depth=1
	v_lshlrev_b32_e32 v91, 2, v90
	ds_read_b32 v91, v91 offset:4
; %bb.112:                              ;   in Loop: Header=BB39_2 Depth=1
	s_or_saveexec_b64 s[22:23], s[22:23]
	v_mov_b32_e32 v92, v88
	s_xor_b64 exec, exec, s[22:23]
	s_cbranch_execz .LBB39_114
; %bb.113:                              ;   in Loop: Header=BB39_2 Depth=1
	s_waitcnt lgkmcnt(0)
	v_lshlrev_b32_e32 v91, 2, v89
	ds_read_b32 v92, v91 offset:4
	v_mov_b32_e32 v91, v87
.LBB39_114:                             ;   in Loop: Header=BB39_2 Depth=1
	s_or_b64 exec, exec, s[22:23]
	v_add_u32_e32 v94, 1, v90
	v_add_u32_e32 v93, 1, v89
	v_cndmask_b32_e64 v94, v94, v90, s[20:21]
	v_cndmask_b32_e64 v93, v89, v93, s[20:21]
	v_cmp_ge_i32_e64 s[24:25], v94, v11
	s_waitcnt lgkmcnt(0)
	v_cmp_lt_i32_e64 s[26:27], v92, v91
	v_cmp_lt_i32_e64 s[22:23], v93, v12
	s_or_b64 s[24:25], s[24:25], s[26:27]
	s_and_b64 s[22:23], s[22:23], s[24:25]
	s_xor_b64 s[24:25], s[22:23], -1
                                        ; implicit-def: $vgpr95
	s_and_saveexec_b64 s[26:27], s[24:25]
	s_xor_b64 s[24:25], exec, s[26:27]
; %bb.115:                              ;   in Loop: Header=BB39_2 Depth=1
	v_lshlrev_b32_e32 v95, 2, v94
	ds_read_b32 v95, v95 offset:4
; %bb.116:                              ;   in Loop: Header=BB39_2 Depth=1
	s_or_saveexec_b64 s[24:25], s[24:25]
	v_mov_b32_e32 v96, v92
	s_xor_b64 exec, exec, s[24:25]
	s_cbranch_execz .LBB39_118
; %bb.117:                              ;   in Loop: Header=BB39_2 Depth=1
	s_waitcnt lgkmcnt(0)
	v_lshlrev_b32_e32 v95, 2, v93
	ds_read_b32 v96, v95 offset:4
	v_mov_b32_e32 v95, v91
.LBB39_118:                             ;   in Loop: Header=BB39_2 Depth=1
	s_or_b64 exec, exec, s[24:25]
	v_add_u32_e32 v98, 1, v94
	v_add_u32_e32 v97, 1, v93
	v_cndmask_b32_e64 v98, v98, v94, s[22:23]
	v_cndmask_b32_e64 v97, v93, v97, s[22:23]
	v_cmp_ge_i32_e64 s[26:27], v98, v11
	s_waitcnt lgkmcnt(0)
	v_cmp_lt_i32_e64 s[28:29], v96, v95
	v_cmp_lt_i32_e64 s[24:25], v97, v12
	s_or_b64 s[26:27], s[26:27], s[28:29]
	s_and_b64 s[24:25], s[24:25], s[26:27]
	s_xor_b64 s[26:27], s[24:25], -1
                                        ; implicit-def: $vgpr99
	s_and_saveexec_b64 s[28:29], s[26:27]
	s_xor_b64 s[26:27], exec, s[28:29]
; %bb.119:                              ;   in Loop: Header=BB39_2 Depth=1
	v_lshlrev_b32_e32 v99, 2, v98
	ds_read_b32 v99, v99 offset:4
; %bb.120:                              ;   in Loop: Header=BB39_2 Depth=1
	s_or_saveexec_b64 s[26:27], s[26:27]
	v_mov_b32_e32 v100, v96
	s_xor_b64 exec, exec, s[26:27]
	s_cbranch_execz .LBB39_122
; %bb.121:                              ;   in Loop: Header=BB39_2 Depth=1
	s_waitcnt lgkmcnt(0)
	v_lshlrev_b32_e32 v99, 2, v97
	ds_read_b32 v100, v99 offset:4
	v_mov_b32_e32 v99, v95
.LBB39_122:                             ;   in Loop: Header=BB39_2 Depth=1
	s_or_b64 exec, exec, s[26:27]
	v_add_u32_e32 v102, 1, v98
	v_add_u32_e32 v101, 1, v97
	v_cndmask_b32_e64 v102, v102, v98, s[24:25]
	v_cndmask_b32_e64 v101, v97, v101, s[24:25]
	v_cmp_ge_i32_e64 s[28:29], v102, v11
	s_waitcnt lgkmcnt(0)
	v_cmp_lt_i32_e64 s[30:31], v100, v99
	v_cmp_lt_i32_e64 s[26:27], v101, v12
	s_or_b64 s[28:29], s[28:29], s[30:31]
	s_and_b64 s[26:27], s[26:27], s[28:29]
	s_xor_b64 s[28:29], s[26:27], -1
                                        ; implicit-def: $vgpr103
	s_and_saveexec_b64 s[30:31], s[28:29]
	s_xor_b64 s[28:29], exec, s[30:31]
; %bb.123:                              ;   in Loop: Header=BB39_2 Depth=1
	v_lshlrev_b32_e32 v103, 2, v102
	ds_read_b32 v103, v103 offset:4
; %bb.124:                              ;   in Loop: Header=BB39_2 Depth=1
	s_or_saveexec_b64 s[28:29], s[28:29]
	v_mov_b32_e32 v104, v100
	s_xor_b64 exec, exec, s[28:29]
	s_cbranch_execz .LBB39_126
; %bb.125:                              ;   in Loop: Header=BB39_2 Depth=1
	s_waitcnt lgkmcnt(0)
	v_lshlrev_b32_e32 v103, 2, v101
	ds_read_b32 v104, v103 offset:4
	v_mov_b32_e32 v103, v99
.LBB39_126:                             ;   in Loop: Header=BB39_2 Depth=1
	s_or_b64 exec, exec, s[28:29]
	v_add_u32_e32 v107, 1, v102
	v_add_u32_e32 v105, 1, v101
	v_cndmask_b32_e64 v107, v107, v102, s[26:27]
	v_cndmask_b32_e64 v106, v101, v105, s[26:27]
	v_cmp_ge_i32_e64 s[30:31], v107, v11
	s_waitcnt lgkmcnt(0)
	v_cmp_lt_i32_e64 s[34:35], v104, v103
	v_cmp_lt_i32_e64 s[28:29], v106, v12
	s_or_b64 s[30:31], s[30:31], s[34:35]
	s_and_b64 s[28:29], s[28:29], s[30:31]
	s_xor_b64 s[30:31], s[28:29], -1
                                        ; implicit-def: $vgpr105
	s_and_saveexec_b64 s[34:35], s[30:31]
	s_xor_b64 s[30:31], exec, s[34:35]
; %bb.127:                              ;   in Loop: Header=BB39_2 Depth=1
	v_lshlrev_b32_e32 v105, 2, v107
	ds_read_b32 v105, v105 offset:4
; %bb.128:                              ;   in Loop: Header=BB39_2 Depth=1
	s_or_saveexec_b64 s[30:31], s[30:31]
	v_mov_b32_e32 v108, v104
	s_xor_b64 exec, exec, s[30:31]
	s_cbranch_execz .LBB39_130
; %bb.129:                              ;   in Loop: Header=BB39_2 Depth=1
	s_waitcnt lgkmcnt(0)
	v_lshlrev_b32_e32 v105, 2, v106
	ds_read_b32 v108, v105 offset:4
	v_mov_b32_e32 v105, v103
.LBB39_130:                             ;   in Loop: Header=BB39_2 Depth=1
	s_or_b64 exec, exec, s[30:31]
	v_add_u32_e32 v109, 1, v107
	v_cndmask_b32_e64 v103, v103, v104, s[28:29]
	v_add_u32_e32 v104, 1, v106
	v_cndmask_b32_e64 v109, v109, v107, s[28:29]
	v_cndmask_b32_e64 v104, v106, v104, s[28:29]
	;; [unrolled: 1-line block ×6, first 2 shown]
	v_cmp_ge_i32_e64 s[18:19], v109, v11
	s_waitcnt lgkmcnt(0)
	v_cmp_lt_i32_e64 s[20:21], v108, v105
	v_cndmask_b32_e64 v80, v80, v82, s[16:17]
	v_cndmask_b32_e64 v79, v81, v79, s[16:17]
	v_cmp_lt_i32_e64 s[16:17], v104, v12
	s_or_b64 s[18:19], s[18:19], s[20:21]
	s_and_b64 s[16:17], s[16:17], s[18:19]
	v_cndmask_b32_e64 v106, v107, v106, s[28:29]
	v_cndmask_b32_e64 v99, v99, v100, s[26:27]
	;; [unrolled: 1-line block ×8, first 2 shown]
	s_barrier
	ds_write2_b32 v61, v71, v72 offset1:1
	ds_write2_b32 v61, v73, v74 offset0:2 offset1:3
	ds_write2_b32 v61, v75, v76 offset0:4 offset1:5
	;; [unrolled: 1-line block ×3, first 2 shown]
	v_lshlrev_b32_e32 v71, 2, v79
	v_lshlrev_b32_e32 v72, 2, v84
	;; [unrolled: 1-line block ×8, first 2 shown]
	s_waitcnt lgkmcnt(0)
	s_barrier
	ds_read_b32 v71, v71
	ds_read_b32 v72, v72
	;; [unrolled: 1-line block ×8, first 2 shown]
	v_cndmask_b32_e64 v81, v105, v108, s[16:17]
	s_waitcnt lgkmcnt(0)
	s_barrier
	ds_write2_b32 v61, v80, v83 offset1:1
	ds_write2_b32 v61, v87, v91 offset0:2 offset1:3
	ds_write2_b32 v61, v95, v99 offset0:4 offset1:5
	;; [unrolled: 1-line block ×3, first 2 shown]
	v_mov_b32_e32 v81, v33
	s_waitcnt lgkmcnt(0)
	s_barrier
	s_and_saveexec_b64 s[18:19], s[6:7]
	s_cbranch_execz .LBB39_134
; %bb.131:                              ;   in Loop: Header=BB39_2 Depth=1
	s_mov_b64 s[20:21], 0
	v_mov_b32_e32 v81, v33
	v_mov_b32_e32 v79, v34
.LBB39_132:                             ;   Parent Loop BB39_2 Depth=1
                                        ; =>  This Inner Loop Header: Depth=2
	v_sub_u32_e32 v80, v79, v81
	v_lshrrev_b32_e32 v80, 1, v80
	v_add_u32_e32 v80, v80, v81
	v_not_b32_e32 v83, v80
	v_lshl_add_u32 v82, v80, 2, v66
	v_lshl_add_u32 v83, v83, 2, v54
	ds_read_b32 v82, v82
	ds_read_b32 v83, v83
	v_add_u32_e32 v84, 1, v80
	s_waitcnt lgkmcnt(0)
	v_cmp_lt_i32_e64 s[16:17], v83, v82
	v_cndmask_b32_e64 v79, v79, v80, s[16:17]
	v_cndmask_b32_e64 v81, v84, v81, s[16:17]
	v_cmp_ge_i32_e64 s[16:17], v81, v79
	s_or_b64 s[20:21], s[16:17], s[20:21]
	s_andn2_b64 exec, exec, s[20:21]
	s_cbranch_execnz .LBB39_132
; %bb.133:                              ;   in Loop: Header=BB39_2 Depth=1
	s_or_b64 exec, exec, s[20:21]
.LBB39_134:                             ;   in Loop: Header=BB39_2 Depth=1
	s_or_b64 exec, exec, s[18:19]
	v_sub_u32_e32 v79, v53, v81
	v_lshl_add_u32 v84, v81, 2, v66
	v_lshlrev_b32_e32 v85, 2, v79
	ds_read_b32 v80, v84
	ds_read_b32 v82, v85
	v_add_u32_e32 v81, v81, v13
	v_cmp_le_i32_e64 s[18:19], v14, v81
	v_cmp_gt_i32_e64 s[16:17], v15, v79
                                        ; implicit-def: $vgpr83
	s_waitcnt lgkmcnt(0)
	v_cmp_lt_i32_e64 s[20:21], v82, v80
	s_or_b64 s[18:19], s[18:19], s[20:21]
	s_and_b64 s[16:17], s[16:17], s[18:19]
	s_xor_b64 s[18:19], s[16:17], -1
	s_and_saveexec_b64 s[20:21], s[18:19]
	s_xor_b64 s[18:19], exec, s[20:21]
; %bb.135:                              ;   in Loop: Header=BB39_2 Depth=1
	ds_read_b32 v83, v84 offset:4
                                        ; implicit-def: $vgpr85
; %bb.136:                              ;   in Loop: Header=BB39_2 Depth=1
	s_or_saveexec_b64 s[18:19], s[18:19]
	v_mov_b32_e32 v84, v82
	s_xor_b64 exec, exec, s[18:19]
	s_cbranch_execz .LBB39_138
; %bb.137:                              ;   in Loop: Header=BB39_2 Depth=1
	ds_read_b32 v84, v85 offset:4
	s_waitcnt lgkmcnt(1)
	v_mov_b32_e32 v83, v80
.LBB39_138:                             ;   in Loop: Header=BB39_2 Depth=1
	s_or_b64 exec, exec, s[18:19]
	v_add_u32_e32 v86, 1, v81
	v_add_u32_e32 v85, 1, v79
	v_cndmask_b32_e64 v86, v86, v81, s[16:17]
	v_cndmask_b32_e64 v85, v79, v85, s[16:17]
	v_cmp_ge_i32_e64 s[20:21], v86, v14
	s_waitcnt lgkmcnt(0)
	v_cmp_lt_i32_e64 s[22:23], v84, v83
	v_cmp_lt_i32_e64 s[18:19], v85, v15
	s_or_b64 s[20:21], s[20:21], s[22:23]
	s_and_b64 s[18:19], s[18:19], s[20:21]
	s_xor_b64 s[20:21], s[18:19], -1
                                        ; implicit-def: $vgpr87
	s_and_saveexec_b64 s[22:23], s[20:21]
	s_xor_b64 s[20:21], exec, s[22:23]
; %bb.139:                              ;   in Loop: Header=BB39_2 Depth=1
	v_lshlrev_b32_e32 v87, 2, v86
	ds_read_b32 v87, v87 offset:4
; %bb.140:                              ;   in Loop: Header=BB39_2 Depth=1
	s_or_saveexec_b64 s[20:21], s[20:21]
	v_mov_b32_e32 v88, v84
	s_xor_b64 exec, exec, s[20:21]
	s_cbranch_execz .LBB39_142
; %bb.141:                              ;   in Loop: Header=BB39_2 Depth=1
	s_waitcnt lgkmcnt(0)
	v_lshlrev_b32_e32 v87, 2, v85
	ds_read_b32 v88, v87 offset:4
	v_mov_b32_e32 v87, v83
.LBB39_142:                             ;   in Loop: Header=BB39_2 Depth=1
	s_or_b64 exec, exec, s[20:21]
	v_add_u32_e32 v90, 1, v86
	v_add_u32_e32 v89, 1, v85
	v_cndmask_b32_e64 v90, v90, v86, s[18:19]
	v_cndmask_b32_e64 v89, v85, v89, s[18:19]
	v_cmp_ge_i32_e64 s[22:23], v90, v14
	s_waitcnt lgkmcnt(0)
	v_cmp_lt_i32_e64 s[24:25], v88, v87
	v_cmp_lt_i32_e64 s[20:21], v89, v15
	s_or_b64 s[22:23], s[22:23], s[24:25]
	s_and_b64 s[20:21], s[20:21], s[22:23]
	s_xor_b64 s[22:23], s[20:21], -1
                                        ; implicit-def: $vgpr91
	s_and_saveexec_b64 s[24:25], s[22:23]
	s_xor_b64 s[22:23], exec, s[24:25]
; %bb.143:                              ;   in Loop: Header=BB39_2 Depth=1
	v_lshlrev_b32_e32 v91, 2, v90
	ds_read_b32 v91, v91 offset:4
; %bb.144:                              ;   in Loop: Header=BB39_2 Depth=1
	s_or_saveexec_b64 s[22:23], s[22:23]
	v_mov_b32_e32 v92, v88
	s_xor_b64 exec, exec, s[22:23]
	s_cbranch_execz .LBB39_146
; %bb.145:                              ;   in Loop: Header=BB39_2 Depth=1
	s_waitcnt lgkmcnt(0)
	v_lshlrev_b32_e32 v91, 2, v89
	ds_read_b32 v92, v91 offset:4
	v_mov_b32_e32 v91, v87
.LBB39_146:                             ;   in Loop: Header=BB39_2 Depth=1
	s_or_b64 exec, exec, s[22:23]
	v_add_u32_e32 v94, 1, v90
	v_add_u32_e32 v93, 1, v89
	v_cndmask_b32_e64 v94, v94, v90, s[20:21]
	v_cndmask_b32_e64 v93, v89, v93, s[20:21]
	v_cmp_ge_i32_e64 s[24:25], v94, v14
	s_waitcnt lgkmcnt(0)
	v_cmp_lt_i32_e64 s[26:27], v92, v91
	v_cmp_lt_i32_e64 s[22:23], v93, v15
	s_or_b64 s[24:25], s[24:25], s[26:27]
	s_and_b64 s[22:23], s[22:23], s[24:25]
	s_xor_b64 s[24:25], s[22:23], -1
                                        ; implicit-def: $vgpr95
	s_and_saveexec_b64 s[26:27], s[24:25]
	s_xor_b64 s[24:25], exec, s[26:27]
; %bb.147:                              ;   in Loop: Header=BB39_2 Depth=1
	v_lshlrev_b32_e32 v95, 2, v94
	ds_read_b32 v95, v95 offset:4
; %bb.148:                              ;   in Loop: Header=BB39_2 Depth=1
	s_or_saveexec_b64 s[24:25], s[24:25]
	v_mov_b32_e32 v96, v92
	s_xor_b64 exec, exec, s[24:25]
	s_cbranch_execz .LBB39_150
; %bb.149:                              ;   in Loop: Header=BB39_2 Depth=1
	s_waitcnt lgkmcnt(0)
	v_lshlrev_b32_e32 v95, 2, v93
	ds_read_b32 v96, v95 offset:4
	v_mov_b32_e32 v95, v91
.LBB39_150:                             ;   in Loop: Header=BB39_2 Depth=1
	s_or_b64 exec, exec, s[24:25]
	v_add_u32_e32 v98, 1, v94
	v_add_u32_e32 v97, 1, v93
	v_cndmask_b32_e64 v98, v98, v94, s[22:23]
	v_cndmask_b32_e64 v97, v93, v97, s[22:23]
	v_cmp_ge_i32_e64 s[26:27], v98, v14
	s_waitcnt lgkmcnt(0)
	v_cmp_lt_i32_e64 s[28:29], v96, v95
	v_cmp_lt_i32_e64 s[24:25], v97, v15
	s_or_b64 s[26:27], s[26:27], s[28:29]
	s_and_b64 s[24:25], s[24:25], s[26:27]
	s_xor_b64 s[26:27], s[24:25], -1
                                        ; implicit-def: $vgpr99
	s_and_saveexec_b64 s[28:29], s[26:27]
	s_xor_b64 s[26:27], exec, s[28:29]
; %bb.151:                              ;   in Loop: Header=BB39_2 Depth=1
	v_lshlrev_b32_e32 v99, 2, v98
	ds_read_b32 v99, v99 offset:4
; %bb.152:                              ;   in Loop: Header=BB39_2 Depth=1
	s_or_saveexec_b64 s[26:27], s[26:27]
	v_mov_b32_e32 v100, v96
	s_xor_b64 exec, exec, s[26:27]
	s_cbranch_execz .LBB39_154
; %bb.153:                              ;   in Loop: Header=BB39_2 Depth=1
	s_waitcnt lgkmcnt(0)
	v_lshlrev_b32_e32 v99, 2, v97
	ds_read_b32 v100, v99 offset:4
	v_mov_b32_e32 v99, v95
.LBB39_154:                             ;   in Loop: Header=BB39_2 Depth=1
	s_or_b64 exec, exec, s[26:27]
	v_add_u32_e32 v102, 1, v98
	v_add_u32_e32 v101, 1, v97
	v_cndmask_b32_e64 v102, v102, v98, s[24:25]
	v_cndmask_b32_e64 v101, v97, v101, s[24:25]
	v_cmp_ge_i32_e64 s[28:29], v102, v14
	s_waitcnt lgkmcnt(0)
	v_cmp_lt_i32_e64 s[30:31], v100, v99
	v_cmp_lt_i32_e64 s[26:27], v101, v15
	s_or_b64 s[28:29], s[28:29], s[30:31]
	s_and_b64 s[26:27], s[26:27], s[28:29]
	s_xor_b64 s[28:29], s[26:27], -1
                                        ; implicit-def: $vgpr103
	s_and_saveexec_b64 s[30:31], s[28:29]
	s_xor_b64 s[28:29], exec, s[30:31]
; %bb.155:                              ;   in Loop: Header=BB39_2 Depth=1
	v_lshlrev_b32_e32 v103, 2, v102
	ds_read_b32 v103, v103 offset:4
; %bb.156:                              ;   in Loop: Header=BB39_2 Depth=1
	s_or_saveexec_b64 s[28:29], s[28:29]
	v_mov_b32_e32 v104, v100
	s_xor_b64 exec, exec, s[28:29]
	s_cbranch_execz .LBB39_158
; %bb.157:                              ;   in Loop: Header=BB39_2 Depth=1
	s_waitcnt lgkmcnt(0)
	v_lshlrev_b32_e32 v103, 2, v101
	ds_read_b32 v104, v103 offset:4
	v_mov_b32_e32 v103, v99
.LBB39_158:                             ;   in Loop: Header=BB39_2 Depth=1
	s_or_b64 exec, exec, s[28:29]
	v_add_u32_e32 v107, 1, v102
	v_add_u32_e32 v105, 1, v101
	v_cndmask_b32_e64 v107, v107, v102, s[26:27]
	v_cndmask_b32_e64 v106, v101, v105, s[26:27]
	v_cmp_ge_i32_e64 s[30:31], v107, v14
	s_waitcnt lgkmcnt(0)
	v_cmp_lt_i32_e64 s[34:35], v104, v103
	v_cmp_lt_i32_e64 s[28:29], v106, v15
	s_or_b64 s[30:31], s[30:31], s[34:35]
	s_and_b64 s[28:29], s[28:29], s[30:31]
	s_xor_b64 s[30:31], s[28:29], -1
                                        ; implicit-def: $vgpr105
	s_and_saveexec_b64 s[34:35], s[30:31]
	s_xor_b64 s[30:31], exec, s[34:35]
; %bb.159:                              ;   in Loop: Header=BB39_2 Depth=1
	v_lshlrev_b32_e32 v105, 2, v107
	ds_read_b32 v105, v105 offset:4
; %bb.160:                              ;   in Loop: Header=BB39_2 Depth=1
	s_or_saveexec_b64 s[30:31], s[30:31]
	v_mov_b32_e32 v108, v104
	s_xor_b64 exec, exec, s[30:31]
	s_cbranch_execz .LBB39_162
; %bb.161:                              ;   in Loop: Header=BB39_2 Depth=1
	s_waitcnt lgkmcnt(0)
	v_lshlrev_b32_e32 v105, 2, v106
	ds_read_b32 v108, v105 offset:4
	v_mov_b32_e32 v105, v103
.LBB39_162:                             ;   in Loop: Header=BB39_2 Depth=1
	s_or_b64 exec, exec, s[30:31]
	v_add_u32_e32 v109, 1, v107
	v_cndmask_b32_e64 v103, v103, v104, s[28:29]
	v_add_u32_e32 v104, 1, v106
	v_cndmask_b32_e64 v109, v109, v107, s[28:29]
	v_cndmask_b32_e64 v104, v106, v104, s[28:29]
	;; [unrolled: 1-line block ×6, first 2 shown]
	v_cmp_ge_i32_e64 s[18:19], v109, v14
	s_waitcnt lgkmcnt(0)
	v_cmp_lt_i32_e64 s[20:21], v108, v105
	v_cndmask_b32_e64 v80, v80, v82, s[16:17]
	v_cndmask_b32_e64 v79, v81, v79, s[16:17]
	v_cmp_lt_i32_e64 s[16:17], v104, v15
	s_or_b64 s[18:19], s[18:19], s[20:21]
	s_and_b64 s[16:17], s[16:17], s[18:19]
	v_cndmask_b32_e64 v106, v107, v106, s[28:29]
	v_cndmask_b32_e64 v99, v99, v100, s[26:27]
	;; [unrolled: 1-line block ×8, first 2 shown]
	s_barrier
	ds_write2_b32 v61, v71, v72 offset1:1
	ds_write2_b32 v61, v73, v74 offset0:2 offset1:3
	ds_write2_b32 v61, v75, v76 offset0:4 offset1:5
	;; [unrolled: 1-line block ×3, first 2 shown]
	v_lshlrev_b32_e32 v71, 2, v79
	v_lshlrev_b32_e32 v72, 2, v84
	;; [unrolled: 1-line block ×8, first 2 shown]
	s_waitcnt lgkmcnt(0)
	s_barrier
	ds_read_b32 v71, v71
	ds_read_b32 v72, v72
	;; [unrolled: 1-line block ×8, first 2 shown]
	v_cndmask_b32_e64 v81, v105, v108, s[16:17]
	s_waitcnt lgkmcnt(0)
	s_barrier
	ds_write2_b32 v61, v80, v83 offset1:1
	ds_write2_b32 v61, v87, v91 offset0:2 offset1:3
	ds_write2_b32 v61, v95, v99 offset0:4 offset1:5
	;; [unrolled: 1-line block ×3, first 2 shown]
	v_mov_b32_e32 v81, v35
	s_waitcnt lgkmcnt(0)
	s_barrier
	s_and_saveexec_b64 s[18:19], s[8:9]
	s_cbranch_execz .LBB39_166
; %bb.163:                              ;   in Loop: Header=BB39_2 Depth=1
	s_mov_b64 s[20:21], 0
	v_mov_b32_e32 v81, v35
	v_mov_b32_e32 v79, v36
.LBB39_164:                             ;   Parent Loop BB39_2 Depth=1
                                        ; =>  This Inner Loop Header: Depth=2
	v_sub_u32_e32 v80, v79, v81
	v_lshrrev_b32_e32 v80, 1, v80
	v_add_u32_e32 v80, v80, v81
	v_not_b32_e32 v83, v80
	v_lshl_add_u32 v82, v80, 2, v67
	v_lshl_add_u32 v83, v83, 2, v56
	ds_read_b32 v82, v82
	ds_read_b32 v83, v83
	v_add_u32_e32 v84, 1, v80
	s_waitcnt lgkmcnt(0)
	v_cmp_lt_i32_e64 s[16:17], v83, v82
	v_cndmask_b32_e64 v79, v79, v80, s[16:17]
	v_cndmask_b32_e64 v81, v84, v81, s[16:17]
	v_cmp_ge_i32_e64 s[16:17], v81, v79
	s_or_b64 s[20:21], s[16:17], s[20:21]
	s_andn2_b64 exec, exec, s[20:21]
	s_cbranch_execnz .LBB39_164
; %bb.165:                              ;   in Loop: Header=BB39_2 Depth=1
	s_or_b64 exec, exec, s[20:21]
.LBB39_166:                             ;   in Loop: Header=BB39_2 Depth=1
	s_or_b64 exec, exec, s[18:19]
	v_sub_u32_e32 v79, v55, v81
	v_lshl_add_u32 v84, v81, 2, v67
	v_lshlrev_b32_e32 v85, 2, v79
	ds_read_b32 v80, v84
	ds_read_b32 v82, v85
	v_add_u32_e32 v81, v81, v16
	v_cmp_le_i32_e64 s[18:19], v17, v81
	v_cmp_gt_i32_e64 s[16:17], v18, v79
                                        ; implicit-def: $vgpr83
	s_waitcnt lgkmcnt(0)
	v_cmp_lt_i32_e64 s[20:21], v82, v80
	s_or_b64 s[18:19], s[18:19], s[20:21]
	s_and_b64 s[16:17], s[16:17], s[18:19]
	s_xor_b64 s[18:19], s[16:17], -1
	s_and_saveexec_b64 s[20:21], s[18:19]
	s_xor_b64 s[18:19], exec, s[20:21]
; %bb.167:                              ;   in Loop: Header=BB39_2 Depth=1
	ds_read_b32 v83, v84 offset:4
                                        ; implicit-def: $vgpr85
; %bb.168:                              ;   in Loop: Header=BB39_2 Depth=1
	s_or_saveexec_b64 s[18:19], s[18:19]
	v_mov_b32_e32 v84, v82
	s_xor_b64 exec, exec, s[18:19]
	s_cbranch_execz .LBB39_170
; %bb.169:                              ;   in Loop: Header=BB39_2 Depth=1
	ds_read_b32 v84, v85 offset:4
	s_waitcnt lgkmcnt(1)
	v_mov_b32_e32 v83, v80
.LBB39_170:                             ;   in Loop: Header=BB39_2 Depth=1
	s_or_b64 exec, exec, s[18:19]
	v_add_u32_e32 v86, 1, v81
	v_add_u32_e32 v85, 1, v79
	v_cndmask_b32_e64 v86, v86, v81, s[16:17]
	v_cndmask_b32_e64 v85, v79, v85, s[16:17]
	v_cmp_ge_i32_e64 s[20:21], v86, v17
	s_waitcnt lgkmcnt(0)
	v_cmp_lt_i32_e64 s[22:23], v84, v83
	v_cmp_lt_i32_e64 s[18:19], v85, v18
	s_or_b64 s[20:21], s[20:21], s[22:23]
	s_and_b64 s[18:19], s[18:19], s[20:21]
	s_xor_b64 s[20:21], s[18:19], -1
                                        ; implicit-def: $vgpr87
	s_and_saveexec_b64 s[22:23], s[20:21]
	s_xor_b64 s[20:21], exec, s[22:23]
; %bb.171:                              ;   in Loop: Header=BB39_2 Depth=1
	v_lshlrev_b32_e32 v87, 2, v86
	ds_read_b32 v87, v87 offset:4
; %bb.172:                              ;   in Loop: Header=BB39_2 Depth=1
	s_or_saveexec_b64 s[20:21], s[20:21]
	v_mov_b32_e32 v88, v84
	s_xor_b64 exec, exec, s[20:21]
	s_cbranch_execz .LBB39_174
; %bb.173:                              ;   in Loop: Header=BB39_2 Depth=1
	s_waitcnt lgkmcnt(0)
	v_lshlrev_b32_e32 v87, 2, v85
	ds_read_b32 v88, v87 offset:4
	v_mov_b32_e32 v87, v83
.LBB39_174:                             ;   in Loop: Header=BB39_2 Depth=1
	s_or_b64 exec, exec, s[20:21]
	v_add_u32_e32 v90, 1, v86
	v_add_u32_e32 v89, 1, v85
	v_cndmask_b32_e64 v90, v90, v86, s[18:19]
	v_cndmask_b32_e64 v89, v85, v89, s[18:19]
	v_cmp_ge_i32_e64 s[22:23], v90, v17
	s_waitcnt lgkmcnt(0)
	v_cmp_lt_i32_e64 s[24:25], v88, v87
	v_cmp_lt_i32_e64 s[20:21], v89, v18
	s_or_b64 s[22:23], s[22:23], s[24:25]
	s_and_b64 s[20:21], s[20:21], s[22:23]
	s_xor_b64 s[22:23], s[20:21], -1
                                        ; implicit-def: $vgpr91
	s_and_saveexec_b64 s[24:25], s[22:23]
	s_xor_b64 s[22:23], exec, s[24:25]
; %bb.175:                              ;   in Loop: Header=BB39_2 Depth=1
	v_lshlrev_b32_e32 v91, 2, v90
	ds_read_b32 v91, v91 offset:4
; %bb.176:                              ;   in Loop: Header=BB39_2 Depth=1
	s_or_saveexec_b64 s[22:23], s[22:23]
	v_mov_b32_e32 v92, v88
	s_xor_b64 exec, exec, s[22:23]
	s_cbranch_execz .LBB39_178
; %bb.177:                              ;   in Loop: Header=BB39_2 Depth=1
	s_waitcnt lgkmcnt(0)
	v_lshlrev_b32_e32 v91, 2, v89
	ds_read_b32 v92, v91 offset:4
	v_mov_b32_e32 v91, v87
.LBB39_178:                             ;   in Loop: Header=BB39_2 Depth=1
	s_or_b64 exec, exec, s[22:23]
	v_add_u32_e32 v94, 1, v90
	v_add_u32_e32 v93, 1, v89
	v_cndmask_b32_e64 v94, v94, v90, s[20:21]
	v_cndmask_b32_e64 v93, v89, v93, s[20:21]
	v_cmp_ge_i32_e64 s[24:25], v94, v17
	s_waitcnt lgkmcnt(0)
	v_cmp_lt_i32_e64 s[26:27], v92, v91
	v_cmp_lt_i32_e64 s[22:23], v93, v18
	s_or_b64 s[24:25], s[24:25], s[26:27]
	s_and_b64 s[22:23], s[22:23], s[24:25]
	s_xor_b64 s[24:25], s[22:23], -1
                                        ; implicit-def: $vgpr95
	s_and_saveexec_b64 s[26:27], s[24:25]
	s_xor_b64 s[24:25], exec, s[26:27]
; %bb.179:                              ;   in Loop: Header=BB39_2 Depth=1
	v_lshlrev_b32_e32 v95, 2, v94
	ds_read_b32 v95, v95 offset:4
; %bb.180:                              ;   in Loop: Header=BB39_2 Depth=1
	s_or_saveexec_b64 s[24:25], s[24:25]
	v_mov_b32_e32 v96, v92
	s_xor_b64 exec, exec, s[24:25]
	s_cbranch_execz .LBB39_182
; %bb.181:                              ;   in Loop: Header=BB39_2 Depth=1
	s_waitcnt lgkmcnt(0)
	v_lshlrev_b32_e32 v95, 2, v93
	ds_read_b32 v96, v95 offset:4
	v_mov_b32_e32 v95, v91
.LBB39_182:                             ;   in Loop: Header=BB39_2 Depth=1
	s_or_b64 exec, exec, s[24:25]
	v_add_u32_e32 v98, 1, v94
	v_add_u32_e32 v97, 1, v93
	v_cndmask_b32_e64 v98, v98, v94, s[22:23]
	v_cndmask_b32_e64 v97, v93, v97, s[22:23]
	v_cmp_ge_i32_e64 s[26:27], v98, v17
	s_waitcnt lgkmcnt(0)
	v_cmp_lt_i32_e64 s[28:29], v96, v95
	v_cmp_lt_i32_e64 s[24:25], v97, v18
	s_or_b64 s[26:27], s[26:27], s[28:29]
	s_and_b64 s[24:25], s[24:25], s[26:27]
	s_xor_b64 s[26:27], s[24:25], -1
                                        ; implicit-def: $vgpr99
	s_and_saveexec_b64 s[28:29], s[26:27]
	s_xor_b64 s[26:27], exec, s[28:29]
; %bb.183:                              ;   in Loop: Header=BB39_2 Depth=1
	v_lshlrev_b32_e32 v99, 2, v98
	ds_read_b32 v99, v99 offset:4
; %bb.184:                              ;   in Loop: Header=BB39_2 Depth=1
	s_or_saveexec_b64 s[26:27], s[26:27]
	v_mov_b32_e32 v100, v96
	s_xor_b64 exec, exec, s[26:27]
	s_cbranch_execz .LBB39_186
; %bb.185:                              ;   in Loop: Header=BB39_2 Depth=1
	s_waitcnt lgkmcnt(0)
	v_lshlrev_b32_e32 v99, 2, v97
	ds_read_b32 v100, v99 offset:4
	v_mov_b32_e32 v99, v95
.LBB39_186:                             ;   in Loop: Header=BB39_2 Depth=1
	s_or_b64 exec, exec, s[26:27]
	v_add_u32_e32 v102, 1, v98
	v_add_u32_e32 v101, 1, v97
	v_cndmask_b32_e64 v102, v102, v98, s[24:25]
	v_cndmask_b32_e64 v101, v97, v101, s[24:25]
	v_cmp_ge_i32_e64 s[28:29], v102, v17
	s_waitcnt lgkmcnt(0)
	v_cmp_lt_i32_e64 s[30:31], v100, v99
	v_cmp_lt_i32_e64 s[26:27], v101, v18
	s_or_b64 s[28:29], s[28:29], s[30:31]
	s_and_b64 s[26:27], s[26:27], s[28:29]
	s_xor_b64 s[28:29], s[26:27], -1
                                        ; implicit-def: $vgpr103
	s_and_saveexec_b64 s[30:31], s[28:29]
	s_xor_b64 s[28:29], exec, s[30:31]
; %bb.187:                              ;   in Loop: Header=BB39_2 Depth=1
	v_lshlrev_b32_e32 v103, 2, v102
	ds_read_b32 v103, v103 offset:4
; %bb.188:                              ;   in Loop: Header=BB39_2 Depth=1
	s_or_saveexec_b64 s[28:29], s[28:29]
	v_mov_b32_e32 v104, v100
	s_xor_b64 exec, exec, s[28:29]
	s_cbranch_execz .LBB39_190
; %bb.189:                              ;   in Loop: Header=BB39_2 Depth=1
	s_waitcnt lgkmcnt(0)
	v_lshlrev_b32_e32 v103, 2, v101
	ds_read_b32 v104, v103 offset:4
	v_mov_b32_e32 v103, v99
.LBB39_190:                             ;   in Loop: Header=BB39_2 Depth=1
	s_or_b64 exec, exec, s[28:29]
	v_add_u32_e32 v107, 1, v102
	v_add_u32_e32 v105, 1, v101
	v_cndmask_b32_e64 v107, v107, v102, s[26:27]
	v_cndmask_b32_e64 v106, v101, v105, s[26:27]
	v_cmp_ge_i32_e64 s[30:31], v107, v17
	s_waitcnt lgkmcnt(0)
	v_cmp_lt_i32_e64 s[34:35], v104, v103
	v_cmp_lt_i32_e64 s[28:29], v106, v18
	s_or_b64 s[30:31], s[30:31], s[34:35]
	s_and_b64 s[28:29], s[28:29], s[30:31]
	s_xor_b64 s[30:31], s[28:29], -1
                                        ; implicit-def: $vgpr105
	s_and_saveexec_b64 s[34:35], s[30:31]
	s_xor_b64 s[30:31], exec, s[34:35]
; %bb.191:                              ;   in Loop: Header=BB39_2 Depth=1
	v_lshlrev_b32_e32 v105, 2, v107
	ds_read_b32 v105, v105 offset:4
; %bb.192:                              ;   in Loop: Header=BB39_2 Depth=1
	s_or_saveexec_b64 s[30:31], s[30:31]
	v_mov_b32_e32 v108, v104
	s_xor_b64 exec, exec, s[30:31]
	s_cbranch_execz .LBB39_194
; %bb.193:                              ;   in Loop: Header=BB39_2 Depth=1
	s_waitcnt lgkmcnt(0)
	v_lshlrev_b32_e32 v105, 2, v106
	ds_read_b32 v108, v105 offset:4
	v_mov_b32_e32 v105, v103
.LBB39_194:                             ;   in Loop: Header=BB39_2 Depth=1
	s_or_b64 exec, exec, s[30:31]
	v_add_u32_e32 v109, 1, v107
	v_cndmask_b32_e64 v103, v103, v104, s[28:29]
	v_add_u32_e32 v104, 1, v106
	v_cndmask_b32_e64 v109, v109, v107, s[28:29]
	v_cndmask_b32_e64 v104, v106, v104, s[28:29]
	;; [unrolled: 1-line block ×6, first 2 shown]
	v_cmp_ge_i32_e64 s[18:19], v109, v17
	s_waitcnt lgkmcnt(0)
	v_cmp_lt_i32_e64 s[20:21], v108, v105
	v_cndmask_b32_e64 v80, v80, v82, s[16:17]
	v_cndmask_b32_e64 v79, v81, v79, s[16:17]
	v_cmp_lt_i32_e64 s[16:17], v104, v18
	s_or_b64 s[18:19], s[18:19], s[20:21]
	s_and_b64 s[16:17], s[16:17], s[18:19]
	v_cndmask_b32_e64 v106, v107, v106, s[28:29]
	v_cndmask_b32_e64 v99, v99, v100, s[26:27]
	;; [unrolled: 1-line block ×8, first 2 shown]
	s_barrier
	ds_write2_b32 v61, v71, v72 offset1:1
	ds_write2_b32 v61, v73, v74 offset0:2 offset1:3
	ds_write2_b32 v61, v75, v76 offset0:4 offset1:5
	;; [unrolled: 1-line block ×3, first 2 shown]
	v_lshlrev_b32_e32 v71, 2, v79
	v_lshlrev_b32_e32 v72, 2, v84
	;; [unrolled: 1-line block ×8, first 2 shown]
	s_waitcnt lgkmcnt(0)
	s_barrier
	ds_read_b32 v71, v71
	ds_read_b32 v72, v72
	ds_read_b32 v73, v73
	ds_read_b32 v74, v74
	ds_read_b32 v75, v75
	ds_read_b32 v76, v76
	ds_read_b32 v77, v77
	ds_read_b32 v78, v78
	v_cndmask_b32_e64 v81, v105, v108, s[16:17]
	s_waitcnt lgkmcnt(0)
	s_barrier
	ds_write2_b32 v61, v80, v83 offset1:1
	ds_write2_b32 v61, v87, v91 offset0:2 offset1:3
	ds_write2_b32 v61, v95, v99 offset0:4 offset1:5
	;; [unrolled: 1-line block ×3, first 2 shown]
	v_mov_b32_e32 v81, v37
	s_waitcnt lgkmcnt(0)
	s_barrier
	s_and_saveexec_b64 s[18:19], s[10:11]
	s_cbranch_execz .LBB39_198
; %bb.195:                              ;   in Loop: Header=BB39_2 Depth=1
	s_mov_b64 s[20:21], 0
	v_mov_b32_e32 v81, v37
	v_mov_b32_e32 v79, v38
.LBB39_196:                             ;   Parent Loop BB39_2 Depth=1
                                        ; =>  This Inner Loop Header: Depth=2
	v_sub_u32_e32 v80, v79, v81
	v_lshrrev_b32_e32 v80, 1, v80
	v_add_u32_e32 v80, v80, v81
	v_not_b32_e32 v83, v80
	v_lshl_add_u32 v82, v80, 2, v68
	v_lshl_add_u32 v83, v83, 2, v58
	ds_read_b32 v82, v82
	ds_read_b32 v83, v83
	v_add_u32_e32 v84, 1, v80
	s_waitcnt lgkmcnt(0)
	v_cmp_lt_i32_e64 s[16:17], v83, v82
	v_cndmask_b32_e64 v79, v79, v80, s[16:17]
	v_cndmask_b32_e64 v81, v84, v81, s[16:17]
	v_cmp_ge_i32_e64 s[16:17], v81, v79
	s_or_b64 s[20:21], s[16:17], s[20:21]
	s_andn2_b64 exec, exec, s[20:21]
	s_cbranch_execnz .LBB39_196
; %bb.197:                              ;   in Loop: Header=BB39_2 Depth=1
	s_or_b64 exec, exec, s[20:21]
.LBB39_198:                             ;   in Loop: Header=BB39_2 Depth=1
	s_or_b64 exec, exec, s[18:19]
	v_sub_u32_e32 v79, v57, v81
	v_lshl_add_u32 v84, v81, 2, v68
	v_lshlrev_b32_e32 v85, 2, v79
	ds_read_b32 v80, v84
	ds_read_b32 v82, v85
	v_add_u32_e32 v81, v81, v19
	v_cmp_le_i32_e64 s[18:19], v20, v81
	v_cmp_gt_i32_e64 s[16:17], v21, v79
                                        ; implicit-def: $vgpr83
	s_waitcnt lgkmcnt(0)
	v_cmp_lt_i32_e64 s[20:21], v82, v80
	s_or_b64 s[18:19], s[18:19], s[20:21]
	s_and_b64 s[16:17], s[16:17], s[18:19]
	s_xor_b64 s[18:19], s[16:17], -1
	s_and_saveexec_b64 s[20:21], s[18:19]
	s_xor_b64 s[18:19], exec, s[20:21]
; %bb.199:                              ;   in Loop: Header=BB39_2 Depth=1
	ds_read_b32 v83, v84 offset:4
                                        ; implicit-def: $vgpr85
; %bb.200:                              ;   in Loop: Header=BB39_2 Depth=1
	s_or_saveexec_b64 s[18:19], s[18:19]
	v_mov_b32_e32 v84, v82
	s_xor_b64 exec, exec, s[18:19]
	s_cbranch_execz .LBB39_202
; %bb.201:                              ;   in Loop: Header=BB39_2 Depth=1
	ds_read_b32 v84, v85 offset:4
	s_waitcnt lgkmcnt(1)
	v_mov_b32_e32 v83, v80
.LBB39_202:                             ;   in Loop: Header=BB39_2 Depth=1
	s_or_b64 exec, exec, s[18:19]
	v_add_u32_e32 v86, 1, v81
	v_add_u32_e32 v85, 1, v79
	v_cndmask_b32_e64 v86, v86, v81, s[16:17]
	v_cndmask_b32_e64 v85, v79, v85, s[16:17]
	v_cmp_ge_i32_e64 s[20:21], v86, v20
	s_waitcnt lgkmcnt(0)
	v_cmp_lt_i32_e64 s[22:23], v84, v83
	v_cmp_lt_i32_e64 s[18:19], v85, v21
	s_or_b64 s[20:21], s[20:21], s[22:23]
	s_and_b64 s[18:19], s[18:19], s[20:21]
	s_xor_b64 s[20:21], s[18:19], -1
                                        ; implicit-def: $vgpr87
	s_and_saveexec_b64 s[22:23], s[20:21]
	s_xor_b64 s[20:21], exec, s[22:23]
; %bb.203:                              ;   in Loop: Header=BB39_2 Depth=1
	v_lshlrev_b32_e32 v87, 2, v86
	ds_read_b32 v87, v87 offset:4
; %bb.204:                              ;   in Loop: Header=BB39_2 Depth=1
	s_or_saveexec_b64 s[20:21], s[20:21]
	v_mov_b32_e32 v88, v84
	s_xor_b64 exec, exec, s[20:21]
	s_cbranch_execz .LBB39_206
; %bb.205:                              ;   in Loop: Header=BB39_2 Depth=1
	s_waitcnt lgkmcnt(0)
	v_lshlrev_b32_e32 v87, 2, v85
	ds_read_b32 v88, v87 offset:4
	v_mov_b32_e32 v87, v83
.LBB39_206:                             ;   in Loop: Header=BB39_2 Depth=1
	s_or_b64 exec, exec, s[20:21]
	v_add_u32_e32 v90, 1, v86
	v_add_u32_e32 v89, 1, v85
	v_cndmask_b32_e64 v90, v90, v86, s[18:19]
	v_cndmask_b32_e64 v89, v85, v89, s[18:19]
	v_cmp_ge_i32_e64 s[22:23], v90, v20
	s_waitcnt lgkmcnt(0)
	v_cmp_lt_i32_e64 s[24:25], v88, v87
	v_cmp_lt_i32_e64 s[20:21], v89, v21
	s_or_b64 s[22:23], s[22:23], s[24:25]
	s_and_b64 s[20:21], s[20:21], s[22:23]
	s_xor_b64 s[22:23], s[20:21], -1
                                        ; implicit-def: $vgpr91
	s_and_saveexec_b64 s[24:25], s[22:23]
	s_xor_b64 s[22:23], exec, s[24:25]
; %bb.207:                              ;   in Loop: Header=BB39_2 Depth=1
	v_lshlrev_b32_e32 v91, 2, v90
	ds_read_b32 v91, v91 offset:4
; %bb.208:                              ;   in Loop: Header=BB39_2 Depth=1
	s_or_saveexec_b64 s[22:23], s[22:23]
	v_mov_b32_e32 v92, v88
	s_xor_b64 exec, exec, s[22:23]
	s_cbranch_execz .LBB39_210
; %bb.209:                              ;   in Loop: Header=BB39_2 Depth=1
	s_waitcnt lgkmcnt(0)
	v_lshlrev_b32_e32 v91, 2, v89
	ds_read_b32 v92, v91 offset:4
	v_mov_b32_e32 v91, v87
.LBB39_210:                             ;   in Loop: Header=BB39_2 Depth=1
	s_or_b64 exec, exec, s[22:23]
	v_add_u32_e32 v94, 1, v90
	v_add_u32_e32 v93, 1, v89
	v_cndmask_b32_e64 v94, v94, v90, s[20:21]
	v_cndmask_b32_e64 v93, v89, v93, s[20:21]
	v_cmp_ge_i32_e64 s[24:25], v94, v20
	s_waitcnt lgkmcnt(0)
	v_cmp_lt_i32_e64 s[26:27], v92, v91
	v_cmp_lt_i32_e64 s[22:23], v93, v21
	s_or_b64 s[24:25], s[24:25], s[26:27]
	s_and_b64 s[22:23], s[22:23], s[24:25]
	s_xor_b64 s[24:25], s[22:23], -1
                                        ; implicit-def: $vgpr95
	s_and_saveexec_b64 s[26:27], s[24:25]
	s_xor_b64 s[24:25], exec, s[26:27]
; %bb.211:                              ;   in Loop: Header=BB39_2 Depth=1
	v_lshlrev_b32_e32 v95, 2, v94
	ds_read_b32 v95, v95 offset:4
; %bb.212:                              ;   in Loop: Header=BB39_2 Depth=1
	s_or_saveexec_b64 s[24:25], s[24:25]
	v_mov_b32_e32 v96, v92
	s_xor_b64 exec, exec, s[24:25]
	s_cbranch_execz .LBB39_214
; %bb.213:                              ;   in Loop: Header=BB39_2 Depth=1
	s_waitcnt lgkmcnt(0)
	v_lshlrev_b32_e32 v95, 2, v93
	ds_read_b32 v96, v95 offset:4
	v_mov_b32_e32 v95, v91
.LBB39_214:                             ;   in Loop: Header=BB39_2 Depth=1
	s_or_b64 exec, exec, s[24:25]
	v_add_u32_e32 v98, 1, v94
	v_add_u32_e32 v97, 1, v93
	v_cndmask_b32_e64 v98, v98, v94, s[22:23]
	v_cndmask_b32_e64 v97, v93, v97, s[22:23]
	v_cmp_ge_i32_e64 s[26:27], v98, v20
	s_waitcnt lgkmcnt(0)
	v_cmp_lt_i32_e64 s[28:29], v96, v95
	v_cmp_lt_i32_e64 s[24:25], v97, v21
	s_or_b64 s[26:27], s[26:27], s[28:29]
	s_and_b64 s[24:25], s[24:25], s[26:27]
	s_xor_b64 s[26:27], s[24:25], -1
                                        ; implicit-def: $vgpr99
	s_and_saveexec_b64 s[28:29], s[26:27]
	s_xor_b64 s[26:27], exec, s[28:29]
; %bb.215:                              ;   in Loop: Header=BB39_2 Depth=1
	v_lshlrev_b32_e32 v99, 2, v98
	ds_read_b32 v99, v99 offset:4
; %bb.216:                              ;   in Loop: Header=BB39_2 Depth=1
	s_or_saveexec_b64 s[26:27], s[26:27]
	v_mov_b32_e32 v100, v96
	s_xor_b64 exec, exec, s[26:27]
	s_cbranch_execz .LBB39_218
; %bb.217:                              ;   in Loop: Header=BB39_2 Depth=1
	s_waitcnt lgkmcnt(0)
	v_lshlrev_b32_e32 v99, 2, v97
	ds_read_b32 v100, v99 offset:4
	v_mov_b32_e32 v99, v95
.LBB39_218:                             ;   in Loop: Header=BB39_2 Depth=1
	s_or_b64 exec, exec, s[26:27]
	v_add_u32_e32 v102, 1, v98
	v_add_u32_e32 v101, 1, v97
	v_cndmask_b32_e64 v102, v102, v98, s[24:25]
	v_cndmask_b32_e64 v101, v97, v101, s[24:25]
	v_cmp_ge_i32_e64 s[28:29], v102, v20
	s_waitcnt lgkmcnt(0)
	v_cmp_lt_i32_e64 s[30:31], v100, v99
	v_cmp_lt_i32_e64 s[26:27], v101, v21
	s_or_b64 s[28:29], s[28:29], s[30:31]
	s_and_b64 s[26:27], s[26:27], s[28:29]
	s_xor_b64 s[28:29], s[26:27], -1
                                        ; implicit-def: $vgpr103
	s_and_saveexec_b64 s[30:31], s[28:29]
	s_xor_b64 s[28:29], exec, s[30:31]
; %bb.219:                              ;   in Loop: Header=BB39_2 Depth=1
	v_lshlrev_b32_e32 v103, 2, v102
	ds_read_b32 v103, v103 offset:4
; %bb.220:                              ;   in Loop: Header=BB39_2 Depth=1
	s_or_saveexec_b64 s[28:29], s[28:29]
	v_mov_b32_e32 v104, v100
	s_xor_b64 exec, exec, s[28:29]
	s_cbranch_execz .LBB39_222
; %bb.221:                              ;   in Loop: Header=BB39_2 Depth=1
	s_waitcnt lgkmcnt(0)
	v_lshlrev_b32_e32 v103, 2, v101
	ds_read_b32 v104, v103 offset:4
	v_mov_b32_e32 v103, v99
.LBB39_222:                             ;   in Loop: Header=BB39_2 Depth=1
	s_or_b64 exec, exec, s[28:29]
	v_add_u32_e32 v107, 1, v102
	v_add_u32_e32 v105, 1, v101
	v_cndmask_b32_e64 v107, v107, v102, s[26:27]
	v_cndmask_b32_e64 v106, v101, v105, s[26:27]
	v_cmp_ge_i32_e64 s[30:31], v107, v20
	s_waitcnt lgkmcnt(0)
	v_cmp_lt_i32_e64 s[34:35], v104, v103
	v_cmp_lt_i32_e64 s[28:29], v106, v21
	s_or_b64 s[30:31], s[30:31], s[34:35]
	s_and_b64 s[28:29], s[28:29], s[30:31]
	s_xor_b64 s[30:31], s[28:29], -1
                                        ; implicit-def: $vgpr105
	s_and_saveexec_b64 s[34:35], s[30:31]
	s_xor_b64 s[30:31], exec, s[34:35]
; %bb.223:                              ;   in Loop: Header=BB39_2 Depth=1
	v_lshlrev_b32_e32 v105, 2, v107
	ds_read_b32 v105, v105 offset:4
; %bb.224:                              ;   in Loop: Header=BB39_2 Depth=1
	s_or_saveexec_b64 s[30:31], s[30:31]
	v_mov_b32_e32 v108, v104
	s_xor_b64 exec, exec, s[30:31]
	s_cbranch_execz .LBB39_226
; %bb.225:                              ;   in Loop: Header=BB39_2 Depth=1
	s_waitcnt lgkmcnt(0)
	v_lshlrev_b32_e32 v105, 2, v106
	ds_read_b32 v108, v105 offset:4
	v_mov_b32_e32 v105, v103
.LBB39_226:                             ;   in Loop: Header=BB39_2 Depth=1
	s_or_b64 exec, exec, s[30:31]
	v_add_u32_e32 v109, 1, v107
	v_cndmask_b32_e64 v103, v103, v104, s[28:29]
	v_add_u32_e32 v104, 1, v106
	v_cndmask_b32_e64 v109, v109, v107, s[28:29]
	v_cndmask_b32_e64 v104, v106, v104, s[28:29]
	;; [unrolled: 1-line block ×6, first 2 shown]
	v_cmp_ge_i32_e64 s[18:19], v109, v20
	s_waitcnt lgkmcnt(0)
	v_cmp_lt_i32_e64 s[20:21], v108, v105
	v_cndmask_b32_e64 v80, v80, v82, s[16:17]
	v_cndmask_b32_e64 v79, v81, v79, s[16:17]
	v_cmp_lt_i32_e64 s[16:17], v104, v21
	s_or_b64 s[18:19], s[18:19], s[20:21]
	s_and_b64 s[16:17], s[16:17], s[18:19]
	v_cndmask_b32_e64 v106, v107, v106, s[28:29]
	v_cndmask_b32_e64 v99, v99, v100, s[26:27]
	;; [unrolled: 1-line block ×8, first 2 shown]
	s_barrier
	ds_write2_b32 v61, v71, v72 offset1:1
	ds_write2_b32 v61, v73, v74 offset0:2 offset1:3
	ds_write2_b32 v61, v75, v76 offset0:4 offset1:5
	;; [unrolled: 1-line block ×3, first 2 shown]
	v_lshlrev_b32_e32 v71, 2, v79
	v_lshlrev_b32_e32 v72, 2, v84
	;; [unrolled: 1-line block ×8, first 2 shown]
	s_waitcnt lgkmcnt(0)
	s_barrier
	ds_read_b32 v71, v71
	ds_read_b32 v72, v72
	;; [unrolled: 1-line block ×8, first 2 shown]
	v_cndmask_b32_e64 v81, v105, v108, s[16:17]
	s_waitcnt lgkmcnt(0)
	s_barrier
	ds_write2_b32 v61, v80, v83 offset1:1
	ds_write2_b32 v61, v87, v91 offset0:2 offset1:3
	ds_write2_b32 v61, v95, v99 offset0:4 offset1:5
	;; [unrolled: 1-line block ×3, first 2 shown]
	v_mov_b32_e32 v81, v39
	s_waitcnt lgkmcnt(0)
	s_barrier
	s_and_saveexec_b64 s[18:19], s[12:13]
	s_cbranch_execz .LBB39_230
; %bb.227:                              ;   in Loop: Header=BB39_2 Depth=1
	s_mov_b64 s[20:21], 0
	v_mov_b32_e32 v81, v39
	v_mov_b32_e32 v79, v40
.LBB39_228:                             ;   Parent Loop BB39_2 Depth=1
                                        ; =>  This Inner Loop Header: Depth=2
	v_sub_u32_e32 v80, v79, v81
	v_lshrrev_b32_e32 v80, 1, v80
	v_add_u32_e32 v80, v80, v81
	v_not_b32_e32 v83, v80
	v_lshl_add_u32 v82, v80, 2, v69
	v_lshl_add_u32 v83, v83, 2, v60
	ds_read_b32 v82, v82
	ds_read_b32 v83, v83
	v_add_u32_e32 v84, 1, v80
	s_waitcnt lgkmcnt(0)
	v_cmp_lt_i32_e64 s[16:17], v83, v82
	v_cndmask_b32_e64 v79, v79, v80, s[16:17]
	v_cndmask_b32_e64 v81, v84, v81, s[16:17]
	v_cmp_ge_i32_e64 s[16:17], v81, v79
	s_or_b64 s[20:21], s[16:17], s[20:21]
	s_andn2_b64 exec, exec, s[20:21]
	s_cbranch_execnz .LBB39_228
; %bb.229:                              ;   in Loop: Header=BB39_2 Depth=1
	s_or_b64 exec, exec, s[20:21]
.LBB39_230:                             ;   in Loop: Header=BB39_2 Depth=1
	s_or_b64 exec, exec, s[18:19]
	v_sub_u32_e32 v79, v59, v81
	v_lshl_add_u32 v84, v81, 2, v69
	v_lshlrev_b32_e32 v85, 2, v79
	ds_read_b32 v80, v84
	ds_read_b32 v82, v85
	v_add_u32_e32 v81, v81, v22
	v_cmp_le_i32_e64 s[18:19], v23, v81
	v_cmp_gt_i32_e64 s[16:17], v24, v79
                                        ; implicit-def: $vgpr83
	s_waitcnt lgkmcnt(0)
	v_cmp_lt_i32_e64 s[20:21], v82, v80
	s_or_b64 s[18:19], s[18:19], s[20:21]
	s_and_b64 s[16:17], s[16:17], s[18:19]
	s_xor_b64 s[18:19], s[16:17], -1
	s_and_saveexec_b64 s[20:21], s[18:19]
	s_xor_b64 s[18:19], exec, s[20:21]
; %bb.231:                              ;   in Loop: Header=BB39_2 Depth=1
	ds_read_b32 v83, v84 offset:4
                                        ; implicit-def: $vgpr85
; %bb.232:                              ;   in Loop: Header=BB39_2 Depth=1
	s_or_saveexec_b64 s[18:19], s[18:19]
	v_mov_b32_e32 v84, v82
	s_xor_b64 exec, exec, s[18:19]
	s_cbranch_execz .LBB39_234
; %bb.233:                              ;   in Loop: Header=BB39_2 Depth=1
	ds_read_b32 v84, v85 offset:4
	s_waitcnt lgkmcnt(1)
	v_mov_b32_e32 v83, v80
.LBB39_234:                             ;   in Loop: Header=BB39_2 Depth=1
	s_or_b64 exec, exec, s[18:19]
	v_add_u32_e32 v86, 1, v81
	v_add_u32_e32 v85, 1, v79
	v_cndmask_b32_e64 v86, v86, v81, s[16:17]
	v_cndmask_b32_e64 v85, v79, v85, s[16:17]
	v_cmp_ge_i32_e64 s[20:21], v86, v23
	s_waitcnt lgkmcnt(0)
	v_cmp_lt_i32_e64 s[22:23], v84, v83
	v_cmp_lt_i32_e64 s[18:19], v85, v24
	s_or_b64 s[20:21], s[20:21], s[22:23]
	s_and_b64 s[18:19], s[18:19], s[20:21]
	s_xor_b64 s[20:21], s[18:19], -1
                                        ; implicit-def: $vgpr87
	s_and_saveexec_b64 s[22:23], s[20:21]
	s_xor_b64 s[20:21], exec, s[22:23]
; %bb.235:                              ;   in Loop: Header=BB39_2 Depth=1
	v_lshlrev_b32_e32 v87, 2, v86
	ds_read_b32 v87, v87 offset:4
; %bb.236:                              ;   in Loop: Header=BB39_2 Depth=1
	s_or_saveexec_b64 s[20:21], s[20:21]
	v_mov_b32_e32 v88, v84
	s_xor_b64 exec, exec, s[20:21]
	s_cbranch_execz .LBB39_238
; %bb.237:                              ;   in Loop: Header=BB39_2 Depth=1
	s_waitcnt lgkmcnt(0)
	v_lshlrev_b32_e32 v87, 2, v85
	ds_read_b32 v88, v87 offset:4
	v_mov_b32_e32 v87, v83
.LBB39_238:                             ;   in Loop: Header=BB39_2 Depth=1
	s_or_b64 exec, exec, s[20:21]
	v_add_u32_e32 v90, 1, v86
	v_add_u32_e32 v89, 1, v85
	v_cndmask_b32_e64 v90, v90, v86, s[18:19]
	v_cndmask_b32_e64 v89, v85, v89, s[18:19]
	v_cmp_ge_i32_e64 s[22:23], v90, v23
	s_waitcnt lgkmcnt(0)
	v_cmp_lt_i32_e64 s[24:25], v88, v87
	v_cmp_lt_i32_e64 s[20:21], v89, v24
	s_or_b64 s[22:23], s[22:23], s[24:25]
	s_and_b64 s[20:21], s[20:21], s[22:23]
	s_xor_b64 s[22:23], s[20:21], -1
                                        ; implicit-def: $vgpr91
	s_and_saveexec_b64 s[24:25], s[22:23]
	s_xor_b64 s[22:23], exec, s[24:25]
; %bb.239:                              ;   in Loop: Header=BB39_2 Depth=1
	v_lshlrev_b32_e32 v91, 2, v90
	ds_read_b32 v91, v91 offset:4
; %bb.240:                              ;   in Loop: Header=BB39_2 Depth=1
	s_or_saveexec_b64 s[22:23], s[22:23]
	v_mov_b32_e32 v92, v88
	s_xor_b64 exec, exec, s[22:23]
	s_cbranch_execz .LBB39_242
; %bb.241:                              ;   in Loop: Header=BB39_2 Depth=1
	s_waitcnt lgkmcnt(0)
	v_lshlrev_b32_e32 v91, 2, v89
	ds_read_b32 v92, v91 offset:4
	v_mov_b32_e32 v91, v87
.LBB39_242:                             ;   in Loop: Header=BB39_2 Depth=1
	s_or_b64 exec, exec, s[22:23]
	v_add_u32_e32 v94, 1, v90
	v_add_u32_e32 v93, 1, v89
	v_cndmask_b32_e64 v94, v94, v90, s[20:21]
	v_cndmask_b32_e64 v93, v89, v93, s[20:21]
	v_cmp_ge_i32_e64 s[24:25], v94, v23
	s_waitcnt lgkmcnt(0)
	v_cmp_lt_i32_e64 s[26:27], v92, v91
	v_cmp_lt_i32_e64 s[22:23], v93, v24
	s_or_b64 s[24:25], s[24:25], s[26:27]
	s_and_b64 s[22:23], s[22:23], s[24:25]
	s_xor_b64 s[24:25], s[22:23], -1
                                        ; implicit-def: $vgpr95
	s_and_saveexec_b64 s[26:27], s[24:25]
	s_xor_b64 s[24:25], exec, s[26:27]
; %bb.243:                              ;   in Loop: Header=BB39_2 Depth=1
	v_lshlrev_b32_e32 v95, 2, v94
	ds_read_b32 v95, v95 offset:4
; %bb.244:                              ;   in Loop: Header=BB39_2 Depth=1
	s_or_saveexec_b64 s[24:25], s[24:25]
	v_mov_b32_e32 v96, v92
	s_xor_b64 exec, exec, s[24:25]
	s_cbranch_execz .LBB39_246
; %bb.245:                              ;   in Loop: Header=BB39_2 Depth=1
	s_waitcnt lgkmcnt(0)
	v_lshlrev_b32_e32 v95, 2, v93
	ds_read_b32 v96, v95 offset:4
	v_mov_b32_e32 v95, v91
.LBB39_246:                             ;   in Loop: Header=BB39_2 Depth=1
	s_or_b64 exec, exec, s[24:25]
	v_add_u32_e32 v98, 1, v94
	v_add_u32_e32 v97, 1, v93
	v_cndmask_b32_e64 v98, v98, v94, s[22:23]
	v_cndmask_b32_e64 v97, v93, v97, s[22:23]
	v_cmp_ge_i32_e64 s[26:27], v98, v23
	s_waitcnt lgkmcnt(0)
	v_cmp_lt_i32_e64 s[28:29], v96, v95
	v_cmp_lt_i32_e64 s[24:25], v97, v24
	s_or_b64 s[26:27], s[26:27], s[28:29]
	s_and_b64 s[24:25], s[24:25], s[26:27]
	s_xor_b64 s[26:27], s[24:25], -1
                                        ; implicit-def: $vgpr99
	s_and_saveexec_b64 s[28:29], s[26:27]
	s_xor_b64 s[26:27], exec, s[28:29]
; %bb.247:                              ;   in Loop: Header=BB39_2 Depth=1
	v_lshlrev_b32_e32 v99, 2, v98
	ds_read_b32 v99, v99 offset:4
; %bb.248:                              ;   in Loop: Header=BB39_2 Depth=1
	s_or_saveexec_b64 s[26:27], s[26:27]
	v_mov_b32_e32 v100, v96
	s_xor_b64 exec, exec, s[26:27]
	s_cbranch_execz .LBB39_250
; %bb.249:                              ;   in Loop: Header=BB39_2 Depth=1
	s_waitcnt lgkmcnt(0)
	v_lshlrev_b32_e32 v99, 2, v97
	ds_read_b32 v100, v99 offset:4
	v_mov_b32_e32 v99, v95
.LBB39_250:                             ;   in Loop: Header=BB39_2 Depth=1
	s_or_b64 exec, exec, s[26:27]
	v_add_u32_e32 v102, 1, v98
	v_add_u32_e32 v101, 1, v97
	v_cndmask_b32_e64 v102, v102, v98, s[24:25]
	v_cndmask_b32_e64 v101, v97, v101, s[24:25]
	v_cmp_ge_i32_e64 s[28:29], v102, v23
	s_waitcnt lgkmcnt(0)
	v_cmp_lt_i32_e64 s[30:31], v100, v99
	v_cmp_lt_i32_e64 s[26:27], v101, v24
	s_or_b64 s[28:29], s[28:29], s[30:31]
	s_and_b64 s[26:27], s[26:27], s[28:29]
	s_xor_b64 s[28:29], s[26:27], -1
                                        ; implicit-def: $vgpr103
	s_and_saveexec_b64 s[30:31], s[28:29]
	s_xor_b64 s[28:29], exec, s[30:31]
; %bb.251:                              ;   in Loop: Header=BB39_2 Depth=1
	v_lshlrev_b32_e32 v103, 2, v102
	ds_read_b32 v103, v103 offset:4
; %bb.252:                              ;   in Loop: Header=BB39_2 Depth=1
	s_or_saveexec_b64 s[28:29], s[28:29]
	v_mov_b32_e32 v104, v100
	s_xor_b64 exec, exec, s[28:29]
	s_cbranch_execz .LBB39_254
; %bb.253:                              ;   in Loop: Header=BB39_2 Depth=1
	s_waitcnt lgkmcnt(0)
	v_lshlrev_b32_e32 v103, 2, v101
	ds_read_b32 v104, v103 offset:4
	v_mov_b32_e32 v103, v99
.LBB39_254:                             ;   in Loop: Header=BB39_2 Depth=1
	s_or_b64 exec, exec, s[28:29]
	v_add_u32_e32 v107, 1, v102
	v_add_u32_e32 v105, 1, v101
	v_cndmask_b32_e64 v107, v107, v102, s[26:27]
	v_cndmask_b32_e64 v106, v101, v105, s[26:27]
	v_cmp_ge_i32_e64 s[30:31], v107, v23
	s_waitcnt lgkmcnt(0)
	v_cmp_lt_i32_e64 s[34:35], v104, v103
	v_cmp_lt_i32_e64 s[28:29], v106, v24
	s_or_b64 s[30:31], s[30:31], s[34:35]
	s_and_b64 s[28:29], s[28:29], s[30:31]
	s_xor_b64 s[30:31], s[28:29], -1
                                        ; implicit-def: $vgpr105
	s_and_saveexec_b64 s[34:35], s[30:31]
	s_xor_b64 s[30:31], exec, s[34:35]
; %bb.255:                              ;   in Loop: Header=BB39_2 Depth=1
	v_lshlrev_b32_e32 v105, 2, v107
	ds_read_b32 v105, v105 offset:4
; %bb.256:                              ;   in Loop: Header=BB39_2 Depth=1
	s_or_saveexec_b64 s[30:31], s[30:31]
	v_mov_b32_e32 v108, v104
	s_xor_b64 exec, exec, s[30:31]
	s_cbranch_execz .LBB39_258
; %bb.257:                              ;   in Loop: Header=BB39_2 Depth=1
	s_waitcnt lgkmcnt(0)
	v_lshlrev_b32_e32 v105, 2, v106
	ds_read_b32 v108, v105 offset:4
	v_mov_b32_e32 v105, v103
.LBB39_258:                             ;   in Loop: Header=BB39_2 Depth=1
	s_or_b64 exec, exec, s[30:31]
	v_add_u32_e32 v109, 1, v107
	v_cndmask_b32_e64 v103, v103, v104, s[28:29]
	v_add_u32_e32 v104, 1, v106
	v_cndmask_b32_e64 v109, v109, v107, s[28:29]
	v_cndmask_b32_e64 v104, v106, v104, s[28:29]
	;; [unrolled: 1-line block ×6, first 2 shown]
	v_cmp_ge_i32_e64 s[18:19], v109, v23
	s_waitcnt lgkmcnt(0)
	v_cmp_lt_i32_e64 s[20:21], v108, v105
	v_cndmask_b32_e64 v80, v80, v82, s[16:17]
	v_cndmask_b32_e64 v79, v81, v79, s[16:17]
	v_cmp_lt_i32_e64 s[16:17], v104, v24
	s_or_b64 s[18:19], s[18:19], s[20:21]
	s_and_b64 s[16:17], s[16:17], s[18:19]
	v_cndmask_b32_e64 v106, v107, v106, s[28:29]
	v_cndmask_b32_e64 v99, v99, v100, s[26:27]
	;; [unrolled: 1-line block ×8, first 2 shown]
	s_barrier
	ds_write2_b32 v61, v71, v72 offset1:1
	ds_write2_b32 v61, v73, v74 offset0:2 offset1:3
	ds_write2_b32 v61, v75, v76 offset0:4 offset1:5
	;; [unrolled: 1-line block ×3, first 2 shown]
	v_lshlrev_b32_e32 v71, 2, v79
	v_lshlrev_b32_e32 v72, 2, v84
	;; [unrolled: 1-line block ×8, first 2 shown]
	s_waitcnt lgkmcnt(0)
	s_barrier
	ds_read_b32 v71, v71
	ds_read_b32 v72, v72
	;; [unrolled: 1-line block ×8, first 2 shown]
	v_mov_b32_e32 v79, v42
	v_cndmask_b32_e64 v81, v105, v108, s[16:17]
	s_waitcnt lgkmcnt(0)
	s_barrier
	ds_write2_b32 v61, v80, v83 offset1:1
	ds_write2_b32 v61, v87, v91 offset0:2 offset1:3
	ds_write2_b32 v61, v95, v99 offset0:4 offset1:5
	;; [unrolled: 1-line block ×3, first 2 shown]
	s_waitcnt lgkmcnt(0)
	s_barrier
	s_and_saveexec_b64 s[18:19], s[14:15]
	s_cbranch_execz .LBB39_262
; %bb.259:                              ;   in Loop: Header=BB39_2 Depth=1
	s_mov_b64 s[20:21], 0
	v_mov_b32_e32 v79, v42
	v_mov_b32_e32 v80, v43
.LBB39_260:                             ;   Parent Loop BB39_2 Depth=1
                                        ; =>  This Inner Loop Header: Depth=2
	v_sub_u32_e32 v81, v80, v79
	v_lshrrev_b32_e32 v81, 1, v81
	v_add_u32_e32 v81, v81, v79
	v_not_b32_e32 v83, v81
	v_lshlrev_b32_e32 v82, 2, v81
	v_lshl_add_u32 v83, v83, 2, v70
	ds_read_b32 v82, v82
	ds_read_b32 v83, v83
	v_add_u32_e32 v84, 1, v81
	s_waitcnt lgkmcnt(0)
	v_cmp_lt_i32_e64 s[16:17], v83, v82
	v_cndmask_b32_e64 v80, v80, v81, s[16:17]
	v_cndmask_b32_e64 v79, v84, v79, s[16:17]
	v_cmp_ge_i32_e64 s[16:17], v79, v80
	s_or_b64 s[20:21], s[16:17], s[20:21]
	s_andn2_b64 exec, exec, s[20:21]
	s_cbranch_execnz .LBB39_260
; %bb.261:                              ;   in Loop: Header=BB39_2 Depth=1
	s_or_b64 exec, exec, s[20:21]
.LBB39_262:                             ;   in Loop: Header=BB39_2 Depth=1
	s_or_b64 exec, exec, s[18:19]
	v_sub_u32_e32 v80, v44, v79
	v_lshlrev_b32_e32 v84, 2, v79
	v_lshlrev_b32_e32 v85, 2, v80
	ds_read_b32 v81, v84
	ds_read_b32 v82, v85
	v_cmp_le_i32_e64 s[18:19], v41, v79
	v_cmp_gt_i32_e64 s[16:17], s33, v80
                                        ; implicit-def: $vgpr83
	s_waitcnt lgkmcnt(0)
	v_cmp_lt_i32_e64 s[20:21], v82, v81
	s_or_b64 s[18:19], s[18:19], s[20:21]
	s_and_b64 s[16:17], s[16:17], s[18:19]
	s_xor_b64 s[18:19], s[16:17], -1
	s_and_saveexec_b64 s[20:21], s[18:19]
	s_xor_b64 s[18:19], exec, s[20:21]
; %bb.263:                              ;   in Loop: Header=BB39_2 Depth=1
	ds_read_b32 v83, v84 offset:4
                                        ; implicit-def: $vgpr85
; %bb.264:                              ;   in Loop: Header=BB39_2 Depth=1
	s_or_saveexec_b64 s[18:19], s[18:19]
	v_mov_b32_e32 v84, v82
	s_xor_b64 exec, exec, s[18:19]
	s_cbranch_execz .LBB39_266
; %bb.265:                              ;   in Loop: Header=BB39_2 Depth=1
	ds_read_b32 v84, v85 offset:4
	s_waitcnt lgkmcnt(1)
	v_mov_b32_e32 v83, v81
.LBB39_266:                             ;   in Loop: Header=BB39_2 Depth=1
	s_or_b64 exec, exec, s[18:19]
	v_add_u32_e32 v86, 1, v79
	v_add_u32_e32 v85, 1, v80
	v_cndmask_b32_e64 v86, v86, v79, s[16:17]
	v_cndmask_b32_e64 v85, v80, v85, s[16:17]
	v_cmp_ge_i32_e64 s[20:21], v86, v41
	s_waitcnt lgkmcnt(0)
	v_cmp_lt_i32_e64 s[22:23], v84, v83
	v_cmp_gt_i32_e64 s[18:19], s33, v85
	s_or_b64 s[20:21], s[20:21], s[22:23]
	s_and_b64 s[18:19], s[18:19], s[20:21]
	s_xor_b64 s[20:21], s[18:19], -1
                                        ; implicit-def: $vgpr87
	s_and_saveexec_b64 s[22:23], s[20:21]
	s_xor_b64 s[20:21], exec, s[22:23]
; %bb.267:                              ;   in Loop: Header=BB39_2 Depth=1
	v_lshlrev_b32_e32 v87, 2, v86
	ds_read_b32 v87, v87 offset:4
; %bb.268:                              ;   in Loop: Header=BB39_2 Depth=1
	s_or_saveexec_b64 s[20:21], s[20:21]
	v_mov_b32_e32 v89, v84
	s_xor_b64 exec, exec, s[20:21]
	s_cbranch_execz .LBB39_270
; %bb.269:                              ;   in Loop: Header=BB39_2 Depth=1
	s_waitcnt lgkmcnt(0)
	v_lshlrev_b32_e32 v87, 2, v85
	ds_read_b32 v89, v87 offset:4
	v_mov_b32_e32 v87, v83
.LBB39_270:                             ;   in Loop: Header=BB39_2 Depth=1
	s_or_b64 exec, exec, s[20:21]
	v_add_u32_e32 v91, 1, v86
	v_add_u32_e32 v88, 1, v85
	v_cndmask_b32_e64 v91, v91, v86, s[18:19]
	v_cndmask_b32_e64 v90, v85, v88, s[18:19]
	v_cmp_ge_i32_e64 s[22:23], v91, v41
	s_waitcnt lgkmcnt(0)
	v_cmp_lt_i32_e64 s[24:25], v89, v87
	v_cmp_gt_i32_e64 s[20:21], s33, v90
	s_or_b64 s[22:23], s[22:23], s[24:25]
	s_and_b64 s[20:21], s[20:21], s[22:23]
	s_xor_b64 s[22:23], s[20:21], -1
                                        ; implicit-def: $vgpr92
	s_and_saveexec_b64 s[24:25], s[22:23]
	s_xor_b64 s[22:23], exec, s[24:25]
; %bb.271:                              ;   in Loop: Header=BB39_2 Depth=1
	v_lshlrev_b32_e32 v88, 2, v91
	ds_read_b32 v92, v88 offset:4
; %bb.272:                              ;   in Loop: Header=BB39_2 Depth=1
	s_or_saveexec_b64 s[22:23], s[22:23]
	v_mov_b32_e32 v93, v89
	s_xor_b64 exec, exec, s[22:23]
	s_cbranch_execz .LBB39_274
; %bb.273:                              ;   in Loop: Header=BB39_2 Depth=1
	v_lshlrev_b32_e32 v88, 2, v90
	ds_read_b32 v93, v88 offset:4
	s_waitcnt lgkmcnt(1)
	v_mov_b32_e32 v92, v87
.LBB39_274:                             ;   in Loop: Header=BB39_2 Depth=1
	s_or_b64 exec, exec, s[22:23]
	v_add_u32_e32 v95, 1, v91
	v_add_u32_e32 v88, 1, v90
	v_cndmask_b32_e64 v95, v95, v91, s[20:21]
	v_cndmask_b32_e64 v94, v90, v88, s[20:21]
	v_cmp_ge_i32_e64 s[24:25], v95, v41
	s_waitcnt lgkmcnt(0)
	v_cmp_lt_i32_e64 s[26:27], v93, v92
	v_cmp_gt_i32_e64 s[22:23], s33, v94
	s_or_b64 s[24:25], s[24:25], s[26:27]
	s_and_b64 s[22:23], s[22:23], s[24:25]
	s_xor_b64 s[24:25], s[22:23], -1
                                        ; implicit-def: $vgpr97
	s_and_saveexec_b64 s[26:27], s[24:25]
	s_xor_b64 s[24:25], exec, s[26:27]
; %bb.275:                              ;   in Loop: Header=BB39_2 Depth=1
	v_lshlrev_b32_e32 v88, 2, v95
	ds_read_b32 v97, v88 offset:4
; %bb.276:                              ;   in Loop: Header=BB39_2 Depth=1
	s_or_saveexec_b64 s[24:25], s[24:25]
	v_mov_b32_e32 v99, v93
	s_xor_b64 exec, exec, s[24:25]
	s_cbranch_execz .LBB39_278
; %bb.277:                              ;   in Loop: Header=BB39_2 Depth=1
	v_lshlrev_b32_e32 v88, 2, v94
	ds_read_b32 v99, v88 offset:4
	s_waitcnt lgkmcnt(1)
	v_mov_b32_e32 v97, v92
.LBB39_278:                             ;   in Loop: Header=BB39_2 Depth=1
	s_or_b64 exec, exec, s[24:25]
	v_add_u32_e32 v96, 1, v95
	v_add_u32_e32 v88, 1, v94
	v_cndmask_b32_e64 v101, v96, v95, s[22:23]
	v_cndmask_b32_e64 v100, v94, v88, s[22:23]
	v_cmp_ge_i32_e64 s[26:27], v101, v41
	s_waitcnt lgkmcnt(0)
	v_cmp_lt_i32_e64 s[28:29], v99, v97
	v_cmp_gt_i32_e64 s[24:25], s33, v100
	s_or_b64 s[26:27], s[26:27], s[28:29]
	s_and_b64 s[26:27], s[24:25], s[26:27]
	s_xor_b64 s[24:25], s[26:27], -1
                                        ; implicit-def: $vgpr96
	s_and_saveexec_b64 s[28:29], s[24:25]
	s_xor_b64 s[24:25], exec, s[28:29]
; %bb.279:                              ;   in Loop: Header=BB39_2 Depth=1
	v_lshlrev_b32_e32 v88, 2, v101
	ds_read_b32 v96, v88 offset:4
; %bb.280:                              ;   in Loop: Header=BB39_2 Depth=1
	s_or_saveexec_b64 s[24:25], s[24:25]
	v_mov_b32_e32 v98, v99
	s_xor_b64 exec, exec, s[24:25]
	s_cbranch_execz .LBB39_282
; %bb.281:                              ;   in Loop: Header=BB39_2 Depth=1
	v_lshlrev_b32_e32 v88, 2, v100
	ds_read_b32 v98, v88 offset:4
	s_waitcnt lgkmcnt(1)
	v_mov_b32_e32 v96, v97
.LBB39_282:                             ;   in Loop: Header=BB39_2 Depth=1
	s_or_b64 exec, exec, s[24:25]
	v_add_u32_e32 v102, 1, v101
	v_add_u32_e32 v88, 1, v100
	v_cndmask_b32_e64 v105, v102, v101, s[26:27]
	v_cndmask_b32_e64 v104, v100, v88, s[26:27]
	v_cmp_ge_i32_e64 s[28:29], v105, v41
	s_waitcnt lgkmcnt(0)
	v_cmp_lt_i32_e64 s[30:31], v98, v96
	v_cmp_gt_i32_e64 s[24:25], s33, v104
	s_or_b64 s[28:29], s[28:29], s[30:31]
	s_and_b64 s[24:25], s[24:25], s[28:29]
	s_xor_b64 s[28:29], s[24:25], -1
                                        ; implicit-def: $vgpr102
	s_and_saveexec_b64 s[30:31], s[28:29]
	s_xor_b64 s[28:29], exec, s[30:31]
; %bb.283:                              ;   in Loop: Header=BB39_2 Depth=1
	v_lshlrev_b32_e32 v88, 2, v105
	ds_read_b32 v102, v88 offset:4
; %bb.284:                              ;   in Loop: Header=BB39_2 Depth=1
	s_or_saveexec_b64 s[28:29], s[28:29]
	v_mov_b32_e32 v103, v98
	s_xor_b64 exec, exec, s[28:29]
	s_cbranch_execz .LBB39_286
; %bb.285:                              ;   in Loop: Header=BB39_2 Depth=1
	v_lshlrev_b32_e32 v88, 2, v104
	ds_read_b32 v103, v88 offset:4
	s_waitcnt lgkmcnt(1)
	v_mov_b32_e32 v102, v96
.LBB39_286:                             ;   in Loop: Header=BB39_2 Depth=1
	s_or_b64 exec, exec, s[28:29]
	v_add_u32_e32 v88, 1, v104
	v_add_u32_e32 v107, 1, v105
	v_cndmask_b32_e64 v106, v104, v88, s[24:25]
	v_cndmask_b32_e64 v88, v107, v105, s[24:25]
	v_cmp_ge_i32_e64 s[30:31], v88, v41
	s_waitcnt lgkmcnt(0)
	v_cmp_lt_i32_e64 s[34:35], v103, v102
	v_cmp_gt_i32_e64 s[28:29], s33, v106
	s_or_b64 s[30:31], s[30:31], s[34:35]
	s_and_b64 s[28:29], s[28:29], s[30:31]
	s_xor_b64 s[30:31], s[28:29], -1
                                        ; implicit-def: $vgpr109
                                        ; implicit-def: $vgpr108
	s_and_saveexec_b64 s[34:35], s[30:31]
	s_xor_b64 s[30:31], exec, s[34:35]
; %bb.287:                              ;   in Loop: Header=BB39_2 Depth=1
	v_lshlrev_b32_e32 v107, 2, v88
	ds_read_b32 v109, v107 offset:4
	v_add_u32_e32 v108, 1, v88
; %bb.288:                              ;   in Loop: Header=BB39_2 Depth=1
	s_or_saveexec_b64 s[30:31], s[30:31]
	v_mov_b32_e32 v107, v88
	v_mov_b32_e32 v110, v103
	s_xor_b64 exec, exec, s[30:31]
	s_cbranch_execz .LBB39_1
; %bb.289:                              ;   in Loop: Header=BB39_2 Depth=1
	v_lshlrev_b32_e32 v107, 2, v106
	ds_read_b32 v110, v107 offset:4
	s_waitcnt lgkmcnt(1)
	v_add_u32_e32 v109, 1, v106
	v_mov_b32_e32 v107, v106
	v_mov_b32_e32 v108, v88
	;; [unrolled: 1-line block ×4, first 2 shown]
	s_branch .LBB39_1
.LBB39_290:
	v_readlane_b32 s0, v111, 0
	v_readlane_b32 s1, v111, 1
	;; [unrolled: 1-line block ×6, first 2 shown]
	s_add_u32 s0, s2, s0
	s_addc_u32 s1, s3, s1
	v_lshlrev_b32_e32 v0, 2, v0
	s_waitcnt lgkmcnt(7)
	v_add_u32_e32 v1, v88, v71
	v_mov_b32_e32 v9, s1
	v_add_co_u32_e32 v10, vcc, s0, v0
	s_waitcnt lgkmcnt(6)
	v_add_u32_e32 v2, v84, v75
	v_addc_co_u32_e32 v9, vcc, 0, v9, vcc
	global_store_dword v0, v1, s[0:1]
	global_store_dword v0, v2, s[0:1] offset:2048
	s_movk_i32 s0, 0x1000
	v_add_co_u32_e32 v0, vcc, s0, v10
	s_waitcnt lgkmcnt(5)
	v_add_u32_e32 v3, v82, v72
	v_addc_co_u32_e32 v1, vcc, 0, v9, vcc
	s_waitcnt lgkmcnt(4)
	v_add_u32_e32 v4, v83, v76
	global_store_dword v[0:1], v3, off
	global_store_dword v[0:1], v4, off offset:2048
	v_add_co_u32_e32 v0, vcc, 0x2000, v10
	s_waitcnt lgkmcnt(3)
	v_add_u32_e32 v5, v81, v73
	v_addc_co_u32_e32 v1, vcc, 0, v9, vcc
	s_waitcnt lgkmcnt(2)
	v_add_u32_e32 v6, v80, v77
	global_store_dword v[0:1], v5, off
	global_store_dword v[0:1], v6, off offset:2048
	v_add_co_u32_e32 v0, vcc, 0x3000, v10
	s_waitcnt lgkmcnt(1)
	v_add_u32_e32 v7, v85, v74
	v_addc_co_u32_e32 v1, vcc, 0, v9, vcc
	s_waitcnt lgkmcnt(0)
	v_add_u32_e32 v8, v79, v78
	global_store_dword v[0:1], v7, off
	global_store_dword v[0:1], v8, off offset:2048
	s_endpgm
	.section	.rodata,"a",@progbits
	.p2align	6, 0x0
	.amdhsa_kernel _Z17sort_pairs_kernelIiLj512ELj8EN10test_utils4lessELj10EEvPKT_PS2_T2_
		.amdhsa_group_segment_fixed_size 16388
		.amdhsa_private_segment_fixed_size 0
		.amdhsa_kernarg_size 20
		.amdhsa_user_sgpr_count 6
		.amdhsa_user_sgpr_private_segment_buffer 1
		.amdhsa_user_sgpr_dispatch_ptr 0
		.amdhsa_user_sgpr_queue_ptr 0
		.amdhsa_user_sgpr_kernarg_segment_ptr 1
		.amdhsa_user_sgpr_dispatch_id 0
		.amdhsa_user_sgpr_flat_scratch_init 0
		.amdhsa_user_sgpr_private_segment_size 0
		.amdhsa_uses_dynamic_stack 0
		.amdhsa_system_sgpr_private_segment_wavefront_offset 0
		.amdhsa_system_sgpr_workgroup_id_x 1
		.amdhsa_system_sgpr_workgroup_id_y 0
		.amdhsa_system_sgpr_workgroup_id_z 0
		.amdhsa_system_sgpr_workgroup_info 0
		.amdhsa_system_vgpr_workitem_id 0
		.amdhsa_next_free_vgpr 112
		.amdhsa_next_free_sgpr 96
		.amdhsa_reserve_vcc 1
		.amdhsa_reserve_flat_scratch 0
		.amdhsa_float_round_mode_32 0
		.amdhsa_float_round_mode_16_64 0
		.amdhsa_float_denorm_mode_32 3
		.amdhsa_float_denorm_mode_16_64 3
		.amdhsa_dx10_clamp 1
		.amdhsa_ieee_mode 1
		.amdhsa_fp16_overflow 0
		.amdhsa_exception_fp_ieee_invalid_op 0
		.amdhsa_exception_fp_denorm_src 0
		.amdhsa_exception_fp_ieee_div_zero 0
		.amdhsa_exception_fp_ieee_overflow 0
		.amdhsa_exception_fp_ieee_underflow 0
		.amdhsa_exception_fp_ieee_inexact 0
		.amdhsa_exception_int_div_zero 0
	.end_amdhsa_kernel
	.section	.text._Z17sort_pairs_kernelIiLj512ELj8EN10test_utils4lessELj10EEvPKT_PS2_T2_,"axG",@progbits,_Z17sort_pairs_kernelIiLj512ELj8EN10test_utils4lessELj10EEvPKT_PS2_T2_,comdat
.Lfunc_end39:
	.size	_Z17sort_pairs_kernelIiLj512ELj8EN10test_utils4lessELj10EEvPKT_PS2_T2_, .Lfunc_end39-_Z17sort_pairs_kernelIiLj512ELj8EN10test_utils4lessELj10EEvPKT_PS2_T2_
                                        ; -- End function
	.set _Z17sort_pairs_kernelIiLj512ELj8EN10test_utils4lessELj10EEvPKT_PS2_T2_.num_vgpr, 112
	.set _Z17sort_pairs_kernelIiLj512ELj8EN10test_utils4lessELj10EEvPKT_PS2_T2_.num_agpr, 0
	.set _Z17sort_pairs_kernelIiLj512ELj8EN10test_utils4lessELj10EEvPKT_PS2_T2_.numbered_sgpr, 96
	.set _Z17sort_pairs_kernelIiLj512ELj8EN10test_utils4lessELj10EEvPKT_PS2_T2_.num_named_barrier, 0
	.set _Z17sort_pairs_kernelIiLj512ELj8EN10test_utils4lessELj10EEvPKT_PS2_T2_.private_seg_size, 0
	.set _Z17sort_pairs_kernelIiLj512ELj8EN10test_utils4lessELj10EEvPKT_PS2_T2_.uses_vcc, 1
	.set _Z17sort_pairs_kernelIiLj512ELj8EN10test_utils4lessELj10EEvPKT_PS2_T2_.uses_flat_scratch, 0
	.set _Z17sort_pairs_kernelIiLj512ELj8EN10test_utils4lessELj10EEvPKT_PS2_T2_.has_dyn_sized_stack, 0
	.set _Z17sort_pairs_kernelIiLj512ELj8EN10test_utils4lessELj10EEvPKT_PS2_T2_.has_recursion, 0
	.set _Z17sort_pairs_kernelIiLj512ELj8EN10test_utils4lessELj10EEvPKT_PS2_T2_.has_indirect_call, 0
	.section	.AMDGPU.csdata,"",@progbits
; Kernel info:
; codeLenInByte = 14780
; TotalNumSgprs: 100
; NumVgprs: 112
; ScratchSize: 0
; MemoryBound: 0
; FloatMode: 240
; IeeeMode: 1
; LDSByteSize: 16388 bytes/workgroup (compile time only)
; SGPRBlocks: 12
; VGPRBlocks: 27
; NumSGPRsForWavesPerEU: 100
; NumVGPRsForWavesPerEU: 112
; Occupancy: 2
; WaveLimiterHint : 1
; COMPUTE_PGM_RSRC2:SCRATCH_EN: 0
; COMPUTE_PGM_RSRC2:USER_SGPR: 6
; COMPUTE_PGM_RSRC2:TRAP_HANDLER: 0
; COMPUTE_PGM_RSRC2:TGID_X_EN: 1
; COMPUTE_PGM_RSRC2:TGID_Y_EN: 0
; COMPUTE_PGM_RSRC2:TGID_Z_EN: 0
; COMPUTE_PGM_RSRC2:TIDIG_COMP_CNT: 0
	.section	.text._Z16sort_keys_kernelIaLj64ELj1EN10test_utils4lessELj10EEvPKT_PS2_T2_,"axG",@progbits,_Z16sort_keys_kernelIaLj64ELj1EN10test_utils4lessELj10EEvPKT_PS2_T2_,comdat
	.protected	_Z16sort_keys_kernelIaLj64ELj1EN10test_utils4lessELj10EEvPKT_PS2_T2_ ; -- Begin function _Z16sort_keys_kernelIaLj64ELj1EN10test_utils4lessELj10EEvPKT_PS2_T2_
	.globl	_Z16sort_keys_kernelIaLj64ELj1EN10test_utils4lessELj10EEvPKT_PS2_T2_
	.p2align	8
	.type	_Z16sort_keys_kernelIaLj64ELj1EN10test_utils4lessELj10EEvPKT_PS2_T2_,@function
_Z16sort_keys_kernelIaLj64ELj1EN10test_utils4lessELj10EEvPKT_PS2_T2_: ; @_Z16sort_keys_kernelIaLj64ELj1EN10test_utils4lessELj10EEvPKT_PS2_T2_
; %bb.0:
	s_load_dwordx4 s[12:15], s[4:5], 0x0
	s_lshl_b32 s18, s6, 6
	v_and_b32_e32 v1, 60, v0
	v_and_b32_e32 v3, 56, v0
	;; [unrolled: 1-line block ×3, first 2 shown]
	s_waitcnt lgkmcnt(0)
	s_add_u32 s0, s12, s18
	s_addc_u32 s1, s13, 0
	global_load_ubyte v34, v0, s[0:1]
	v_and_b32_e32 v7, 32, v0
	v_or_b32_e32 v17, 2, v1
	v_add_u32_e32 v2, 4, v1
	v_or_b32_e32 v21, 4, v3
	v_add_u32_e32 v4, 8, v3
	;; [unrolled: 2-line block ×4, first 2 shown]
	v_and_b32_e32 v18, 3, v0
	v_sub_u32_e32 v15, v2, v17
	v_and_b32_e32 v22, 7, v0
	v_sub_u32_e32 v19, v4, v21
	;; [unrolled: 2-line block ×5, first 2 shown]
	v_sub_u32_e32 v20, v22, v19
	v_sub_u32_e32 v24, v26, v23
	;; [unrolled: 1-line block ×3, first 2 shown]
	v_and_b32_e32 v14, 1, v0
	v_or_b32_e32 v11, 1, v10
	v_cmp_ge_i32_e64 s[0:1], v18, v15
	v_cmp_ge_i32_e64 s[2:3], v22, v19
	;; [unrolled: 1-line block ×4, first 2 shown]
	v_add_u32_e32 v9, -1, v14
	v_cmp_lt_i32_e32 vcc, 0, v14
	v_sub_u32_e32 v12, v11, v10
	v_cndmask_b32_e64 v15, 0, v16, s[0:1]
	v_sub_u32_e32 v16, v17, v1
	v_cndmask_b32_e64 v19, 0, v20, s[2:3]
	;; [unrolled: 2-line block ×4, first 2 shown]
	v_sub_u32_e32 v28, v29, v7
	v_cndmask_b32_e32 v9, 0, v9, vcc
	v_min_i32_e32 v13, v14, v12
	v_add_u32_e32 v17, v17, v18
	v_min_i32_e32 v18, v18, v16
	v_add_u32_e32 v21, v21, v22
	v_min_i32_e32 v22, v22, v20
	v_add_u32_e32 v25, v25, v26
	v_min_i32_e32 v26, v26, v24
	v_add_u32_e32 v29, v29, v30
	v_min_i32_e32 v30, v30, v28
	v_sub_u32_e64 v31, v0, 32 clamp
	v_min_i32_e32 v32, 32, v0
	s_mov_b32 s19, 0
	v_cmp_lt_i32_e32 vcc, v9, v13
	v_add_u32_e32 v14, v11, v14
	v_cmp_lt_i32_e64 s[0:1], v15, v18
	v_cmp_lt_i32_e64 s[2:3], v19, v22
	;; [unrolled: 1-line block ×5, first 2 shown]
	v_add_u32_e32 v33, 32, v0
	s_branch .LBB40_2
.LBB40_1:                               ;   in Loop: Header=BB40_2 Depth=1
	s_or_b64 exec, exec, s[12:13]
	v_sub_u32_e32 v35, v33, v34
	ds_read_u8 v36, v34
	ds_read_u8 v37, v35
	v_cmp_le_i32_e64 s[10:11], 32, v34
	v_cmp_gt_i32_e64 s[12:13], 64, v35
	s_add_i32 s19, s19, 1
	s_waitcnt lgkmcnt(0)
	v_cmp_lt_i16_sdwa s[16:17], sext(v37), sext(v36) src0_sel:BYTE_0 src1_sel:BYTE_0
	s_or_b64 s[10:11], s[10:11], s[16:17]
	s_and_b64 s[10:11], s[12:13], s[10:11]
	s_cmp_eq_u32 s19, 10
	v_cndmask_b32_e64 v34, v36, v37, s[10:11]
	s_cbranch_scc1 .LBB40_26
.LBB40_2:                               ; =>This Loop Header: Depth=1
                                        ;     Child Loop BB40_4 Depth 2
                                        ;     Child Loop BB40_8 Depth 2
	;; [unrolled: 1-line block ×6, first 2 shown]
	s_waitcnt vmcnt(0)
	; wave barrier
	ds_write_b8 v0, v34
	v_mov_b32_e32 v34, v9
	s_waitcnt lgkmcnt(0)
	; wave barrier
	s_and_saveexec_b64 s[12:13], vcc
	s_cbranch_execz .LBB40_6
; %bb.3:                                ;   in Loop: Header=BB40_2 Depth=1
	s_mov_b64 s[16:17], 0
	v_mov_b32_e32 v34, v9
	v_mov_b32_e32 v35, v13
.LBB40_4:                               ;   Parent Loop BB40_2 Depth=1
                                        ; =>  This Inner Loop Header: Depth=2
	v_sub_u32_e32 v36, v35, v34
	v_lshrrev_b32_e32 v36, 1, v36
	v_add_u32_e32 v36, v36, v34
	v_add_u32_e32 v37, v10, v36
	v_xad_u32 v38, v36, -1, v14
	ds_read_i8 v37, v37
	ds_read_i8 v38, v38
	v_add_u32_e32 v39, 1, v36
	s_waitcnt lgkmcnt(0)
	v_cmp_lt_i16_e64 s[10:11], v38, v37
	v_cndmask_b32_e64 v35, v35, v36, s[10:11]
	v_cndmask_b32_e64 v34, v39, v34, s[10:11]
	v_cmp_ge_i32_e64 s[10:11], v34, v35
	s_or_b64 s[16:17], s[10:11], s[16:17]
	s_andn2_b64 exec, exec, s[16:17]
	s_cbranch_execnz .LBB40_4
; %bb.5:                                ;   in Loop: Header=BB40_2 Depth=1
	s_or_b64 exec, exec, s[16:17]
.LBB40_6:                               ;   in Loop: Header=BB40_2 Depth=1
	s_or_b64 exec, exec, s[12:13]
	v_add_u32_e32 v36, v10, v34
	v_sub_u32_e32 v35, v14, v34
	ds_read_u8 v36, v36
	ds_read_u8 v37, v35
	v_cmp_ge_i32_e64 s[10:11], v34, v12
	v_cmp_ge_i32_e64 s[12:13], v11, v35
	s_waitcnt lgkmcnt(0)
	; wave barrier
	v_cmp_lt_i16_sdwa s[16:17], sext(v37), sext(v36) src0_sel:BYTE_0 src1_sel:BYTE_0
	s_or_b64 s[10:11], s[10:11], s[16:17]
	s_and_b64 s[10:11], s[12:13], s[10:11]
	v_cndmask_b32_e64 v34, v36, v37, s[10:11]
	ds_write_b8 v0, v34
	v_mov_b32_e32 v34, v15
	s_waitcnt lgkmcnt(0)
	; wave barrier
	s_and_saveexec_b64 s[12:13], s[0:1]
	s_cbranch_execz .LBB40_10
; %bb.7:                                ;   in Loop: Header=BB40_2 Depth=1
	s_mov_b64 s[16:17], 0
	v_mov_b32_e32 v34, v15
	v_mov_b32_e32 v35, v18
.LBB40_8:                               ;   Parent Loop BB40_2 Depth=1
                                        ; =>  This Inner Loop Header: Depth=2
	v_sub_u32_e32 v36, v35, v34
	v_lshrrev_b32_e32 v36, 1, v36
	v_add_u32_e32 v36, v36, v34
	v_add_u32_e32 v37, v1, v36
	v_xad_u32 v38, v36, -1, v17
	ds_read_i8 v37, v37
	ds_read_i8 v38, v38
	v_add_u32_e32 v39, 1, v36
	s_waitcnt lgkmcnt(0)
	v_cmp_lt_i16_e64 s[10:11], v38, v37
	v_cndmask_b32_e64 v35, v35, v36, s[10:11]
	v_cndmask_b32_e64 v34, v39, v34, s[10:11]
	v_cmp_ge_i32_e64 s[10:11], v34, v35
	s_or_b64 s[16:17], s[10:11], s[16:17]
	s_andn2_b64 exec, exec, s[16:17]
	s_cbranch_execnz .LBB40_8
; %bb.9:                                ;   in Loop: Header=BB40_2 Depth=1
	s_or_b64 exec, exec, s[16:17]
.LBB40_10:                              ;   in Loop: Header=BB40_2 Depth=1
	s_or_b64 exec, exec, s[12:13]
	v_add_u32_e32 v36, v1, v34
	v_sub_u32_e32 v35, v17, v34
	ds_read_u8 v36, v36
	ds_read_u8 v37, v35
	v_cmp_ge_i32_e64 s[10:11], v34, v16
	v_cmp_gt_i32_e64 s[12:13], v2, v35
	s_waitcnt lgkmcnt(0)
	; wave barrier
	v_cmp_lt_i16_sdwa s[16:17], sext(v37), sext(v36) src0_sel:BYTE_0 src1_sel:BYTE_0
	s_or_b64 s[10:11], s[10:11], s[16:17]
	s_and_b64 s[10:11], s[12:13], s[10:11]
	v_cndmask_b32_e64 v34, v36, v37, s[10:11]
	ds_write_b8 v0, v34
	v_mov_b32_e32 v34, v19
	s_waitcnt lgkmcnt(0)
	; wave barrier
	s_and_saveexec_b64 s[12:13], s[2:3]
	s_cbranch_execz .LBB40_14
; %bb.11:                               ;   in Loop: Header=BB40_2 Depth=1
	s_mov_b64 s[16:17], 0
	v_mov_b32_e32 v34, v19
	v_mov_b32_e32 v35, v22
.LBB40_12:                              ;   Parent Loop BB40_2 Depth=1
                                        ; =>  This Inner Loop Header: Depth=2
	v_sub_u32_e32 v36, v35, v34
	v_lshrrev_b32_e32 v36, 1, v36
	v_add_u32_e32 v36, v36, v34
	v_add_u32_e32 v37, v3, v36
	v_xad_u32 v38, v36, -1, v21
	ds_read_i8 v37, v37
	ds_read_i8 v38, v38
	v_add_u32_e32 v39, 1, v36
	s_waitcnt lgkmcnt(0)
	v_cmp_lt_i16_e64 s[10:11], v38, v37
	v_cndmask_b32_e64 v35, v35, v36, s[10:11]
	v_cndmask_b32_e64 v34, v39, v34, s[10:11]
	v_cmp_ge_i32_e64 s[10:11], v34, v35
	s_or_b64 s[16:17], s[10:11], s[16:17]
	s_andn2_b64 exec, exec, s[16:17]
	s_cbranch_execnz .LBB40_12
; %bb.13:                               ;   in Loop: Header=BB40_2 Depth=1
	s_or_b64 exec, exec, s[16:17]
.LBB40_14:                              ;   in Loop: Header=BB40_2 Depth=1
	s_or_b64 exec, exec, s[12:13]
	v_add_u32_e32 v36, v3, v34
	v_sub_u32_e32 v35, v21, v34
	ds_read_u8 v36, v36
	ds_read_u8 v37, v35
	v_cmp_ge_i32_e64 s[10:11], v34, v20
	v_cmp_gt_i32_e64 s[12:13], v4, v35
	s_waitcnt lgkmcnt(0)
	; wave barrier
	v_cmp_lt_i16_sdwa s[16:17], sext(v37), sext(v36) src0_sel:BYTE_0 src1_sel:BYTE_0
	s_or_b64 s[10:11], s[10:11], s[16:17]
	s_and_b64 s[10:11], s[12:13], s[10:11]
	v_cndmask_b32_e64 v34, v36, v37, s[10:11]
	ds_write_b8 v0, v34
	v_mov_b32_e32 v34, v23
	s_waitcnt lgkmcnt(0)
	; wave barrier
	s_and_saveexec_b64 s[12:13], s[4:5]
	s_cbranch_execz .LBB40_18
; %bb.15:                               ;   in Loop: Header=BB40_2 Depth=1
	s_mov_b64 s[16:17], 0
	v_mov_b32_e32 v34, v23
	v_mov_b32_e32 v35, v26
.LBB40_16:                              ;   Parent Loop BB40_2 Depth=1
                                        ; =>  This Inner Loop Header: Depth=2
	v_sub_u32_e32 v36, v35, v34
	v_lshrrev_b32_e32 v36, 1, v36
	v_add_u32_e32 v36, v36, v34
	v_add_u32_e32 v37, v5, v36
	v_xad_u32 v38, v36, -1, v25
	ds_read_i8 v37, v37
	ds_read_i8 v38, v38
	v_add_u32_e32 v39, 1, v36
	s_waitcnt lgkmcnt(0)
	v_cmp_lt_i16_e64 s[10:11], v38, v37
	v_cndmask_b32_e64 v35, v35, v36, s[10:11]
	v_cndmask_b32_e64 v34, v39, v34, s[10:11]
	v_cmp_ge_i32_e64 s[10:11], v34, v35
	s_or_b64 s[16:17], s[10:11], s[16:17]
	s_andn2_b64 exec, exec, s[16:17]
	s_cbranch_execnz .LBB40_16
; %bb.17:                               ;   in Loop: Header=BB40_2 Depth=1
	s_or_b64 exec, exec, s[16:17]
.LBB40_18:                              ;   in Loop: Header=BB40_2 Depth=1
	;; [unrolled: 44-line block ×3, first 2 shown]
	s_or_b64 exec, exec, s[12:13]
	v_add_u32_e32 v36, v7, v34
	v_sub_u32_e32 v35, v29, v34
	ds_read_u8 v36, v36
	ds_read_u8 v37, v35
	v_cmp_ge_i32_e64 s[10:11], v34, v28
	v_cmp_gt_i32_e64 s[12:13], v8, v35
	s_waitcnt lgkmcnt(0)
	; wave barrier
	v_cmp_lt_i16_sdwa s[16:17], sext(v37), sext(v36) src0_sel:BYTE_0 src1_sel:BYTE_0
	s_or_b64 s[10:11], s[10:11], s[16:17]
	s_and_b64 s[10:11], s[12:13], s[10:11]
	v_cndmask_b32_e64 v34, v36, v37, s[10:11]
	ds_write_b8 v0, v34
	v_mov_b32_e32 v34, v31
	s_waitcnt lgkmcnt(0)
	; wave barrier
	s_and_saveexec_b64 s[12:13], s[8:9]
	s_cbranch_execz .LBB40_1
; %bb.23:                               ;   in Loop: Header=BB40_2 Depth=1
	s_mov_b64 s[16:17], 0
	v_mov_b32_e32 v34, v31
	v_mov_b32_e32 v35, v32
.LBB40_24:                              ;   Parent Loop BB40_2 Depth=1
                                        ; =>  This Inner Loop Header: Depth=2
	v_sub_u32_e32 v36, v35, v34
	v_lshrrev_b32_e32 v36, 1, v36
	v_add_u32_e32 v36, v36, v34
	v_xad_u32 v37, v36, -1, v33
	ds_read_i8 v38, v36
	ds_read_i8 v37, v37
	v_add_u32_e32 v39, 1, v36
	s_waitcnt lgkmcnt(0)
	v_cmp_lt_i16_e64 s[10:11], v37, v38
	v_cndmask_b32_e64 v35, v35, v36, s[10:11]
	v_cndmask_b32_e64 v34, v39, v34, s[10:11]
	v_cmp_ge_i32_e64 s[10:11], v34, v35
	s_or_b64 s[16:17], s[10:11], s[16:17]
	s_andn2_b64 exec, exec, s[16:17]
	s_cbranch_execnz .LBB40_24
; %bb.25:                               ;   in Loop: Header=BB40_2 Depth=1
	s_or_b64 exec, exec, s[16:17]
	s_branch .LBB40_1
.LBB40_26:
	s_add_u32 s0, s14, s18
	s_addc_u32 s1, s15, 0
	v_mov_b32_e32 v1, s1
	v_add_co_u32_e32 v0, vcc, s0, v0
	v_addc_co_u32_e32 v1, vcc, 0, v1, vcc
	global_store_byte v[0:1], v34, off
	s_endpgm
	.section	.rodata,"a",@progbits
	.p2align	6, 0x0
	.amdhsa_kernel _Z16sort_keys_kernelIaLj64ELj1EN10test_utils4lessELj10EEvPKT_PS2_T2_
		.amdhsa_group_segment_fixed_size 65
		.amdhsa_private_segment_fixed_size 0
		.amdhsa_kernarg_size 20
		.amdhsa_user_sgpr_count 6
		.amdhsa_user_sgpr_private_segment_buffer 1
		.amdhsa_user_sgpr_dispatch_ptr 0
		.amdhsa_user_sgpr_queue_ptr 0
		.amdhsa_user_sgpr_kernarg_segment_ptr 1
		.amdhsa_user_sgpr_dispatch_id 0
		.amdhsa_user_sgpr_flat_scratch_init 0
		.amdhsa_user_sgpr_private_segment_size 0
		.amdhsa_uses_dynamic_stack 0
		.amdhsa_system_sgpr_private_segment_wavefront_offset 0
		.amdhsa_system_sgpr_workgroup_id_x 1
		.amdhsa_system_sgpr_workgroup_id_y 0
		.amdhsa_system_sgpr_workgroup_id_z 0
		.amdhsa_system_sgpr_workgroup_info 0
		.amdhsa_system_vgpr_workitem_id 0
		.amdhsa_next_free_vgpr 40
		.amdhsa_next_free_sgpr 20
		.amdhsa_reserve_vcc 1
		.amdhsa_reserve_flat_scratch 0
		.amdhsa_float_round_mode_32 0
		.amdhsa_float_round_mode_16_64 0
		.amdhsa_float_denorm_mode_32 3
		.amdhsa_float_denorm_mode_16_64 3
		.amdhsa_dx10_clamp 1
		.amdhsa_ieee_mode 1
		.amdhsa_fp16_overflow 0
		.amdhsa_exception_fp_ieee_invalid_op 0
		.amdhsa_exception_fp_denorm_src 0
		.amdhsa_exception_fp_ieee_div_zero 0
		.amdhsa_exception_fp_ieee_overflow 0
		.amdhsa_exception_fp_ieee_underflow 0
		.amdhsa_exception_fp_ieee_inexact 0
		.amdhsa_exception_int_div_zero 0
	.end_amdhsa_kernel
	.section	.text._Z16sort_keys_kernelIaLj64ELj1EN10test_utils4lessELj10EEvPKT_PS2_T2_,"axG",@progbits,_Z16sort_keys_kernelIaLj64ELj1EN10test_utils4lessELj10EEvPKT_PS2_T2_,comdat
.Lfunc_end40:
	.size	_Z16sort_keys_kernelIaLj64ELj1EN10test_utils4lessELj10EEvPKT_PS2_T2_, .Lfunc_end40-_Z16sort_keys_kernelIaLj64ELj1EN10test_utils4lessELj10EEvPKT_PS2_T2_
                                        ; -- End function
	.set _Z16sort_keys_kernelIaLj64ELj1EN10test_utils4lessELj10EEvPKT_PS2_T2_.num_vgpr, 40
	.set _Z16sort_keys_kernelIaLj64ELj1EN10test_utils4lessELj10EEvPKT_PS2_T2_.num_agpr, 0
	.set _Z16sort_keys_kernelIaLj64ELj1EN10test_utils4lessELj10EEvPKT_PS2_T2_.numbered_sgpr, 20
	.set _Z16sort_keys_kernelIaLj64ELj1EN10test_utils4lessELj10EEvPKT_PS2_T2_.num_named_barrier, 0
	.set _Z16sort_keys_kernelIaLj64ELj1EN10test_utils4lessELj10EEvPKT_PS2_T2_.private_seg_size, 0
	.set _Z16sort_keys_kernelIaLj64ELj1EN10test_utils4lessELj10EEvPKT_PS2_T2_.uses_vcc, 1
	.set _Z16sort_keys_kernelIaLj64ELj1EN10test_utils4lessELj10EEvPKT_PS2_T2_.uses_flat_scratch, 0
	.set _Z16sort_keys_kernelIaLj64ELj1EN10test_utils4lessELj10EEvPKT_PS2_T2_.has_dyn_sized_stack, 0
	.set _Z16sort_keys_kernelIaLj64ELj1EN10test_utils4lessELj10EEvPKT_PS2_T2_.has_recursion, 0
	.set _Z16sort_keys_kernelIaLj64ELj1EN10test_utils4lessELj10EEvPKT_PS2_T2_.has_indirect_call, 0
	.section	.AMDGPU.csdata,"",@progbits
; Kernel info:
; codeLenInByte = 1612
; TotalNumSgprs: 24
; NumVgprs: 40
; ScratchSize: 0
; MemoryBound: 0
; FloatMode: 240
; IeeeMode: 1
; LDSByteSize: 65 bytes/workgroup (compile time only)
; SGPRBlocks: 2
; VGPRBlocks: 9
; NumSGPRsForWavesPerEU: 24
; NumVGPRsForWavesPerEU: 40
; Occupancy: 6
; WaveLimiterHint : 0
; COMPUTE_PGM_RSRC2:SCRATCH_EN: 0
; COMPUTE_PGM_RSRC2:USER_SGPR: 6
; COMPUTE_PGM_RSRC2:TRAP_HANDLER: 0
; COMPUTE_PGM_RSRC2:TGID_X_EN: 1
; COMPUTE_PGM_RSRC2:TGID_Y_EN: 0
; COMPUTE_PGM_RSRC2:TGID_Z_EN: 0
; COMPUTE_PGM_RSRC2:TIDIG_COMP_CNT: 0
	.section	.text._Z17sort_pairs_kernelIaLj64ELj1EN10test_utils4lessELj10EEvPKT_PS2_T2_,"axG",@progbits,_Z17sort_pairs_kernelIaLj64ELj1EN10test_utils4lessELj10EEvPKT_PS2_T2_,comdat
	.protected	_Z17sort_pairs_kernelIaLj64ELj1EN10test_utils4lessELj10EEvPKT_PS2_T2_ ; -- Begin function _Z17sort_pairs_kernelIaLj64ELj1EN10test_utils4lessELj10EEvPKT_PS2_T2_
	.globl	_Z17sort_pairs_kernelIaLj64ELj1EN10test_utils4lessELj10EEvPKT_PS2_T2_
	.p2align	8
	.type	_Z17sort_pairs_kernelIaLj64ELj1EN10test_utils4lessELj10EEvPKT_PS2_T2_,@function
_Z17sort_pairs_kernelIaLj64ELj1EN10test_utils4lessELj10EEvPKT_PS2_T2_: ; @_Z17sort_pairs_kernelIaLj64ELj1EN10test_utils4lessELj10EEvPKT_PS2_T2_
; %bb.0:
	s_load_dwordx4 s[12:15], s[4:5], 0x0
	s_lshl_b32 s18, s6, 6
	v_and_b32_e32 v1, 60, v0
	v_and_b32_e32 v2, 56, v0
	;; [unrolled: 1-line block ×3, first 2 shown]
	s_waitcnt lgkmcnt(0)
	s_add_u32 s0, s12, s18
	s_addc_u32 s1, s13, 0
	global_load_ubyte v33, v0, s[0:1]
	v_and_b32_e32 v4, 32, v0
	v_and_b32_e32 v5, 62, v0
	v_or_b32_e32 v8, 2, v1
	v_add_u32_e32 v9, 4, v1
	v_and_b32_e32 v23, 3, v0
	v_or_b32_e32 v10, 4, v2
	v_add_u32_e32 v11, 8, v2
	v_or_b32_e32 v12, 8, v3
	v_add_u32_e32 v13, 16, v3
	;; [unrolled: 2-line block ×3, first 2 shown]
	v_or_b32_e32 v16, 1, v5
	v_sub_u32_e32 v21, v9, v8
	v_and_b32_e32 v25, 7, v0
	v_and_b32_e32 v26, 15, v0
	;; [unrolled: 1-line block ×4, first 2 shown]
	v_sub_u32_e32 v24, v11, v10
	v_sub_u32_e32 v27, v13, v12
	;; [unrolled: 1-line block ×5, first 2 shown]
	v_cmp_ge_i32_e64 s[2:3], v23, v21
	v_add_u32_e32 v17, -1, v22
	v_cmp_lt_i32_e64 s[0:1], 0, v22
	v_add_u32_e32 v18, v16, v22
	v_sub_u32_e32 v29, v8, v1
	v_sub_u32_e32 v30, v10, v2
	;; [unrolled: 1-line block ×4, first 2 shown]
	v_cmp_ge_i32_e64 s[4:5], v25, v24
	v_sub_u32_e32 v37, v26, v27
	v_cmp_ge_i32_e64 s[6:7], v26, v27
	v_min_i32_e32 v22, v22, v28
	v_sub_u32_e32 v27, v14, v4
	v_sub_u32_e32 v38, v31, v32
	v_cndmask_b32_e64 v28, 0, v35, s[2:3]
	v_cmp_ge_i32_e64 s[2:3], v31, v32
	v_sub_u32_e64 v6, v0, 32 clamp
	v_min_i32_e32 v7, 32, v0
	v_cndmask_b32_e64 v17, 0, v17, s[0:1]
	v_add_u32_e32 v19, v8, v23
	v_add_u32_e32 v20, v10, v25
	;; [unrolled: 1-line block ×3, first 2 shown]
	v_min_i32_e32 v23, v23, v29
	v_add_u32_e32 v24, v14, v31
	v_min_i32_e32 v25, v25, v30
	v_min_i32_e32 v26, v26, v34
	;; [unrolled: 1-line block ×3, first 2 shown]
	v_cndmask_b32_e64 v29, 0, v36, s[4:5]
	v_cndmask_b32_e64 v30, 0, v37, s[6:7]
	;; [unrolled: 1-line block ×3, first 2 shown]
	s_mov_b32 s19, 0
	v_cmp_lt_i32_e32 vcc, v6, v7
	v_cmp_lt_i32_e64 s[0:1], v17, v22
	v_cmp_lt_i32_e64 s[2:3], v28, v23
	;; [unrolled: 1-line block ×5, first 2 shown]
	v_add_u32_e32 v32, 32, v0
	s_waitcnt vmcnt(0)
	v_add_u16_e32 v34, 1, v33
	s_branch .LBB41_2
.LBB41_1:                               ;   in Loop: Header=BB41_2 Depth=1
	s_or_b64 exec, exec, s[12:13]
	v_sub_u32_e32 v36, v32, v35
	ds_read_u8 v33, v35
	ds_read_u8 v37, v36
	v_cmp_le_i32_e64 s[10:11], 32, v35
	v_cmp_gt_i32_e64 s[12:13], 64, v36
	s_waitcnt lgkmcnt(0)
	; wave barrier
	v_cmp_lt_i16_sdwa s[16:17], sext(v37), sext(v33) src0_sel:BYTE_0 src1_sel:BYTE_0
	s_or_b64 s[10:11], s[10:11], s[16:17]
	s_and_b64 s[10:11], s[12:13], s[10:11]
	v_cndmask_b32_e64 v35, v35, v36, s[10:11]
	ds_write_b8 v0, v34
	s_waitcnt lgkmcnt(0)
	; wave barrier
	ds_read_u8 v34, v35
	s_add_i32 s19, s19, 1
	v_cndmask_b32_e64 v33, v33, v37, s[10:11]
	s_cmp_eq_u32 s19, 10
	s_cbranch_scc1 .LBB41_26
.LBB41_2:                               ; =>This Loop Header: Depth=1
                                        ;     Child Loop BB41_4 Depth 2
                                        ;     Child Loop BB41_8 Depth 2
	;; [unrolled: 1-line block ×6, first 2 shown]
	; wave barrier
	ds_write_b8 v0, v33
	v_mov_b32_e32 v33, v17
	s_waitcnt lgkmcnt(0)
	; wave barrier
	s_and_saveexec_b64 s[12:13], s[0:1]
	s_cbranch_execz .LBB41_6
; %bb.3:                                ;   in Loop: Header=BB41_2 Depth=1
	s_mov_b64 s[16:17], 0
	v_mov_b32_e32 v33, v17
	v_mov_b32_e32 v35, v22
.LBB41_4:                               ;   Parent Loop BB41_2 Depth=1
                                        ; =>  This Inner Loop Header: Depth=2
	v_sub_u32_e32 v36, v35, v33
	v_lshrrev_b32_e32 v36, 1, v36
	v_add_u32_e32 v36, v36, v33
	v_add_u32_e32 v37, v5, v36
	v_xad_u32 v38, v36, -1, v18
	ds_read_i8 v37, v37
	ds_read_i8 v38, v38
	v_add_u32_e32 v39, 1, v36
	s_waitcnt lgkmcnt(0)
	v_cmp_lt_i16_e64 s[10:11], v38, v37
	v_cndmask_b32_e64 v35, v35, v36, s[10:11]
	v_cndmask_b32_e64 v33, v39, v33, s[10:11]
	v_cmp_ge_i32_e64 s[10:11], v33, v35
	s_or_b64 s[16:17], s[10:11], s[16:17]
	s_andn2_b64 exec, exec, s[16:17]
	s_cbranch_execnz .LBB41_4
; %bb.5:                                ;   in Loop: Header=BB41_2 Depth=1
	s_or_b64 exec, exec, s[16:17]
.LBB41_6:                               ;   in Loop: Header=BB41_2 Depth=1
	s_or_b64 exec, exec, s[12:13]
	v_add_u32_e32 v35, v33, v5
	v_sub_u32_e32 v33, v18, v33
	ds_read_u8 v36, v35
	ds_read_u8 v37, v33
	v_cmp_le_i32_e64 s[12:13], v16, v35
	v_cmp_ge_i32_e64 s[10:11], v16, v33
	s_waitcnt lgkmcnt(0)
	; wave barrier
	v_cmp_lt_i16_sdwa s[16:17], sext(v37), sext(v36) src0_sel:BYTE_0 src1_sel:BYTE_0
	s_or_b64 s[12:13], s[12:13], s[16:17]
	s_and_b64 s[10:11], s[10:11], s[12:13]
	v_cndmask_b32_e64 v33, v35, v33, s[10:11]
	ds_write_b8 v0, v34
	s_waitcnt lgkmcnt(0)
	; wave barrier
	ds_read_u8 v33, v33
	v_cndmask_b32_e64 v36, v36, v37, s[10:11]
	v_mov_b32_e32 v34, v28
	s_waitcnt lgkmcnt(0)
	; wave barrier
	ds_write_b8 v0, v36
	s_waitcnt lgkmcnt(0)
	; wave barrier
	s_and_saveexec_b64 s[12:13], s[2:3]
	s_cbranch_execz .LBB41_10
; %bb.7:                                ;   in Loop: Header=BB41_2 Depth=1
	s_mov_b64 s[16:17], 0
	v_mov_b32_e32 v34, v28
	v_mov_b32_e32 v35, v23
.LBB41_8:                               ;   Parent Loop BB41_2 Depth=1
                                        ; =>  This Inner Loop Header: Depth=2
	v_sub_u32_e32 v36, v35, v34
	v_lshrrev_b32_e32 v36, 1, v36
	v_add_u32_e32 v36, v36, v34
	v_add_u32_e32 v37, v1, v36
	v_xad_u32 v38, v36, -1, v19
	ds_read_i8 v37, v37
	ds_read_i8 v38, v38
	v_add_u32_e32 v39, 1, v36
	s_waitcnt lgkmcnt(0)
	v_cmp_lt_i16_e64 s[10:11], v38, v37
	v_cndmask_b32_e64 v35, v35, v36, s[10:11]
	v_cndmask_b32_e64 v34, v39, v34, s[10:11]
	v_cmp_ge_i32_e64 s[10:11], v34, v35
	s_or_b64 s[16:17], s[10:11], s[16:17]
	s_andn2_b64 exec, exec, s[16:17]
	s_cbranch_execnz .LBB41_8
; %bb.9:                                ;   in Loop: Header=BB41_2 Depth=1
	s_or_b64 exec, exec, s[16:17]
.LBB41_10:                              ;   in Loop: Header=BB41_2 Depth=1
	s_or_b64 exec, exec, s[12:13]
	v_add_u32_e32 v35, v34, v1
	v_sub_u32_e32 v34, v19, v34
	ds_read_u8 v36, v35
	ds_read_u8 v37, v34
	v_cmp_le_i32_e64 s[12:13], v8, v35
	v_cmp_gt_i32_e64 s[10:11], v9, v34
	s_waitcnt lgkmcnt(0)
	; wave barrier
	v_cmp_lt_i16_sdwa s[16:17], sext(v37), sext(v36) src0_sel:BYTE_0 src1_sel:BYTE_0
	s_or_b64 s[12:13], s[12:13], s[16:17]
	s_and_b64 s[10:11], s[10:11], s[12:13]
	v_cndmask_b32_e64 v34, v35, v34, s[10:11]
	ds_write_b8 v0, v33
	s_waitcnt lgkmcnt(0)
	; wave barrier
	ds_read_u8 v33, v34
	v_cndmask_b32_e64 v36, v36, v37, s[10:11]
	v_mov_b32_e32 v34, v29
	s_waitcnt lgkmcnt(0)
	; wave barrier
	ds_write_b8 v0, v36
	s_waitcnt lgkmcnt(0)
	; wave barrier
	s_and_saveexec_b64 s[12:13], s[4:5]
	s_cbranch_execz .LBB41_14
; %bb.11:                               ;   in Loop: Header=BB41_2 Depth=1
	s_mov_b64 s[16:17], 0
	v_mov_b32_e32 v34, v29
	v_mov_b32_e32 v35, v25
.LBB41_12:                              ;   Parent Loop BB41_2 Depth=1
                                        ; =>  This Inner Loop Header: Depth=2
	v_sub_u32_e32 v36, v35, v34
	v_lshrrev_b32_e32 v36, 1, v36
	v_add_u32_e32 v36, v36, v34
	v_add_u32_e32 v37, v2, v36
	v_xad_u32 v38, v36, -1, v20
	ds_read_i8 v37, v37
	ds_read_i8 v38, v38
	v_add_u32_e32 v39, 1, v36
	s_waitcnt lgkmcnt(0)
	v_cmp_lt_i16_e64 s[10:11], v38, v37
	v_cndmask_b32_e64 v35, v35, v36, s[10:11]
	v_cndmask_b32_e64 v34, v39, v34, s[10:11]
	v_cmp_ge_i32_e64 s[10:11], v34, v35
	s_or_b64 s[16:17], s[10:11], s[16:17]
	s_andn2_b64 exec, exec, s[16:17]
	s_cbranch_execnz .LBB41_12
; %bb.13:                               ;   in Loop: Header=BB41_2 Depth=1
	s_or_b64 exec, exec, s[16:17]
.LBB41_14:                              ;   in Loop: Header=BB41_2 Depth=1
	s_or_b64 exec, exec, s[12:13]
	v_add_u32_e32 v35, v34, v2
	v_sub_u32_e32 v34, v20, v34
	ds_read_u8 v36, v35
	ds_read_u8 v37, v34
	v_cmp_le_i32_e64 s[12:13], v10, v35
	v_cmp_gt_i32_e64 s[10:11], v11, v34
	s_waitcnt lgkmcnt(0)
	; wave barrier
	v_cmp_lt_i16_sdwa s[16:17], sext(v37), sext(v36) src0_sel:BYTE_0 src1_sel:BYTE_0
	s_or_b64 s[12:13], s[12:13], s[16:17]
	s_and_b64 s[10:11], s[10:11], s[12:13]
	v_cndmask_b32_e64 v34, v35, v34, s[10:11]
	ds_write_b8 v0, v33
	s_waitcnt lgkmcnt(0)
	; wave barrier
	ds_read_u8 v33, v34
	v_cndmask_b32_e64 v36, v36, v37, s[10:11]
	v_mov_b32_e32 v34, v30
	s_waitcnt lgkmcnt(0)
	; wave barrier
	ds_write_b8 v0, v36
	s_waitcnt lgkmcnt(0)
	; wave barrier
	s_and_saveexec_b64 s[12:13], s[6:7]
	s_cbranch_execz .LBB41_18
; %bb.15:                               ;   in Loop: Header=BB41_2 Depth=1
	s_mov_b64 s[16:17], 0
	v_mov_b32_e32 v34, v30
	v_mov_b32_e32 v35, v26
.LBB41_16:                              ;   Parent Loop BB41_2 Depth=1
                                        ; =>  This Inner Loop Header: Depth=2
	v_sub_u32_e32 v36, v35, v34
	v_lshrrev_b32_e32 v36, 1, v36
	v_add_u32_e32 v36, v36, v34
	v_add_u32_e32 v37, v3, v36
	v_xad_u32 v38, v36, -1, v21
	ds_read_i8 v37, v37
	ds_read_i8 v38, v38
	v_add_u32_e32 v39, 1, v36
	s_waitcnt lgkmcnt(0)
	v_cmp_lt_i16_e64 s[10:11], v38, v37
	v_cndmask_b32_e64 v35, v35, v36, s[10:11]
	v_cndmask_b32_e64 v34, v39, v34, s[10:11]
	v_cmp_ge_i32_e64 s[10:11], v34, v35
	s_or_b64 s[16:17], s[10:11], s[16:17]
	s_andn2_b64 exec, exec, s[16:17]
	s_cbranch_execnz .LBB41_16
; %bb.17:                               ;   in Loop: Header=BB41_2 Depth=1
	s_or_b64 exec, exec, s[16:17]
.LBB41_18:                              ;   in Loop: Header=BB41_2 Depth=1
	;; [unrolled: 51-line block ×3, first 2 shown]
	s_or_b64 exec, exec, s[12:13]
	v_add_u32_e32 v35, v34, v4
	v_sub_u32_e32 v34, v24, v34
	ds_read_u8 v36, v35
	ds_read_u8 v37, v34
	v_cmp_le_i32_e64 s[12:13], v14, v35
	v_cmp_gt_i32_e64 s[10:11], v15, v34
	s_waitcnt lgkmcnt(0)
	; wave barrier
	v_cmp_lt_i16_sdwa s[16:17], sext(v37), sext(v36) src0_sel:BYTE_0 src1_sel:BYTE_0
	s_or_b64 s[12:13], s[12:13], s[16:17]
	s_and_b64 s[10:11], s[10:11], s[12:13]
	v_cndmask_b32_e64 v34, v35, v34, s[10:11]
	ds_write_b8 v0, v33
	s_waitcnt lgkmcnt(0)
	; wave barrier
	ds_read_u8 v34, v34
	v_cndmask_b32_e64 v36, v36, v37, s[10:11]
	v_mov_b32_e32 v35, v6
	s_waitcnt lgkmcnt(0)
	; wave barrier
	ds_write_b8 v0, v36
	s_waitcnt lgkmcnt(0)
	; wave barrier
	s_and_saveexec_b64 s[12:13], vcc
	s_cbranch_execz .LBB41_1
; %bb.23:                               ;   in Loop: Header=BB41_2 Depth=1
	s_mov_b64 s[16:17], 0
	v_mov_b32_e32 v35, v6
	v_mov_b32_e32 v33, v7
.LBB41_24:                              ;   Parent Loop BB41_2 Depth=1
                                        ; =>  This Inner Loop Header: Depth=2
	v_sub_u32_e32 v36, v33, v35
	v_lshrrev_b32_e32 v36, 1, v36
	v_add_u32_e32 v36, v36, v35
	v_xad_u32 v37, v36, -1, v32
	ds_read_i8 v38, v36
	ds_read_i8 v37, v37
	v_add_u32_e32 v39, 1, v36
	s_waitcnt lgkmcnt(0)
	v_cmp_lt_i16_e64 s[10:11], v37, v38
	v_cndmask_b32_e64 v33, v33, v36, s[10:11]
	v_cndmask_b32_e64 v35, v39, v35, s[10:11]
	v_cmp_ge_i32_e64 s[10:11], v35, v33
	s_or_b64 s[16:17], s[10:11], s[16:17]
	s_andn2_b64 exec, exec, s[16:17]
	s_cbranch_execnz .LBB41_24
; %bb.25:                               ;   in Loop: Header=BB41_2 Depth=1
	s_or_b64 exec, exec, s[16:17]
	s_branch .LBB41_1
.LBB41_26:
	s_add_u32 s0, s14, s18
	s_addc_u32 s1, s15, 0
	v_mov_b32_e32 v1, s1
	v_add_co_u32_e32 v0, vcc, s0, v0
	s_waitcnt lgkmcnt(0)
	v_add_u16_e32 v2, v33, v34
	v_addc_co_u32_e32 v1, vcc, 0, v1, vcc
	global_store_byte v[0:1], v2, off
	s_endpgm
	.section	.rodata,"a",@progbits
	.p2align	6, 0x0
	.amdhsa_kernel _Z17sort_pairs_kernelIaLj64ELj1EN10test_utils4lessELj10EEvPKT_PS2_T2_
		.amdhsa_group_segment_fixed_size 65
		.amdhsa_private_segment_fixed_size 0
		.amdhsa_kernarg_size 20
		.amdhsa_user_sgpr_count 6
		.amdhsa_user_sgpr_private_segment_buffer 1
		.amdhsa_user_sgpr_dispatch_ptr 0
		.amdhsa_user_sgpr_queue_ptr 0
		.amdhsa_user_sgpr_kernarg_segment_ptr 1
		.amdhsa_user_sgpr_dispatch_id 0
		.amdhsa_user_sgpr_flat_scratch_init 0
		.amdhsa_user_sgpr_private_segment_size 0
		.amdhsa_uses_dynamic_stack 0
		.amdhsa_system_sgpr_private_segment_wavefront_offset 0
		.amdhsa_system_sgpr_workgroup_id_x 1
		.amdhsa_system_sgpr_workgroup_id_y 0
		.amdhsa_system_sgpr_workgroup_id_z 0
		.amdhsa_system_sgpr_workgroup_info 0
		.amdhsa_system_vgpr_workitem_id 0
		.amdhsa_next_free_vgpr 40
		.amdhsa_next_free_sgpr 20
		.amdhsa_reserve_vcc 1
		.amdhsa_reserve_flat_scratch 0
		.amdhsa_float_round_mode_32 0
		.amdhsa_float_round_mode_16_64 0
		.amdhsa_float_denorm_mode_32 3
		.amdhsa_float_denorm_mode_16_64 3
		.amdhsa_dx10_clamp 1
		.amdhsa_ieee_mode 1
		.amdhsa_fp16_overflow 0
		.amdhsa_exception_fp_ieee_invalid_op 0
		.amdhsa_exception_fp_denorm_src 0
		.amdhsa_exception_fp_ieee_div_zero 0
		.amdhsa_exception_fp_ieee_overflow 0
		.amdhsa_exception_fp_ieee_underflow 0
		.amdhsa_exception_fp_ieee_inexact 0
		.amdhsa_exception_int_div_zero 0
	.end_amdhsa_kernel
	.section	.text._Z17sort_pairs_kernelIaLj64ELj1EN10test_utils4lessELj10EEvPKT_PS2_T2_,"axG",@progbits,_Z17sort_pairs_kernelIaLj64ELj1EN10test_utils4lessELj10EEvPKT_PS2_T2_,comdat
.Lfunc_end41:
	.size	_Z17sort_pairs_kernelIaLj64ELj1EN10test_utils4lessELj10EEvPKT_PS2_T2_, .Lfunc_end41-_Z17sort_pairs_kernelIaLj64ELj1EN10test_utils4lessELj10EEvPKT_PS2_T2_
                                        ; -- End function
	.set _Z17sort_pairs_kernelIaLj64ELj1EN10test_utils4lessELj10EEvPKT_PS2_T2_.num_vgpr, 40
	.set _Z17sort_pairs_kernelIaLj64ELj1EN10test_utils4lessELj10EEvPKT_PS2_T2_.num_agpr, 0
	.set _Z17sort_pairs_kernelIaLj64ELj1EN10test_utils4lessELj10EEvPKT_PS2_T2_.numbered_sgpr, 20
	.set _Z17sort_pairs_kernelIaLj64ELj1EN10test_utils4lessELj10EEvPKT_PS2_T2_.num_named_barrier, 0
	.set _Z17sort_pairs_kernelIaLj64ELj1EN10test_utils4lessELj10EEvPKT_PS2_T2_.private_seg_size, 0
	.set _Z17sort_pairs_kernelIaLj64ELj1EN10test_utils4lessELj10EEvPKT_PS2_T2_.uses_vcc, 1
	.set _Z17sort_pairs_kernelIaLj64ELj1EN10test_utils4lessELj10EEvPKT_PS2_T2_.uses_flat_scratch, 0
	.set _Z17sort_pairs_kernelIaLj64ELj1EN10test_utils4lessELj10EEvPKT_PS2_T2_.has_dyn_sized_stack, 0
	.set _Z17sort_pairs_kernelIaLj64ELj1EN10test_utils4lessELj10EEvPKT_PS2_T2_.has_recursion, 0
	.set _Z17sort_pairs_kernelIaLj64ELj1EN10test_utils4lessELj10EEvPKT_PS2_T2_.has_indirect_call, 0
	.section	.AMDGPU.csdata,"",@progbits
; Kernel info:
; codeLenInByte = 1820
; TotalNumSgprs: 24
; NumVgprs: 40
; ScratchSize: 0
; MemoryBound: 0
; FloatMode: 240
; IeeeMode: 1
; LDSByteSize: 65 bytes/workgroup (compile time only)
; SGPRBlocks: 2
; VGPRBlocks: 9
; NumSGPRsForWavesPerEU: 24
; NumVGPRsForWavesPerEU: 40
; Occupancy: 6
; WaveLimiterHint : 0
; COMPUTE_PGM_RSRC2:SCRATCH_EN: 0
; COMPUTE_PGM_RSRC2:USER_SGPR: 6
; COMPUTE_PGM_RSRC2:TRAP_HANDLER: 0
; COMPUTE_PGM_RSRC2:TGID_X_EN: 1
; COMPUTE_PGM_RSRC2:TGID_Y_EN: 0
; COMPUTE_PGM_RSRC2:TGID_Z_EN: 0
; COMPUTE_PGM_RSRC2:TIDIG_COMP_CNT: 0
	.section	.text._Z16sort_keys_kernelIaLj64ELj2EN10test_utils4lessELj10EEvPKT_PS2_T2_,"axG",@progbits,_Z16sort_keys_kernelIaLj64ELj2EN10test_utils4lessELj10EEvPKT_PS2_T2_,comdat
	.protected	_Z16sort_keys_kernelIaLj64ELj2EN10test_utils4lessELj10EEvPKT_PS2_T2_ ; -- Begin function _Z16sort_keys_kernelIaLj64ELj2EN10test_utils4lessELj10EEvPKT_PS2_T2_
	.globl	_Z16sort_keys_kernelIaLj64ELj2EN10test_utils4lessELj10EEvPKT_PS2_T2_
	.p2align	8
	.type	_Z16sort_keys_kernelIaLj64ELj2EN10test_utils4lessELj10EEvPKT_PS2_T2_,@function
_Z16sort_keys_kernelIaLj64ELj2EN10test_utils4lessELj10EEvPKT_PS2_T2_: ; @_Z16sort_keys_kernelIaLj64ELj2EN10test_utils4lessELj10EEvPKT_PS2_T2_
; %bb.0:
	s_load_dwordx4 s[16:19], s[4:5], 0x0
	s_lshl_b32 s20, s6, 7
	v_lshlrev_b32_e32 v1, 1, v0
	v_and_b32_e32 v2, 0x7c, v1
	v_and_b32_e32 v5, 0x78, v1
	s_waitcnt lgkmcnt(0)
	s_add_u32 s0, s16, s20
	s_addc_u32 s1, s17, 0
	global_load_ubyte v36, v0, s[0:1] offset:64
	global_load_ubyte v35, v0, s[0:1]
	v_and_b32_e32 v8, 0x70, v1
	v_and_b32_e32 v11, 0x60, v1
	;; [unrolled: 1-line block ×3, first 2 shown]
	v_or_b32_e32 v3, 2, v2
	v_add_u32_e32 v4, 4, v2
	v_or_b32_e32 v6, 4, v5
	v_add_u32_e32 v7, 8, v5
	;; [unrolled: 2-line block ×5, first 2 shown]
	v_and_b32_e32 v19, 2, v1
	v_sub_u32_e32 v17, v4, v3
	v_and_b32_e32 v22, 6, v1
	v_sub_u32_e32 v20, v7, v6
	;; [unrolled: 2-line block ×5, first 2 shown]
	v_sub_u32_e32 v18, v19, v17
	v_sub_u32_e32 v21, v22, v20
	;; [unrolled: 1-line block ×5, first 2 shown]
	v_cmp_ge_i32_e32 vcc, v19, v17
	v_cmp_ge_i32_e64 s[0:1], v22, v20
	v_cmp_ge_i32_e64 s[2:3], v25, v23
	;; [unrolled: 1-line block ×4, first 2 shown]
	v_cndmask_b32_e32 v17, 0, v18, vcc
	v_sub_u32_e32 v18, v3, v2
	v_cndmask_b32_e64 v20, 0, v21, s[0:1]
	v_sub_u32_e32 v21, v6, v5
	v_cndmask_b32_e64 v23, 0, v24, s[2:3]
	;; [unrolled: 2-line block ×4, first 2 shown]
	v_sub_u32_e32 v30, v15, v14
	v_min_i32_e32 v18, v19, v18
	v_min_i32_e32 v21, v22, v21
	;; [unrolled: 1-line block ×5, first 2 shown]
	v_sub_u32_e64 v32, v1, 64 clamp
	v_min_i32_e32 v33, 64, v1
	s_mov_b32 s16, 0
	v_cmp_lt_i32_e32 vcc, v17, v18
	v_add_u32_e32 v19, v3, v19
	v_cmp_lt_i32_e64 s[0:1], v20, v21
	v_add_u32_e32 v22, v6, v22
	v_cmp_lt_i32_e64 s[2:3], v23, v24
	;; [unrolled: 2-line block ×5, first 2 shown]
	s_mov_b32 s17, 0xc0c0004
	s_movk_i32 s21, 0x80
	v_add_u32_e32 v34, 64, v1
	s_branch .LBB42_2
.LBB42_1:                               ;   in Loop: Header=BB42_2 Depth=1
	s_or_b64 exec, exec, s[12:13]
	v_cmp_le_i32_e64 s[12:13], 64, v40
	s_waitcnt lgkmcnt(0)
	v_cmp_lt_i16_sdwa s[14:15], sext(v41), sext(v39) src0_sel:BYTE_0 src1_sel:BYTE_0
	v_cndmask_b32_e64 v35, v37, v38, s[10:11]
	v_cmp_gt_i32_e64 s[10:11], s21, v36
	s_or_b64 s[12:13], s[12:13], s[14:15]
	s_and_b64 s[10:11], s[10:11], s[12:13]
	s_add_i32 s16, s16, 1
	s_cmp_eq_u32 s16, 10
	v_cndmask_b32_e64 v36, v39, v41, s[10:11]
	s_cbranch_scc1 .LBB42_50
.LBB42_2:                               ; =>This Loop Header: Depth=1
                                        ;     Child Loop BB42_4 Depth 2
                                        ;     Child Loop BB42_12 Depth 2
	;; [unrolled: 1-line block ×6, first 2 shown]
	s_waitcnt vmcnt(0)
	v_perm_b32 v37, v36, v35, s17
	v_perm_b32 v38, v35, v36, s17
	v_cmp_lt_i16_sdwa s[10:11], sext(v36), sext(v35) src0_sel:BYTE_0 src1_sel:BYTE_0
	v_cndmask_b32_e64 v35, v38, v37, s[10:11]
	; wave barrier
	ds_write_b8 v1, v35
	v_lshrrev_b16_e32 v35, 8, v35
	v_mov_b32_e32 v36, v17
	ds_write_b8 v1, v35 offset:1
	s_waitcnt lgkmcnt(0)
	; wave barrier
	s_and_saveexec_b64 s[12:13], vcc
	s_cbranch_execz .LBB42_6
; %bb.3:                                ;   in Loop: Header=BB42_2 Depth=1
	s_mov_b64 s[14:15], 0
	v_mov_b32_e32 v36, v17
	v_mov_b32_e32 v35, v18
.LBB42_4:                               ;   Parent Loop BB42_2 Depth=1
                                        ; =>  This Inner Loop Header: Depth=2
	v_sub_u32_e32 v37, v35, v36
	v_lshrrev_b32_e32 v37, 1, v37
	v_add_u32_e32 v37, v37, v36
	v_add_u32_e32 v38, v2, v37
	v_xad_u32 v39, v37, -1, v19
	ds_read_i8 v38, v38
	ds_read_i8 v39, v39
	v_add_u32_e32 v40, 1, v37
	s_waitcnt lgkmcnt(0)
	v_cmp_lt_i16_e64 s[10:11], v39, v38
	v_cndmask_b32_e64 v35, v35, v37, s[10:11]
	v_cndmask_b32_e64 v36, v40, v36, s[10:11]
	v_cmp_ge_i32_e64 s[10:11], v36, v35
	s_or_b64 s[14:15], s[10:11], s[14:15]
	s_andn2_b64 exec, exec, s[14:15]
	s_cbranch_execnz .LBB42_4
; %bb.5:                                ;   in Loop: Header=BB42_2 Depth=1
	s_or_b64 exec, exec, s[14:15]
.LBB42_6:                               ;   in Loop: Header=BB42_2 Depth=1
	s_or_b64 exec, exec, s[12:13]
	v_add_u32_e32 v35, v36, v2
	v_sub_u32_e32 v36, v19, v36
	ds_read_u8 v37, v35
	ds_read_u8 v38, v36
	v_cmp_le_i32_e64 s[12:13], v3, v35
	v_cmp_gt_i32_e64 s[10:11], v4, v36
	s_waitcnt lgkmcnt(1)
	v_bfe_i32 v37, v37, 0, 8
	s_waitcnt lgkmcnt(0)
	v_bfe_i32 v39, v38, 0, 8
	v_cmp_lt_i16_e64 s[14:15], v39, v37
	s_or_b64 s[12:13], s[12:13], s[14:15]
	s_and_b64 s[10:11], s[10:11], s[12:13]
	s_xor_b64 s[12:13], s[10:11], -1
                                        ; implicit-def: $vgpr38
	s_and_saveexec_b64 s[14:15], s[12:13]
	s_xor_b64 s[12:13], exec, s[14:15]
; %bb.7:                                ;   in Loop: Header=BB42_2 Depth=1
	ds_read_u8 v38, v35 offset:1
; %bb.8:                                ;   in Loop: Header=BB42_2 Depth=1
	s_or_saveexec_b64 s[12:13], s[12:13]
	v_mov_b32_e32 v40, v39
	s_xor_b64 exec, exec, s[12:13]
	s_cbranch_execz .LBB42_10
; %bb.9:                                ;   in Loop: Header=BB42_2 Depth=1
	ds_read_u8 v40, v36 offset:1
	s_waitcnt lgkmcnt(1)
	v_mov_b32_e32 v38, v37
.LBB42_10:                              ;   in Loop: Header=BB42_2 Depth=1
	s_or_b64 exec, exec, s[12:13]
	v_add_u32_e32 v41, 1, v35
	v_cndmask_b32_e64 v37, v37, v39, s[10:11]
	v_add_u32_e32 v39, 1, v36
	v_cndmask_b32_e64 v35, v41, v35, s[10:11]
	v_cndmask_b32_e64 v36, v36, v39, s[10:11]
	v_cmp_ge_i32_e64 s[12:13], v35, v3
	s_waitcnt lgkmcnt(0)
	v_cmp_lt_i16_sdwa s[14:15], sext(v40), sext(v38) src0_sel:BYTE_0 src1_sel:BYTE_0
	v_cmp_lt_i32_e64 s[10:11], v36, v4
	s_or_b64 s[12:13], s[12:13], s[14:15]
	s_and_b64 s[10:11], s[10:11], s[12:13]
	v_mov_b32_e32 v36, v20
	v_cndmask_b32_e64 v35, v38, v40, s[10:11]
	; wave barrier
	ds_write_b8 v1, v37
	ds_write_b8 v1, v35 offset:1
	s_waitcnt lgkmcnt(0)
	; wave barrier
	s_and_saveexec_b64 s[12:13], s[0:1]
	s_cbranch_execz .LBB42_14
; %bb.11:                               ;   in Loop: Header=BB42_2 Depth=1
	s_mov_b64 s[14:15], 0
	v_mov_b32_e32 v36, v20
	v_mov_b32_e32 v35, v21
.LBB42_12:                              ;   Parent Loop BB42_2 Depth=1
                                        ; =>  This Inner Loop Header: Depth=2
	v_sub_u32_e32 v37, v35, v36
	v_lshrrev_b32_e32 v37, 1, v37
	v_add_u32_e32 v37, v37, v36
	v_add_u32_e32 v38, v5, v37
	v_xad_u32 v39, v37, -1, v22
	ds_read_i8 v38, v38
	ds_read_i8 v39, v39
	v_add_u32_e32 v40, 1, v37
	s_waitcnt lgkmcnt(0)
	v_cmp_lt_i16_e64 s[10:11], v39, v38
	v_cndmask_b32_e64 v35, v35, v37, s[10:11]
	v_cndmask_b32_e64 v36, v40, v36, s[10:11]
	v_cmp_ge_i32_e64 s[10:11], v36, v35
	s_or_b64 s[14:15], s[10:11], s[14:15]
	s_andn2_b64 exec, exec, s[14:15]
	s_cbranch_execnz .LBB42_12
; %bb.13:                               ;   in Loop: Header=BB42_2 Depth=1
	s_or_b64 exec, exec, s[14:15]
.LBB42_14:                              ;   in Loop: Header=BB42_2 Depth=1
	s_or_b64 exec, exec, s[12:13]
	v_add_u32_e32 v35, v36, v5
	v_sub_u32_e32 v36, v22, v36
	ds_read_u8 v37, v35
	ds_read_u8 v38, v36
	v_cmp_le_i32_e64 s[12:13], v6, v35
	v_cmp_gt_i32_e64 s[10:11], v7, v36
	s_waitcnt lgkmcnt(1)
	v_bfe_i32 v37, v37, 0, 8
	s_waitcnt lgkmcnt(0)
	v_bfe_i32 v39, v38, 0, 8
	v_cmp_lt_i16_e64 s[14:15], v39, v37
	s_or_b64 s[12:13], s[12:13], s[14:15]
	s_and_b64 s[10:11], s[10:11], s[12:13]
	s_xor_b64 s[12:13], s[10:11], -1
                                        ; implicit-def: $vgpr38
	s_and_saveexec_b64 s[14:15], s[12:13]
	s_xor_b64 s[12:13], exec, s[14:15]
; %bb.15:                               ;   in Loop: Header=BB42_2 Depth=1
	ds_read_u8 v38, v35 offset:1
; %bb.16:                               ;   in Loop: Header=BB42_2 Depth=1
	s_or_saveexec_b64 s[12:13], s[12:13]
	v_mov_b32_e32 v40, v39
	s_xor_b64 exec, exec, s[12:13]
	s_cbranch_execz .LBB42_18
; %bb.17:                               ;   in Loop: Header=BB42_2 Depth=1
	ds_read_u8 v40, v36 offset:1
	s_waitcnt lgkmcnt(1)
	v_mov_b32_e32 v38, v37
.LBB42_18:                              ;   in Loop: Header=BB42_2 Depth=1
	s_or_b64 exec, exec, s[12:13]
	v_add_u32_e32 v41, 1, v35
	v_cndmask_b32_e64 v37, v37, v39, s[10:11]
	v_add_u32_e32 v39, 1, v36
	v_cndmask_b32_e64 v35, v41, v35, s[10:11]
	v_cndmask_b32_e64 v36, v36, v39, s[10:11]
	v_cmp_ge_i32_e64 s[12:13], v35, v6
	s_waitcnt lgkmcnt(0)
	v_cmp_lt_i16_sdwa s[14:15], sext(v40), sext(v38) src0_sel:BYTE_0 src1_sel:BYTE_0
	v_cmp_lt_i32_e64 s[10:11], v36, v7
	s_or_b64 s[12:13], s[12:13], s[14:15]
	s_and_b64 s[10:11], s[10:11], s[12:13]
	v_mov_b32_e32 v36, v23
	v_cndmask_b32_e64 v35, v38, v40, s[10:11]
	; wave barrier
	ds_write_b8 v1, v37
	ds_write_b8 v1, v35 offset:1
	s_waitcnt lgkmcnt(0)
	; wave barrier
	s_and_saveexec_b64 s[12:13], s[2:3]
	s_cbranch_execz .LBB42_22
; %bb.19:                               ;   in Loop: Header=BB42_2 Depth=1
	s_mov_b64 s[14:15], 0
	v_mov_b32_e32 v36, v23
	v_mov_b32_e32 v35, v24
.LBB42_20:                              ;   Parent Loop BB42_2 Depth=1
                                        ; =>  This Inner Loop Header: Depth=2
	v_sub_u32_e32 v37, v35, v36
	v_lshrrev_b32_e32 v37, 1, v37
	v_add_u32_e32 v37, v37, v36
	v_add_u32_e32 v38, v8, v37
	v_xad_u32 v39, v37, -1, v25
	ds_read_i8 v38, v38
	ds_read_i8 v39, v39
	v_add_u32_e32 v40, 1, v37
	s_waitcnt lgkmcnt(0)
	v_cmp_lt_i16_e64 s[10:11], v39, v38
	v_cndmask_b32_e64 v35, v35, v37, s[10:11]
	v_cndmask_b32_e64 v36, v40, v36, s[10:11]
	v_cmp_ge_i32_e64 s[10:11], v36, v35
	s_or_b64 s[14:15], s[10:11], s[14:15]
	s_andn2_b64 exec, exec, s[14:15]
	s_cbranch_execnz .LBB42_20
; %bb.21:                               ;   in Loop: Header=BB42_2 Depth=1
	s_or_b64 exec, exec, s[14:15]
.LBB42_22:                              ;   in Loop: Header=BB42_2 Depth=1
	s_or_b64 exec, exec, s[12:13]
	v_add_u32_e32 v35, v36, v8
	v_sub_u32_e32 v36, v25, v36
	ds_read_u8 v37, v35
	ds_read_u8 v38, v36
	v_cmp_le_i32_e64 s[12:13], v9, v35
	v_cmp_gt_i32_e64 s[10:11], v10, v36
	s_waitcnt lgkmcnt(1)
	v_bfe_i32 v37, v37, 0, 8
	s_waitcnt lgkmcnt(0)
	v_bfe_i32 v39, v38, 0, 8
	v_cmp_lt_i16_e64 s[14:15], v39, v37
	s_or_b64 s[12:13], s[12:13], s[14:15]
	s_and_b64 s[10:11], s[10:11], s[12:13]
	s_xor_b64 s[12:13], s[10:11], -1
                                        ; implicit-def: $vgpr38
	s_and_saveexec_b64 s[14:15], s[12:13]
	s_xor_b64 s[12:13], exec, s[14:15]
; %bb.23:                               ;   in Loop: Header=BB42_2 Depth=1
	ds_read_u8 v38, v35 offset:1
; %bb.24:                               ;   in Loop: Header=BB42_2 Depth=1
	s_or_saveexec_b64 s[12:13], s[12:13]
	v_mov_b32_e32 v40, v39
	s_xor_b64 exec, exec, s[12:13]
	s_cbranch_execz .LBB42_26
; %bb.25:                               ;   in Loop: Header=BB42_2 Depth=1
	ds_read_u8 v40, v36 offset:1
	s_waitcnt lgkmcnt(1)
	v_mov_b32_e32 v38, v37
.LBB42_26:                              ;   in Loop: Header=BB42_2 Depth=1
	s_or_b64 exec, exec, s[12:13]
	v_add_u32_e32 v41, 1, v35
	v_cndmask_b32_e64 v37, v37, v39, s[10:11]
	v_add_u32_e32 v39, 1, v36
	v_cndmask_b32_e64 v35, v41, v35, s[10:11]
	v_cndmask_b32_e64 v36, v36, v39, s[10:11]
	v_cmp_ge_i32_e64 s[12:13], v35, v9
	s_waitcnt lgkmcnt(0)
	v_cmp_lt_i16_sdwa s[14:15], sext(v40), sext(v38) src0_sel:BYTE_0 src1_sel:BYTE_0
	v_cmp_lt_i32_e64 s[10:11], v36, v10
	s_or_b64 s[12:13], s[12:13], s[14:15]
	s_and_b64 s[10:11], s[10:11], s[12:13]
	v_mov_b32_e32 v36, v26
	v_cndmask_b32_e64 v35, v38, v40, s[10:11]
	; wave barrier
	ds_write_b8 v1, v37
	ds_write_b8 v1, v35 offset:1
	s_waitcnt lgkmcnt(0)
	; wave barrier
	s_and_saveexec_b64 s[12:13], s[4:5]
	s_cbranch_execz .LBB42_30
; %bb.27:                               ;   in Loop: Header=BB42_2 Depth=1
	s_mov_b64 s[14:15], 0
	v_mov_b32_e32 v36, v26
	v_mov_b32_e32 v35, v27
.LBB42_28:                              ;   Parent Loop BB42_2 Depth=1
                                        ; =>  This Inner Loop Header: Depth=2
	v_sub_u32_e32 v37, v35, v36
	v_lshrrev_b32_e32 v37, 1, v37
	v_add_u32_e32 v37, v37, v36
	v_add_u32_e32 v38, v11, v37
	v_xad_u32 v39, v37, -1, v28
	ds_read_i8 v38, v38
	ds_read_i8 v39, v39
	v_add_u32_e32 v40, 1, v37
	s_waitcnt lgkmcnt(0)
	v_cmp_lt_i16_e64 s[10:11], v39, v38
	v_cndmask_b32_e64 v35, v35, v37, s[10:11]
	v_cndmask_b32_e64 v36, v40, v36, s[10:11]
	v_cmp_ge_i32_e64 s[10:11], v36, v35
	s_or_b64 s[14:15], s[10:11], s[14:15]
	s_andn2_b64 exec, exec, s[14:15]
	s_cbranch_execnz .LBB42_28
; %bb.29:                               ;   in Loop: Header=BB42_2 Depth=1
	s_or_b64 exec, exec, s[14:15]
.LBB42_30:                              ;   in Loop: Header=BB42_2 Depth=1
	s_or_b64 exec, exec, s[12:13]
	v_add_u32_e32 v35, v36, v11
	v_sub_u32_e32 v36, v28, v36
	ds_read_u8 v37, v35
	ds_read_u8 v38, v36
	v_cmp_le_i32_e64 s[12:13], v12, v35
	v_cmp_gt_i32_e64 s[10:11], v13, v36
	s_waitcnt lgkmcnt(1)
	v_bfe_i32 v37, v37, 0, 8
	s_waitcnt lgkmcnt(0)
	v_bfe_i32 v39, v38, 0, 8
	v_cmp_lt_i16_e64 s[14:15], v39, v37
	s_or_b64 s[12:13], s[12:13], s[14:15]
	s_and_b64 s[10:11], s[10:11], s[12:13]
	s_xor_b64 s[12:13], s[10:11], -1
                                        ; implicit-def: $vgpr38
	s_and_saveexec_b64 s[14:15], s[12:13]
	s_xor_b64 s[12:13], exec, s[14:15]
; %bb.31:                               ;   in Loop: Header=BB42_2 Depth=1
	ds_read_u8 v38, v35 offset:1
; %bb.32:                               ;   in Loop: Header=BB42_2 Depth=1
	s_or_saveexec_b64 s[12:13], s[12:13]
	v_mov_b32_e32 v40, v39
	s_xor_b64 exec, exec, s[12:13]
	s_cbranch_execz .LBB42_34
; %bb.33:                               ;   in Loop: Header=BB42_2 Depth=1
	ds_read_u8 v40, v36 offset:1
	s_waitcnt lgkmcnt(1)
	v_mov_b32_e32 v38, v37
.LBB42_34:                              ;   in Loop: Header=BB42_2 Depth=1
	s_or_b64 exec, exec, s[12:13]
	v_add_u32_e32 v41, 1, v35
	v_cndmask_b32_e64 v37, v37, v39, s[10:11]
	v_add_u32_e32 v39, 1, v36
	v_cndmask_b32_e64 v35, v41, v35, s[10:11]
	v_cndmask_b32_e64 v36, v36, v39, s[10:11]
	v_cmp_ge_i32_e64 s[12:13], v35, v12
	s_waitcnt lgkmcnt(0)
	v_cmp_lt_i16_sdwa s[14:15], sext(v40), sext(v38) src0_sel:BYTE_0 src1_sel:BYTE_0
	v_cmp_lt_i32_e64 s[10:11], v36, v13
	s_or_b64 s[12:13], s[12:13], s[14:15]
	s_and_b64 s[10:11], s[10:11], s[12:13]
	v_mov_b32_e32 v36, v29
	v_cndmask_b32_e64 v35, v38, v40, s[10:11]
	; wave barrier
	ds_write_b8 v1, v37
	ds_write_b8 v1, v35 offset:1
	s_waitcnt lgkmcnt(0)
	; wave barrier
	s_and_saveexec_b64 s[12:13], s[6:7]
	s_cbranch_execz .LBB42_38
; %bb.35:                               ;   in Loop: Header=BB42_2 Depth=1
	s_mov_b64 s[14:15], 0
	v_mov_b32_e32 v36, v29
	v_mov_b32_e32 v35, v30
.LBB42_36:                              ;   Parent Loop BB42_2 Depth=1
                                        ; =>  This Inner Loop Header: Depth=2
	v_sub_u32_e32 v37, v35, v36
	v_lshrrev_b32_e32 v37, 1, v37
	v_add_u32_e32 v37, v37, v36
	v_add_u32_e32 v38, v14, v37
	v_xad_u32 v39, v37, -1, v31
	ds_read_i8 v38, v38
	ds_read_i8 v39, v39
	v_add_u32_e32 v40, 1, v37
	s_waitcnt lgkmcnt(0)
	v_cmp_lt_i16_e64 s[10:11], v39, v38
	v_cndmask_b32_e64 v35, v35, v37, s[10:11]
	v_cndmask_b32_e64 v36, v40, v36, s[10:11]
	v_cmp_ge_i32_e64 s[10:11], v36, v35
	s_or_b64 s[14:15], s[10:11], s[14:15]
	s_andn2_b64 exec, exec, s[14:15]
	s_cbranch_execnz .LBB42_36
; %bb.37:                               ;   in Loop: Header=BB42_2 Depth=1
	s_or_b64 exec, exec, s[14:15]
.LBB42_38:                              ;   in Loop: Header=BB42_2 Depth=1
	s_or_b64 exec, exec, s[12:13]
	v_add_u32_e32 v35, v36, v14
	v_sub_u32_e32 v36, v31, v36
	ds_read_u8 v37, v35
	ds_read_u8 v38, v36
	v_cmp_le_i32_e64 s[12:13], v15, v35
	v_cmp_gt_i32_e64 s[10:11], v16, v36
	s_waitcnt lgkmcnt(1)
	v_bfe_i32 v37, v37, 0, 8
	s_waitcnt lgkmcnt(0)
	v_bfe_i32 v39, v38, 0, 8
	v_cmp_lt_i16_e64 s[14:15], v39, v37
	s_or_b64 s[12:13], s[12:13], s[14:15]
	s_and_b64 s[10:11], s[10:11], s[12:13]
	s_xor_b64 s[12:13], s[10:11], -1
                                        ; implicit-def: $vgpr38
	s_and_saveexec_b64 s[14:15], s[12:13]
	s_xor_b64 s[12:13], exec, s[14:15]
; %bb.39:                               ;   in Loop: Header=BB42_2 Depth=1
	ds_read_u8 v38, v35 offset:1
; %bb.40:                               ;   in Loop: Header=BB42_2 Depth=1
	s_or_saveexec_b64 s[12:13], s[12:13]
	v_mov_b32_e32 v40, v39
	s_xor_b64 exec, exec, s[12:13]
	s_cbranch_execz .LBB42_42
; %bb.41:                               ;   in Loop: Header=BB42_2 Depth=1
	ds_read_u8 v40, v36 offset:1
	s_waitcnt lgkmcnt(1)
	v_mov_b32_e32 v38, v37
.LBB42_42:                              ;   in Loop: Header=BB42_2 Depth=1
	s_or_b64 exec, exec, s[12:13]
	v_add_u32_e32 v41, 1, v35
	v_cndmask_b32_e64 v37, v37, v39, s[10:11]
	v_add_u32_e32 v39, 1, v36
	v_cndmask_b32_e64 v35, v41, v35, s[10:11]
	v_cndmask_b32_e64 v36, v36, v39, s[10:11]
	v_cmp_ge_i32_e64 s[12:13], v35, v15
	s_waitcnt lgkmcnt(0)
	v_cmp_lt_i16_sdwa s[14:15], sext(v40), sext(v38) src0_sel:BYTE_0 src1_sel:BYTE_0
	v_cmp_lt_i32_e64 s[10:11], v36, v16
	s_or_b64 s[12:13], s[12:13], s[14:15]
	s_and_b64 s[10:11], s[10:11], s[12:13]
	v_cndmask_b32_e64 v35, v38, v40, s[10:11]
	; wave barrier
	ds_write_b8 v1, v37
	ds_write_b8 v1, v35 offset:1
	v_mov_b32_e32 v35, v32
	s_waitcnt lgkmcnt(0)
	; wave barrier
	s_and_saveexec_b64 s[12:13], s[8:9]
	s_cbranch_execz .LBB42_46
; %bb.43:                               ;   in Loop: Header=BB42_2 Depth=1
	s_mov_b64 s[14:15], 0
	v_mov_b32_e32 v35, v32
	v_mov_b32_e32 v36, v33
.LBB42_44:                              ;   Parent Loop BB42_2 Depth=1
                                        ; =>  This Inner Loop Header: Depth=2
	v_sub_u32_e32 v37, v36, v35
	v_lshrrev_b32_e32 v37, 1, v37
	v_add_u32_e32 v37, v37, v35
	v_xad_u32 v38, v37, -1, v34
	ds_read_i8 v39, v37
	ds_read_i8 v38, v38
	v_add_u32_e32 v40, 1, v37
	s_waitcnt lgkmcnt(0)
	v_cmp_lt_i16_e64 s[10:11], v38, v39
	v_cndmask_b32_e64 v36, v36, v37, s[10:11]
	v_cndmask_b32_e64 v35, v40, v35, s[10:11]
	v_cmp_ge_i32_e64 s[10:11], v35, v36
	s_or_b64 s[14:15], s[10:11], s[14:15]
	s_andn2_b64 exec, exec, s[14:15]
	s_cbranch_execnz .LBB42_44
; %bb.45:                               ;   in Loop: Header=BB42_2 Depth=1
	s_or_b64 exec, exec, s[14:15]
.LBB42_46:                              ;   in Loop: Header=BB42_2 Depth=1
	s_or_b64 exec, exec, s[12:13]
	v_sub_u32_e32 v36, v34, v35
	ds_read_u8 v37, v35
	ds_read_u8 v38, v36
	v_cmp_le_i32_e64 s[12:13], 64, v35
	v_cmp_gt_i32_e64 s[10:11], s21, v36
                                        ; implicit-def: $vgpr39
                                        ; implicit-def: $vgpr40
	s_waitcnt lgkmcnt(1)
	v_bfe_i32 v37, v37, 0, 8
	s_waitcnt lgkmcnt(0)
	v_bfe_i32 v38, v38, 0, 8
	v_cmp_lt_i16_e64 s[14:15], v38, v37
	s_or_b64 s[12:13], s[12:13], s[14:15]
	s_and_b64 s[10:11], s[10:11], s[12:13]
	s_xor_b64 s[12:13], s[10:11], -1
	s_and_saveexec_b64 s[14:15], s[12:13]
	s_xor_b64 s[12:13], exec, s[14:15]
; %bb.47:                               ;   in Loop: Header=BB42_2 Depth=1
	ds_read_u8 v39, v35 offset:1
	v_add_u32_e32 v40, 1, v35
                                        ; implicit-def: $vgpr35
; %bb.48:                               ;   in Loop: Header=BB42_2 Depth=1
	s_or_saveexec_b64 s[12:13], s[12:13]
	v_mov_b32_e32 v41, v38
	s_xor_b64 exec, exec, s[12:13]
	s_cbranch_execz .LBB42_1
; %bb.49:                               ;   in Loop: Header=BB42_2 Depth=1
	ds_read_u8 v41, v36 offset:1
	v_add_u32_e32 v36, 1, v36
	v_mov_b32_e32 v40, v35
	s_waitcnt lgkmcnt(1)
	v_mov_b32_e32 v39, v37
	s_branch .LBB42_1
.LBB42_50:
	s_add_u32 s0, s18, s20
	s_addc_u32 s1, s19, 0
	v_mov_b32_e32 v1, s1
	v_add_co_u32_e32 v0, vcc, s0, v0
	v_addc_co_u32_e32 v1, vcc, 0, v1, vcc
	global_store_byte v[0:1], v35, off
	global_store_byte v[0:1], v36, off offset:64
	s_endpgm
	.section	.rodata,"a",@progbits
	.p2align	6, 0x0
	.amdhsa_kernel _Z16sort_keys_kernelIaLj64ELj2EN10test_utils4lessELj10EEvPKT_PS2_T2_
		.amdhsa_group_segment_fixed_size 129
		.amdhsa_private_segment_fixed_size 0
		.amdhsa_kernarg_size 20
		.amdhsa_user_sgpr_count 6
		.amdhsa_user_sgpr_private_segment_buffer 1
		.amdhsa_user_sgpr_dispatch_ptr 0
		.amdhsa_user_sgpr_queue_ptr 0
		.amdhsa_user_sgpr_kernarg_segment_ptr 1
		.amdhsa_user_sgpr_dispatch_id 0
		.amdhsa_user_sgpr_flat_scratch_init 0
		.amdhsa_user_sgpr_private_segment_size 0
		.amdhsa_uses_dynamic_stack 0
		.amdhsa_system_sgpr_private_segment_wavefront_offset 0
		.amdhsa_system_sgpr_workgroup_id_x 1
		.amdhsa_system_sgpr_workgroup_id_y 0
		.amdhsa_system_sgpr_workgroup_id_z 0
		.amdhsa_system_sgpr_workgroup_info 0
		.amdhsa_system_vgpr_workitem_id 0
		.amdhsa_next_free_vgpr 42
		.amdhsa_next_free_sgpr 22
		.amdhsa_reserve_vcc 1
		.amdhsa_reserve_flat_scratch 0
		.amdhsa_float_round_mode_32 0
		.amdhsa_float_round_mode_16_64 0
		.amdhsa_float_denorm_mode_32 3
		.amdhsa_float_denorm_mode_16_64 3
		.amdhsa_dx10_clamp 1
		.amdhsa_ieee_mode 1
		.amdhsa_fp16_overflow 0
		.amdhsa_exception_fp_ieee_invalid_op 0
		.amdhsa_exception_fp_denorm_src 0
		.amdhsa_exception_fp_ieee_div_zero 0
		.amdhsa_exception_fp_ieee_overflow 0
		.amdhsa_exception_fp_ieee_underflow 0
		.amdhsa_exception_fp_ieee_inexact 0
		.amdhsa_exception_int_div_zero 0
	.end_amdhsa_kernel
	.section	.text._Z16sort_keys_kernelIaLj64ELj2EN10test_utils4lessELj10EEvPKT_PS2_T2_,"axG",@progbits,_Z16sort_keys_kernelIaLj64ELj2EN10test_utils4lessELj10EEvPKT_PS2_T2_,comdat
.Lfunc_end42:
	.size	_Z16sort_keys_kernelIaLj64ELj2EN10test_utils4lessELj10EEvPKT_PS2_T2_, .Lfunc_end42-_Z16sort_keys_kernelIaLj64ELj2EN10test_utils4lessELj10EEvPKT_PS2_T2_
                                        ; -- End function
	.set _Z16sort_keys_kernelIaLj64ELj2EN10test_utils4lessELj10EEvPKT_PS2_T2_.num_vgpr, 42
	.set _Z16sort_keys_kernelIaLj64ELj2EN10test_utils4lessELj10EEvPKT_PS2_T2_.num_agpr, 0
	.set _Z16sort_keys_kernelIaLj64ELj2EN10test_utils4lessELj10EEvPKT_PS2_T2_.numbered_sgpr, 22
	.set _Z16sort_keys_kernelIaLj64ELj2EN10test_utils4lessELj10EEvPKT_PS2_T2_.num_named_barrier, 0
	.set _Z16sort_keys_kernelIaLj64ELj2EN10test_utils4lessELj10EEvPKT_PS2_T2_.private_seg_size, 0
	.set _Z16sort_keys_kernelIaLj64ELj2EN10test_utils4lessELj10EEvPKT_PS2_T2_.uses_vcc, 1
	.set _Z16sort_keys_kernelIaLj64ELj2EN10test_utils4lessELj10EEvPKT_PS2_T2_.uses_flat_scratch, 0
	.set _Z16sort_keys_kernelIaLj64ELj2EN10test_utils4lessELj10EEvPKT_PS2_T2_.has_dyn_sized_stack, 0
	.set _Z16sort_keys_kernelIaLj64ELj2EN10test_utils4lessELj10EEvPKT_PS2_T2_.has_recursion, 0
	.set _Z16sort_keys_kernelIaLj64ELj2EN10test_utils4lessELj10EEvPKT_PS2_T2_.has_indirect_call, 0
	.section	.AMDGPU.csdata,"",@progbits
; Kernel info:
; codeLenInByte = 2604
; TotalNumSgprs: 26
; NumVgprs: 42
; ScratchSize: 0
; MemoryBound: 0
; FloatMode: 240
; IeeeMode: 1
; LDSByteSize: 129 bytes/workgroup (compile time only)
; SGPRBlocks: 3
; VGPRBlocks: 10
; NumSGPRsForWavesPerEU: 26
; NumVGPRsForWavesPerEU: 42
; Occupancy: 5
; WaveLimiterHint : 0
; COMPUTE_PGM_RSRC2:SCRATCH_EN: 0
; COMPUTE_PGM_RSRC2:USER_SGPR: 6
; COMPUTE_PGM_RSRC2:TRAP_HANDLER: 0
; COMPUTE_PGM_RSRC2:TGID_X_EN: 1
; COMPUTE_PGM_RSRC2:TGID_Y_EN: 0
; COMPUTE_PGM_RSRC2:TGID_Z_EN: 0
; COMPUTE_PGM_RSRC2:TIDIG_COMP_CNT: 0
	.section	.text._Z17sort_pairs_kernelIaLj64ELj2EN10test_utils4lessELj10EEvPKT_PS2_T2_,"axG",@progbits,_Z17sort_pairs_kernelIaLj64ELj2EN10test_utils4lessELj10EEvPKT_PS2_T2_,comdat
	.protected	_Z17sort_pairs_kernelIaLj64ELj2EN10test_utils4lessELj10EEvPKT_PS2_T2_ ; -- Begin function _Z17sort_pairs_kernelIaLj64ELj2EN10test_utils4lessELj10EEvPKT_PS2_T2_
	.globl	_Z17sort_pairs_kernelIaLj64ELj2EN10test_utils4lessELj10EEvPKT_PS2_T2_
	.p2align	8
	.type	_Z17sort_pairs_kernelIaLj64ELj2EN10test_utils4lessELj10EEvPKT_PS2_T2_,@function
_Z17sort_pairs_kernelIaLj64ELj2EN10test_utils4lessELj10EEvPKT_PS2_T2_: ; @_Z17sort_pairs_kernelIaLj64ELj2EN10test_utils4lessELj10EEvPKT_PS2_T2_
; %bb.0:
	s_load_dwordx4 s[16:19], s[4:5], 0x0
	s_lshl_b32 s20, s6, 7
	v_lshlrev_b32_e32 v1, 1, v0
	v_and_b32_e32 v2, 0x7c, v1
	v_and_b32_e32 v3, 0x78, v1
	s_waitcnt lgkmcnt(0)
	s_add_u32 s0, s16, s20
	s_addc_u32 s1, s17, 0
	global_load_ubyte v38, v0, s[0:1]
	global_load_ubyte v37, v0, s[0:1] offset:64
	v_and_b32_e32 v5, 0x60, v1
	v_or_b32_e32 v9, 2, v2
	v_add_u32_e32 v10, 4, v2
	v_and_b32_e32 v24, 2, v1
	v_and_b32_e32 v4, 0x70, v1
	v_or_b32_e32 v11, 4, v3
	v_add_u32_e32 v12, 8, v3
	v_or_b32_e32 v15, 16, v5
	v_sub_u32_e32 v25, v10, v9
	v_and_b32_e32 v30, 6, v1
	v_and_b32_e32 v32, 30, v1
	v_or_b32_e32 v13, 8, v4
	v_add_u32_e32 v14, 16, v4
	v_sub_u32_e32 v34, v12, v11
	v_sub_u32_e32 v27, v11, v3
	;; [unrolled: 1-line block ×4, first 2 shown]
	v_cmp_ge_i32_e64 s[0:1], v24, v25
	v_and_b32_e32 v31, 14, v1
	v_and_b32_e32 v6, 64, v1
	v_add_u32_e32 v16, 32, v5
	v_sub_u32_e32 v35, v14, v13
	v_sub_u32_e32 v42, v30, v34
	v_min_i32_e32 v25, v30, v27
	v_min_i32_e32 v27, v32, v29
	v_cndmask_b32_e64 v29, 0, v41, s[0:1]
	v_cmp_ge_i32_e64 s[0:1], v30, v34
	v_or_b32_e32 v17, 32, v6
	v_add_u32_e32 v18, 64, v6
	v_sub_u32_e32 v36, v16, v15
	v_sub_u32_e32 v26, v9, v2
	v_add_u32_e32 v20, v11, v30
	v_sub_u32_e32 v28, v13, v4
	v_sub_u32_e32 v43, v31, v35
	v_cndmask_b32_e64 v30, 0, v42, s[0:1]
	v_cmp_ge_i32_e64 s[0:1], v31, v35
	v_and_b32_e32 v33, 62, v1
	v_sub_u32_e32 v39, v18, v17
	v_add_u32_e32 v19, v9, v24
	v_add_u32_e32 v21, v13, v31
	v_sub_u32_e32 v44, v32, v36
	v_min_i32_e32 v24, v24, v26
	v_min_i32_e32 v26, v31, v28
	v_cndmask_b32_e64 v31, 0, v43, s[0:1]
	v_cmp_ge_i32_e64 s[0:1], v32, v36
	v_add_u32_e32 v22, v15, v32
	v_sub_u32_e32 v40, v17, v6
	v_sub_u32_e32 v45, v33, v39
	v_cndmask_b32_e64 v32, 0, v44, s[0:1]
	v_cmp_ge_i32_e64 s[0:1], v33, v39
	v_sub_u32_e64 v7, v1, 64 clamp
	v_min_i32_e32 v8, 64, v1
	v_add_u32_e32 v23, v17, v33
	v_min_i32_e32 v28, v33, v40
	v_cndmask_b32_e64 v33, 0, v45, s[0:1]
	s_mov_b32 s21, 0
	s_mov_b32 s22, 0xc0c0004
	s_movk_i32 s23, 0x80
	v_cmp_lt_i32_e32 vcc, v7, v8
	v_cmp_lt_i32_e64 s[0:1], v29, v24
	v_cmp_lt_i32_e64 s[2:3], v30, v25
	;; [unrolled: 1-line block ×5, first 2 shown]
	v_add_u32_e32 v34, 64, v1
	s_waitcnt vmcnt(1)
	v_add_u16_e32 v35, 1, v38
	s_waitcnt vmcnt(0)
	v_add_u16_e32 v36, 1, v37
	s_branch .LBB43_2
.LBB43_1:                               ;   in Loop: Header=BB43_2 Depth=1
	s_or_b64 exec, exec, s[12:13]
	v_cmp_le_i32_e64 s[14:15], 64, v41
	s_waitcnt lgkmcnt(0)
	v_cmp_lt_i16_sdwa s[16:17], sext(v44), sext(v42) src0_sel:BYTE_0 src1_sel:BYTE_0
	v_cmp_gt_i32_e64 s[12:13], s23, v40
	s_or_b64 s[14:15], s[14:15], s[16:17]
	s_and_b64 s[12:13], s[12:13], s[14:15]
	v_cndmask_b32_e64 v40, v41, v40, s[12:13]
	; wave barrier
	ds_write_b8 v1, v35
	ds_write_b8 v1, v36 offset:1
	s_waitcnt lgkmcnt(0)
	; wave barrier
	ds_read_u8 v35, v43
	ds_read_u8 v36, v40
	s_add_i32 s21, s21, 1
	v_cndmask_b32_e64 v37, v42, v44, s[12:13]
	s_cmp_eq_u32 s21, 10
	v_cndmask_b32_e64 v38, v38, v39, s[10:11]
	s_cbranch_scc1 .LBB43_50
.LBB43_2:                               ; =>This Loop Header: Depth=1
                                        ;     Child Loop BB43_4 Depth 2
                                        ;     Child Loop BB43_12 Depth 2
	;; [unrolled: 1-line block ×6, first 2 shown]
	v_perm_b32 v39, v37, v38, s22
	v_perm_b32 v40, v38, v37, s22
	v_cmp_lt_i16_sdwa s[10:11], sext(v37), sext(v38) src0_sel:BYTE_0 src1_sel:BYTE_0
	v_cndmask_b32_e64 v37, v40, v39, s[10:11]
	; wave barrier
	ds_write_b8 v1, v37
	v_lshrrev_b16_e32 v37, 8, v37
	v_mov_b32_e32 v38, v29
	ds_write_b8 v1, v37 offset:1
	s_waitcnt lgkmcnt(0)
	; wave barrier
	s_and_saveexec_b64 s[14:15], s[0:1]
	s_cbranch_execz .LBB43_6
; %bb.3:                                ;   in Loop: Header=BB43_2 Depth=1
	s_mov_b64 s[16:17], 0
	v_mov_b32_e32 v38, v29
	v_mov_b32_e32 v37, v24
.LBB43_4:                               ;   Parent Loop BB43_2 Depth=1
                                        ; =>  This Inner Loop Header: Depth=2
	v_sub_u32_e32 v39, v37, v38
	v_lshrrev_b32_e32 v39, 1, v39
	v_add_u32_e32 v39, v39, v38
	v_add_u32_e32 v40, v2, v39
	v_xad_u32 v41, v39, -1, v19
	ds_read_i8 v40, v40
	ds_read_i8 v41, v41
	v_add_u32_e32 v42, 1, v39
	s_waitcnt lgkmcnt(0)
	v_cmp_lt_i16_e64 s[12:13], v41, v40
	v_cndmask_b32_e64 v37, v37, v39, s[12:13]
	v_cndmask_b32_e64 v38, v42, v38, s[12:13]
	v_cmp_ge_i32_e64 s[12:13], v38, v37
	s_or_b64 s[16:17], s[12:13], s[16:17]
	s_andn2_b64 exec, exec, s[16:17]
	s_cbranch_execnz .LBB43_4
; %bb.5:                                ;   in Loop: Header=BB43_2 Depth=1
	s_or_b64 exec, exec, s[16:17]
.LBB43_6:                               ;   in Loop: Header=BB43_2 Depth=1
	s_or_b64 exec, exec, s[14:15]
	v_add_u32_e32 v37, v38, v2
	v_sub_u32_e32 v38, v19, v38
	ds_read_u8 v39, v37
	ds_read_u8 v41, v38
	v_cmp_le_i32_e64 s[14:15], v9, v37
	v_cmp_gt_i32_e64 s[12:13], v10, v38
	s_waitcnt lgkmcnt(1)
	v_bfe_i32 v40, v39, 0, 8
	s_waitcnt lgkmcnt(0)
	v_bfe_i32 v41, v41, 0, 8
	v_cmp_lt_i16_e64 s[16:17], v41, v40
	s_or_b64 s[14:15], s[14:15], s[16:17]
	s_and_b64 s[12:13], s[12:13], s[14:15]
	s_xor_b64 s[14:15], s[12:13], -1
                                        ; implicit-def: $vgpr39
	s_and_saveexec_b64 s[16:17], s[14:15]
	s_xor_b64 s[14:15], exec, s[16:17]
; %bb.7:                                ;   in Loop: Header=BB43_2 Depth=1
	ds_read_u8 v39, v37 offset:1
; %bb.8:                                ;   in Loop: Header=BB43_2 Depth=1
	s_or_saveexec_b64 s[14:15], s[14:15]
	v_mov_b32_e32 v42, v41
	s_xor_b64 exec, exec, s[14:15]
	s_cbranch_execz .LBB43_10
; %bb.9:                                ;   in Loop: Header=BB43_2 Depth=1
	ds_read_u8 v42, v38 offset:1
	s_waitcnt lgkmcnt(1)
	v_mov_b32_e32 v39, v40
.LBB43_10:                              ;   in Loop: Header=BB43_2 Depth=1
	s_or_b64 exec, exec, s[14:15]
	v_add_u32_e32 v43, 1, v37
	v_cndmask_b32_e64 v40, v40, v41, s[12:13]
	v_add_u32_e32 v41, 1, v38
	v_cndmask_b32_e64 v43, v43, v37, s[12:13]
	v_cndmask_b32_e64 v41, v38, v41, s[12:13]
	;; [unrolled: 1-line block ×3, first 2 shown]
	v_perm_b32 v38, v36, v35, s22
	v_perm_b32 v35, v35, v36, s22
	v_cmp_ge_i32_e64 s[12:13], v43, v9
	s_waitcnt lgkmcnt(0)
	v_cmp_lt_i16_sdwa s[14:15], sext(v42), sext(v39) src0_sel:BYTE_0 src1_sel:BYTE_0
	v_cndmask_b32_e64 v35, v35, v38, s[10:11]
	v_cmp_lt_i32_e64 s[10:11], v41, v10
	s_or_b64 s[12:13], s[12:13], s[14:15]
	s_and_b64 s[10:11], s[10:11], s[12:13]
	v_cndmask_b32_e64 v36, v43, v41, s[10:11]
	; wave barrier
	ds_write_b8 v1, v35
	v_lshrrev_b16_e32 v35, 8, v35
	ds_write_b8 v1, v35 offset:1
	s_waitcnt lgkmcnt(0)
	; wave barrier
	ds_read_u8 v35, v37
	ds_read_u8 v36, v36
	v_cndmask_b32_e64 v38, v39, v42, s[10:11]
	s_waitcnt lgkmcnt(0)
	; wave barrier
	ds_write_b8 v1, v40
	ds_write_b8 v1, v38 offset:1
	v_mov_b32_e32 v38, v30
	s_waitcnt lgkmcnt(0)
	; wave barrier
	s_and_saveexec_b64 s[12:13], s[2:3]
	s_cbranch_execz .LBB43_14
; %bb.11:                               ;   in Loop: Header=BB43_2 Depth=1
	s_mov_b64 s[14:15], 0
	v_mov_b32_e32 v38, v30
	v_mov_b32_e32 v37, v25
.LBB43_12:                              ;   Parent Loop BB43_2 Depth=1
                                        ; =>  This Inner Loop Header: Depth=2
	v_sub_u32_e32 v39, v37, v38
	v_lshrrev_b32_e32 v39, 1, v39
	v_add_u32_e32 v39, v39, v38
	v_add_u32_e32 v40, v3, v39
	v_xad_u32 v41, v39, -1, v20
	ds_read_i8 v40, v40
	ds_read_i8 v41, v41
	v_add_u32_e32 v42, 1, v39
	s_waitcnt lgkmcnt(0)
	v_cmp_lt_i16_e64 s[10:11], v41, v40
	v_cndmask_b32_e64 v37, v37, v39, s[10:11]
	v_cndmask_b32_e64 v38, v42, v38, s[10:11]
	v_cmp_ge_i32_e64 s[10:11], v38, v37
	s_or_b64 s[14:15], s[10:11], s[14:15]
	s_andn2_b64 exec, exec, s[14:15]
	s_cbranch_execnz .LBB43_12
; %bb.13:                               ;   in Loop: Header=BB43_2 Depth=1
	s_or_b64 exec, exec, s[14:15]
.LBB43_14:                              ;   in Loop: Header=BB43_2 Depth=1
	s_or_b64 exec, exec, s[12:13]
	v_add_u32_e32 v37, v38, v3
	v_sub_u32_e32 v38, v20, v38
	ds_read_u8 v39, v37
	ds_read_u8 v41, v38
	v_cmp_le_i32_e64 s[12:13], v11, v37
	v_cmp_gt_i32_e64 s[10:11], v12, v38
	s_waitcnt lgkmcnt(1)
	v_bfe_i32 v40, v39, 0, 8
	s_waitcnt lgkmcnt(0)
	v_bfe_i32 v41, v41, 0, 8
	v_cmp_lt_i16_e64 s[14:15], v41, v40
	s_or_b64 s[12:13], s[12:13], s[14:15]
	s_and_b64 s[10:11], s[10:11], s[12:13]
	s_xor_b64 s[12:13], s[10:11], -1
                                        ; implicit-def: $vgpr39
	s_and_saveexec_b64 s[14:15], s[12:13]
	s_xor_b64 s[12:13], exec, s[14:15]
; %bb.15:                               ;   in Loop: Header=BB43_2 Depth=1
	ds_read_u8 v39, v37 offset:1
; %bb.16:                               ;   in Loop: Header=BB43_2 Depth=1
	s_or_saveexec_b64 s[12:13], s[12:13]
	v_mov_b32_e32 v42, v41
	s_xor_b64 exec, exec, s[12:13]
	s_cbranch_execz .LBB43_18
; %bb.17:                               ;   in Loop: Header=BB43_2 Depth=1
	ds_read_u8 v42, v38 offset:1
	s_waitcnt lgkmcnt(1)
	v_mov_b32_e32 v39, v40
.LBB43_18:                              ;   in Loop: Header=BB43_2 Depth=1
	s_or_b64 exec, exec, s[12:13]
	v_add_u32_e32 v43, 1, v37
	v_cndmask_b32_e64 v40, v40, v41, s[10:11]
	v_add_u32_e32 v41, 1, v38
	v_cndmask_b32_e64 v43, v43, v37, s[10:11]
	v_cndmask_b32_e64 v41, v38, v41, s[10:11]
	v_cmp_ge_i32_e64 s[12:13], v43, v11
	s_waitcnt lgkmcnt(0)
	v_cmp_lt_i16_sdwa s[14:15], sext(v42), sext(v39) src0_sel:BYTE_0 src1_sel:BYTE_0
	v_cndmask_b32_e64 v37, v37, v38, s[10:11]
	v_cmp_lt_i32_e64 s[10:11], v41, v12
	s_or_b64 s[12:13], s[12:13], s[14:15]
	s_and_b64 s[10:11], s[10:11], s[12:13]
	v_cndmask_b32_e64 v38, v39, v42, s[10:11]
	v_cndmask_b32_e64 v39, v43, v41, s[10:11]
	; wave barrier
	ds_write_b8 v1, v35
	ds_write_b8 v1, v36 offset:1
	s_waitcnt lgkmcnt(0)
	; wave barrier
	ds_read_u8 v35, v37
	ds_read_u8 v36, v39
	s_waitcnt lgkmcnt(0)
	; wave barrier
	ds_write_b8 v1, v40
	ds_write_b8 v1, v38 offset:1
	v_mov_b32_e32 v38, v31
	s_waitcnt lgkmcnt(0)
	; wave barrier
	s_and_saveexec_b64 s[12:13], s[4:5]
	s_cbranch_execz .LBB43_22
; %bb.19:                               ;   in Loop: Header=BB43_2 Depth=1
	s_mov_b64 s[14:15], 0
	v_mov_b32_e32 v38, v31
	v_mov_b32_e32 v37, v26
.LBB43_20:                              ;   Parent Loop BB43_2 Depth=1
                                        ; =>  This Inner Loop Header: Depth=2
	v_sub_u32_e32 v39, v37, v38
	v_lshrrev_b32_e32 v39, 1, v39
	v_add_u32_e32 v39, v39, v38
	v_add_u32_e32 v40, v4, v39
	v_xad_u32 v41, v39, -1, v21
	ds_read_i8 v40, v40
	ds_read_i8 v41, v41
	v_add_u32_e32 v42, 1, v39
	s_waitcnt lgkmcnt(0)
	v_cmp_lt_i16_e64 s[10:11], v41, v40
	v_cndmask_b32_e64 v37, v37, v39, s[10:11]
	v_cndmask_b32_e64 v38, v42, v38, s[10:11]
	v_cmp_ge_i32_e64 s[10:11], v38, v37
	s_or_b64 s[14:15], s[10:11], s[14:15]
	s_andn2_b64 exec, exec, s[14:15]
	s_cbranch_execnz .LBB43_20
; %bb.21:                               ;   in Loop: Header=BB43_2 Depth=1
	s_or_b64 exec, exec, s[14:15]
.LBB43_22:                              ;   in Loop: Header=BB43_2 Depth=1
	s_or_b64 exec, exec, s[12:13]
	v_add_u32_e32 v37, v38, v4
	v_sub_u32_e32 v38, v21, v38
	ds_read_u8 v39, v37
	ds_read_u8 v41, v38
	v_cmp_le_i32_e64 s[12:13], v13, v37
	v_cmp_gt_i32_e64 s[10:11], v14, v38
	s_waitcnt lgkmcnt(1)
	v_bfe_i32 v40, v39, 0, 8
	s_waitcnt lgkmcnt(0)
	v_bfe_i32 v41, v41, 0, 8
	v_cmp_lt_i16_e64 s[14:15], v41, v40
	s_or_b64 s[12:13], s[12:13], s[14:15]
	s_and_b64 s[10:11], s[10:11], s[12:13]
	s_xor_b64 s[12:13], s[10:11], -1
                                        ; implicit-def: $vgpr39
	s_and_saveexec_b64 s[14:15], s[12:13]
	s_xor_b64 s[12:13], exec, s[14:15]
; %bb.23:                               ;   in Loop: Header=BB43_2 Depth=1
	ds_read_u8 v39, v37 offset:1
; %bb.24:                               ;   in Loop: Header=BB43_2 Depth=1
	s_or_saveexec_b64 s[12:13], s[12:13]
	v_mov_b32_e32 v42, v41
	s_xor_b64 exec, exec, s[12:13]
	s_cbranch_execz .LBB43_26
; %bb.25:                               ;   in Loop: Header=BB43_2 Depth=1
	ds_read_u8 v42, v38 offset:1
	s_waitcnt lgkmcnt(1)
	v_mov_b32_e32 v39, v40
.LBB43_26:                              ;   in Loop: Header=BB43_2 Depth=1
	s_or_b64 exec, exec, s[12:13]
	v_add_u32_e32 v43, 1, v37
	v_cndmask_b32_e64 v40, v40, v41, s[10:11]
	v_add_u32_e32 v41, 1, v38
	v_cndmask_b32_e64 v43, v43, v37, s[10:11]
	v_cndmask_b32_e64 v41, v38, v41, s[10:11]
	v_cmp_ge_i32_e64 s[12:13], v43, v13
	s_waitcnt lgkmcnt(0)
	v_cmp_lt_i16_sdwa s[14:15], sext(v42), sext(v39) src0_sel:BYTE_0 src1_sel:BYTE_0
	v_cndmask_b32_e64 v37, v37, v38, s[10:11]
	v_cmp_lt_i32_e64 s[10:11], v41, v14
	s_or_b64 s[12:13], s[12:13], s[14:15]
	s_and_b64 s[10:11], s[10:11], s[12:13]
	v_cndmask_b32_e64 v38, v39, v42, s[10:11]
	v_cndmask_b32_e64 v39, v43, v41, s[10:11]
	; wave barrier
	ds_write_b8 v1, v35
	ds_write_b8 v1, v36 offset:1
	s_waitcnt lgkmcnt(0)
	; wave barrier
	ds_read_u8 v35, v37
	ds_read_u8 v36, v39
	s_waitcnt lgkmcnt(0)
	; wave barrier
	ds_write_b8 v1, v40
	ds_write_b8 v1, v38 offset:1
	v_mov_b32_e32 v38, v32
	s_waitcnt lgkmcnt(0)
	; wave barrier
	s_and_saveexec_b64 s[12:13], s[6:7]
	s_cbranch_execz .LBB43_30
; %bb.27:                               ;   in Loop: Header=BB43_2 Depth=1
	s_mov_b64 s[14:15], 0
	v_mov_b32_e32 v38, v32
	v_mov_b32_e32 v37, v27
.LBB43_28:                              ;   Parent Loop BB43_2 Depth=1
                                        ; =>  This Inner Loop Header: Depth=2
	v_sub_u32_e32 v39, v37, v38
	v_lshrrev_b32_e32 v39, 1, v39
	v_add_u32_e32 v39, v39, v38
	v_add_u32_e32 v40, v5, v39
	v_xad_u32 v41, v39, -1, v22
	ds_read_i8 v40, v40
	ds_read_i8 v41, v41
	v_add_u32_e32 v42, 1, v39
	s_waitcnt lgkmcnt(0)
	v_cmp_lt_i16_e64 s[10:11], v41, v40
	v_cndmask_b32_e64 v37, v37, v39, s[10:11]
	v_cndmask_b32_e64 v38, v42, v38, s[10:11]
	v_cmp_ge_i32_e64 s[10:11], v38, v37
	s_or_b64 s[14:15], s[10:11], s[14:15]
	s_andn2_b64 exec, exec, s[14:15]
	s_cbranch_execnz .LBB43_28
; %bb.29:                               ;   in Loop: Header=BB43_2 Depth=1
	s_or_b64 exec, exec, s[14:15]
.LBB43_30:                              ;   in Loop: Header=BB43_2 Depth=1
	s_or_b64 exec, exec, s[12:13]
	v_add_u32_e32 v37, v38, v5
	v_sub_u32_e32 v38, v22, v38
	ds_read_u8 v39, v37
	ds_read_u8 v41, v38
	v_cmp_le_i32_e64 s[12:13], v15, v37
	v_cmp_gt_i32_e64 s[10:11], v16, v38
	s_waitcnt lgkmcnt(1)
	v_bfe_i32 v40, v39, 0, 8
	s_waitcnt lgkmcnt(0)
	v_bfe_i32 v41, v41, 0, 8
	v_cmp_lt_i16_e64 s[14:15], v41, v40
	s_or_b64 s[12:13], s[12:13], s[14:15]
	s_and_b64 s[10:11], s[10:11], s[12:13]
	s_xor_b64 s[12:13], s[10:11], -1
                                        ; implicit-def: $vgpr39
	s_and_saveexec_b64 s[14:15], s[12:13]
	s_xor_b64 s[12:13], exec, s[14:15]
; %bb.31:                               ;   in Loop: Header=BB43_2 Depth=1
	ds_read_u8 v39, v37 offset:1
; %bb.32:                               ;   in Loop: Header=BB43_2 Depth=1
	s_or_saveexec_b64 s[12:13], s[12:13]
	v_mov_b32_e32 v42, v41
	s_xor_b64 exec, exec, s[12:13]
	s_cbranch_execz .LBB43_34
; %bb.33:                               ;   in Loop: Header=BB43_2 Depth=1
	ds_read_u8 v42, v38 offset:1
	s_waitcnt lgkmcnt(1)
	v_mov_b32_e32 v39, v40
.LBB43_34:                              ;   in Loop: Header=BB43_2 Depth=1
	s_or_b64 exec, exec, s[12:13]
	v_add_u32_e32 v43, 1, v37
	v_cndmask_b32_e64 v40, v40, v41, s[10:11]
	v_add_u32_e32 v41, 1, v38
	v_cndmask_b32_e64 v43, v43, v37, s[10:11]
	v_cndmask_b32_e64 v41, v38, v41, s[10:11]
	v_cmp_ge_i32_e64 s[12:13], v43, v15
	s_waitcnt lgkmcnt(0)
	v_cmp_lt_i16_sdwa s[14:15], sext(v42), sext(v39) src0_sel:BYTE_0 src1_sel:BYTE_0
	v_cndmask_b32_e64 v37, v37, v38, s[10:11]
	v_cmp_lt_i32_e64 s[10:11], v41, v16
	s_or_b64 s[12:13], s[12:13], s[14:15]
	s_and_b64 s[10:11], s[10:11], s[12:13]
	v_cndmask_b32_e64 v38, v39, v42, s[10:11]
	v_cndmask_b32_e64 v39, v43, v41, s[10:11]
	; wave barrier
	ds_write_b8 v1, v35
	ds_write_b8 v1, v36 offset:1
	s_waitcnt lgkmcnt(0)
	; wave barrier
	ds_read_u8 v35, v37
	ds_read_u8 v36, v39
	s_waitcnt lgkmcnt(0)
	; wave barrier
	ds_write_b8 v1, v40
	ds_write_b8 v1, v38 offset:1
	v_mov_b32_e32 v38, v33
	s_waitcnt lgkmcnt(0)
	; wave barrier
	s_and_saveexec_b64 s[12:13], s[8:9]
	s_cbranch_execz .LBB43_38
; %bb.35:                               ;   in Loop: Header=BB43_2 Depth=1
	s_mov_b64 s[14:15], 0
	v_mov_b32_e32 v38, v33
	v_mov_b32_e32 v37, v28
.LBB43_36:                              ;   Parent Loop BB43_2 Depth=1
                                        ; =>  This Inner Loop Header: Depth=2
	v_sub_u32_e32 v39, v37, v38
	v_lshrrev_b32_e32 v39, 1, v39
	v_add_u32_e32 v39, v39, v38
	v_add_u32_e32 v40, v6, v39
	v_xad_u32 v41, v39, -1, v23
	ds_read_i8 v40, v40
	ds_read_i8 v41, v41
	v_add_u32_e32 v42, 1, v39
	s_waitcnt lgkmcnt(0)
	v_cmp_lt_i16_e64 s[10:11], v41, v40
	v_cndmask_b32_e64 v37, v37, v39, s[10:11]
	v_cndmask_b32_e64 v38, v42, v38, s[10:11]
	v_cmp_ge_i32_e64 s[10:11], v38, v37
	s_or_b64 s[14:15], s[10:11], s[14:15]
	s_andn2_b64 exec, exec, s[14:15]
	s_cbranch_execnz .LBB43_36
; %bb.37:                               ;   in Loop: Header=BB43_2 Depth=1
	s_or_b64 exec, exec, s[14:15]
.LBB43_38:                              ;   in Loop: Header=BB43_2 Depth=1
	s_or_b64 exec, exec, s[12:13]
	v_add_u32_e32 v37, v38, v6
	v_sub_u32_e32 v38, v23, v38
	ds_read_u8 v39, v37
	ds_read_u8 v41, v38
	v_cmp_le_i32_e64 s[12:13], v17, v37
	v_cmp_gt_i32_e64 s[10:11], v18, v38
	s_waitcnt lgkmcnt(1)
	v_bfe_i32 v40, v39, 0, 8
	s_waitcnt lgkmcnt(0)
	v_bfe_i32 v41, v41, 0, 8
	v_cmp_lt_i16_e64 s[14:15], v41, v40
	s_or_b64 s[12:13], s[12:13], s[14:15]
	s_and_b64 s[10:11], s[10:11], s[12:13]
	s_xor_b64 s[12:13], s[10:11], -1
                                        ; implicit-def: $vgpr39
	s_and_saveexec_b64 s[14:15], s[12:13]
	s_xor_b64 s[12:13], exec, s[14:15]
; %bb.39:                               ;   in Loop: Header=BB43_2 Depth=1
	ds_read_u8 v39, v37 offset:1
; %bb.40:                               ;   in Loop: Header=BB43_2 Depth=1
	s_or_saveexec_b64 s[12:13], s[12:13]
	v_mov_b32_e32 v42, v41
	s_xor_b64 exec, exec, s[12:13]
	s_cbranch_execz .LBB43_42
; %bb.41:                               ;   in Loop: Header=BB43_2 Depth=1
	ds_read_u8 v42, v38 offset:1
	s_waitcnt lgkmcnt(1)
	v_mov_b32_e32 v39, v40
.LBB43_42:                              ;   in Loop: Header=BB43_2 Depth=1
	s_or_b64 exec, exec, s[12:13]
	v_add_u32_e32 v43, 1, v37
	v_cndmask_b32_e64 v40, v40, v41, s[10:11]
	v_add_u32_e32 v41, 1, v38
	v_cndmask_b32_e64 v43, v43, v37, s[10:11]
	v_cndmask_b32_e64 v41, v38, v41, s[10:11]
	v_cmp_ge_i32_e64 s[12:13], v43, v17
	s_waitcnt lgkmcnt(0)
	v_cmp_lt_i16_sdwa s[14:15], sext(v42), sext(v39) src0_sel:BYTE_0 src1_sel:BYTE_0
	v_cndmask_b32_e64 v37, v37, v38, s[10:11]
	v_cmp_lt_i32_e64 s[10:11], v41, v18
	s_or_b64 s[12:13], s[12:13], s[14:15]
	s_and_b64 s[10:11], s[10:11], s[12:13]
	v_cndmask_b32_e64 v38, v39, v42, s[10:11]
	v_cndmask_b32_e64 v39, v43, v41, s[10:11]
	; wave barrier
	ds_write_b8 v1, v35
	ds_write_b8 v1, v36 offset:1
	s_waitcnt lgkmcnt(0)
	; wave barrier
	ds_read_u8 v35, v37
	ds_read_u8 v36, v39
	v_mov_b32_e32 v37, v7
	s_waitcnt lgkmcnt(0)
	; wave barrier
	ds_write_b8 v1, v40
	ds_write_b8 v1, v38 offset:1
	s_waitcnt lgkmcnt(0)
	; wave barrier
	s_and_saveexec_b64 s[12:13], vcc
	s_cbranch_execz .LBB43_46
; %bb.43:                               ;   in Loop: Header=BB43_2 Depth=1
	s_mov_b64 s[14:15], 0
	v_mov_b32_e32 v37, v7
	v_mov_b32_e32 v38, v8
.LBB43_44:                              ;   Parent Loop BB43_2 Depth=1
                                        ; =>  This Inner Loop Header: Depth=2
	v_sub_u32_e32 v39, v38, v37
	v_lshrrev_b32_e32 v39, 1, v39
	v_add_u32_e32 v39, v39, v37
	v_xad_u32 v40, v39, -1, v34
	ds_read_i8 v41, v39
	ds_read_i8 v40, v40
	v_add_u32_e32 v42, 1, v39
	s_waitcnt lgkmcnt(0)
	v_cmp_lt_i16_e64 s[10:11], v40, v41
	v_cndmask_b32_e64 v38, v38, v39, s[10:11]
	v_cndmask_b32_e64 v37, v42, v37, s[10:11]
	v_cmp_ge_i32_e64 s[10:11], v37, v38
	s_or_b64 s[14:15], s[10:11], s[14:15]
	s_andn2_b64 exec, exec, s[14:15]
	s_cbranch_execnz .LBB43_44
; %bb.45:                               ;   in Loop: Header=BB43_2 Depth=1
	s_or_b64 exec, exec, s[14:15]
.LBB43_46:                              ;   in Loop: Header=BB43_2 Depth=1
	s_or_b64 exec, exec, s[12:13]
	v_sub_u32_e32 v40, v34, v37
	ds_read_u8 v38, v37
	ds_read_u8 v39, v40
	v_cmp_le_i32_e64 s[12:13], 64, v37
	v_cmp_gt_i32_e64 s[10:11], s23, v40
                                        ; implicit-def: $vgpr42
                                        ; implicit-def: $vgpr41
	s_waitcnt lgkmcnt(1)
	v_bfe_i32 v38, v38, 0, 8
	s_waitcnt lgkmcnt(0)
	v_bfe_i32 v39, v39, 0, 8
	v_cmp_lt_i16_e64 s[14:15], v39, v38
	s_or_b64 s[12:13], s[12:13], s[14:15]
	s_and_b64 s[10:11], s[10:11], s[12:13]
	s_xor_b64 s[12:13], s[10:11], -1
	s_and_saveexec_b64 s[14:15], s[12:13]
	s_xor_b64 s[12:13], exec, s[14:15]
; %bb.47:                               ;   in Loop: Header=BB43_2 Depth=1
	ds_read_u8 v42, v37 offset:1
	v_add_u32_e32 v41, 1, v37
; %bb.48:                               ;   in Loop: Header=BB43_2 Depth=1
	s_or_saveexec_b64 s[12:13], s[12:13]
	v_mov_b32_e32 v43, v37
	v_mov_b32_e32 v44, v39
	s_xor_b64 exec, exec, s[12:13]
	s_cbranch_execz .LBB43_1
; %bb.49:                               ;   in Loop: Header=BB43_2 Depth=1
	ds_read_u8 v44, v40 offset:1
	s_waitcnt lgkmcnt(1)
	v_add_u32_e32 v42, 1, v40
	v_mov_b32_e32 v43, v40
	v_mov_b32_e32 v41, v37
	;; [unrolled: 1-line block ×4, first 2 shown]
	s_branch .LBB43_1
.LBB43_50:
	s_add_u32 s0, s18, s20
	s_addc_u32 s1, s19, 0
	v_mov_b32_e32 v1, s1
	v_add_co_u32_e32 v0, vcc, s0, v0
	s_waitcnt lgkmcnt(1)
	v_add_u16_e32 v2, v38, v35
	v_addc_co_u32_e32 v1, vcc, 0, v1, vcc
	s_waitcnt lgkmcnt(0)
	v_add_u16_e32 v3, v37, v36
	global_store_byte v[0:1], v2, off
	global_store_byte v[0:1], v3, off offset:64
	s_endpgm
	.section	.rodata,"a",@progbits
	.p2align	6, 0x0
	.amdhsa_kernel _Z17sort_pairs_kernelIaLj64ELj2EN10test_utils4lessELj10EEvPKT_PS2_T2_
		.amdhsa_group_segment_fixed_size 129
		.amdhsa_private_segment_fixed_size 0
		.amdhsa_kernarg_size 20
		.amdhsa_user_sgpr_count 6
		.amdhsa_user_sgpr_private_segment_buffer 1
		.amdhsa_user_sgpr_dispatch_ptr 0
		.amdhsa_user_sgpr_queue_ptr 0
		.amdhsa_user_sgpr_kernarg_segment_ptr 1
		.amdhsa_user_sgpr_dispatch_id 0
		.amdhsa_user_sgpr_flat_scratch_init 0
		.amdhsa_user_sgpr_private_segment_size 0
		.amdhsa_uses_dynamic_stack 0
		.amdhsa_system_sgpr_private_segment_wavefront_offset 0
		.amdhsa_system_sgpr_workgroup_id_x 1
		.amdhsa_system_sgpr_workgroup_id_y 0
		.amdhsa_system_sgpr_workgroup_id_z 0
		.amdhsa_system_sgpr_workgroup_info 0
		.amdhsa_system_vgpr_workitem_id 0
		.amdhsa_next_free_vgpr 46
		.amdhsa_next_free_sgpr 24
		.amdhsa_reserve_vcc 1
		.amdhsa_reserve_flat_scratch 0
		.amdhsa_float_round_mode_32 0
		.amdhsa_float_round_mode_16_64 0
		.amdhsa_float_denorm_mode_32 3
		.amdhsa_float_denorm_mode_16_64 3
		.amdhsa_dx10_clamp 1
		.amdhsa_ieee_mode 1
		.amdhsa_fp16_overflow 0
		.amdhsa_exception_fp_ieee_invalid_op 0
		.amdhsa_exception_fp_denorm_src 0
		.amdhsa_exception_fp_ieee_div_zero 0
		.amdhsa_exception_fp_ieee_overflow 0
		.amdhsa_exception_fp_ieee_underflow 0
		.amdhsa_exception_fp_ieee_inexact 0
		.amdhsa_exception_int_div_zero 0
	.end_amdhsa_kernel
	.section	.text._Z17sort_pairs_kernelIaLj64ELj2EN10test_utils4lessELj10EEvPKT_PS2_T2_,"axG",@progbits,_Z17sort_pairs_kernelIaLj64ELj2EN10test_utils4lessELj10EEvPKT_PS2_T2_,comdat
.Lfunc_end43:
	.size	_Z17sort_pairs_kernelIaLj64ELj2EN10test_utils4lessELj10EEvPKT_PS2_T2_, .Lfunc_end43-_Z17sort_pairs_kernelIaLj64ELj2EN10test_utils4lessELj10EEvPKT_PS2_T2_
                                        ; -- End function
	.set _Z17sort_pairs_kernelIaLj64ELj2EN10test_utils4lessELj10EEvPKT_PS2_T2_.num_vgpr, 46
	.set _Z17sort_pairs_kernelIaLj64ELj2EN10test_utils4lessELj10EEvPKT_PS2_T2_.num_agpr, 0
	.set _Z17sort_pairs_kernelIaLj64ELj2EN10test_utils4lessELj10EEvPKT_PS2_T2_.numbered_sgpr, 24
	.set _Z17sort_pairs_kernelIaLj64ELj2EN10test_utils4lessELj10EEvPKT_PS2_T2_.num_named_barrier, 0
	.set _Z17sort_pairs_kernelIaLj64ELj2EN10test_utils4lessELj10EEvPKT_PS2_T2_.private_seg_size, 0
	.set _Z17sort_pairs_kernelIaLj64ELj2EN10test_utils4lessELj10EEvPKT_PS2_T2_.uses_vcc, 1
	.set _Z17sort_pairs_kernelIaLj64ELj2EN10test_utils4lessELj10EEvPKT_PS2_T2_.uses_flat_scratch, 0
	.set _Z17sort_pairs_kernelIaLj64ELj2EN10test_utils4lessELj10EEvPKT_PS2_T2_.has_dyn_sized_stack, 0
	.set _Z17sort_pairs_kernelIaLj64ELj2EN10test_utils4lessELj10EEvPKT_PS2_T2_.has_recursion, 0
	.set _Z17sort_pairs_kernelIaLj64ELj2EN10test_utils4lessELj10EEvPKT_PS2_T2_.has_indirect_call, 0
	.section	.AMDGPU.csdata,"",@progbits
; Kernel info:
; codeLenInByte = 3004
; TotalNumSgprs: 28
; NumVgprs: 46
; ScratchSize: 0
; MemoryBound: 0
; FloatMode: 240
; IeeeMode: 1
; LDSByteSize: 129 bytes/workgroup (compile time only)
; SGPRBlocks: 3
; VGPRBlocks: 11
; NumSGPRsForWavesPerEU: 28
; NumVGPRsForWavesPerEU: 46
; Occupancy: 5
; WaveLimiterHint : 0
; COMPUTE_PGM_RSRC2:SCRATCH_EN: 0
; COMPUTE_PGM_RSRC2:USER_SGPR: 6
; COMPUTE_PGM_RSRC2:TRAP_HANDLER: 0
; COMPUTE_PGM_RSRC2:TGID_X_EN: 1
; COMPUTE_PGM_RSRC2:TGID_Y_EN: 0
; COMPUTE_PGM_RSRC2:TGID_Z_EN: 0
; COMPUTE_PGM_RSRC2:TIDIG_COMP_CNT: 0
	.section	.text._Z16sort_keys_kernelIaLj64ELj3EN10test_utils4lessELj10EEvPKT_PS2_T2_,"axG",@progbits,_Z16sort_keys_kernelIaLj64ELj3EN10test_utils4lessELj10EEvPKT_PS2_T2_,comdat
	.protected	_Z16sort_keys_kernelIaLj64ELj3EN10test_utils4lessELj10EEvPKT_PS2_T2_ ; -- Begin function _Z16sort_keys_kernelIaLj64ELj3EN10test_utils4lessELj10EEvPKT_PS2_T2_
	.globl	_Z16sort_keys_kernelIaLj64ELj3EN10test_utils4lessELj10EEvPKT_PS2_T2_
	.p2align	8
	.type	_Z16sort_keys_kernelIaLj64ELj3EN10test_utils4lessELj10EEvPKT_PS2_T2_,@function
_Z16sort_keys_kernelIaLj64ELj3EN10test_utils4lessELj10EEvPKT_PS2_T2_: ; @_Z16sort_keys_kernelIaLj64ELj3EN10test_utils4lessELj10EEvPKT_PS2_T2_
; %bb.0:
	s_load_dwordx4 s[16:19], s[4:5], 0x0
	s_mul_i32 s20, s6, 0xc0
	v_and_b32_e32 v1, 62, v0
	v_and_b32_e32 v2, 1, v0
	v_and_b32_e32 v3, 60, v0
	s_waitcnt lgkmcnt(0)
	s_add_u32 s0, s16, s20
	s_addc_u32 s1, s17, 0
	global_load_ubyte v26, v0, s[0:1] offset:64
	global_load_ubyte v27, v0, s[0:1] offset:128
	global_load_ubyte v28, v0, s[0:1]
	v_and_b32_e32 v4, 56, v0
	v_and_b32_e32 v5, 48, v0
	;; [unrolled: 1-line block ×3, first 2 shown]
	v_mul_u32_u24_e32 v7, 3, v1
	v_cmp_eq_u32_e32 vcc, 1, v2
	v_mul_u32_u24_e32 v2, 3, v3
	v_mul_u32_u24_e32 v3, 3, v4
	;; [unrolled: 1-line block ×4, first 2 shown]
	v_min_u32_e32 v16, 0xbd, v7
	v_min_u32_e32 v8, 0xba, v7
	;; [unrolled: 1-line block ×15, first 2 shown]
	v_add_u32_e32 v6, 3, v16
	v_add_u32_e32 v7, 6, v8
	v_and_b32_e32 v29, 3, v0
	v_and_b32_e32 v30, 7, v0
	;; [unrolled: 1-line block ×4, first 2 shown]
	v_cndmask_b32_e64 v24, 0, 3, vcc
	v_add_u32_e32 v8, 6, v17
	v_add_u32_e32 v9, 12, v9
	;; [unrolled: 1-line block ×8, first 2 shown]
	v_sub_u32_e32 v39, v7, v6
	s_mov_b32 s2, 0xc0c0004
	v_mul_u32_u24_e32 v25, 3, v29
	v_mul_u32_u24_e32 v31, 3, v30
	;; [unrolled: 1-line block ×4, first 2 shown]
	v_sub_u32_e32 v40, v9, v8
	v_sub_u32_e32 v42, v11, v10
	;; [unrolled: 1-line block ×7, first 2 shown]
	v_cmp_ge_i32_e32 vcc, v24, v39
	v_add_u32_e32 v16, v16, v24
	v_sub_u32_e32 v19, v8, v1
	v_sub_u32_e32 v21, v13, v3
	;; [unrolled: 1-line block ×3, first 2 shown]
	v_add_u32_e32 v18, v6, v24
	v_sub_u32_e32 v45, v25, v40
	v_sub_u32_e32 v46, v31, v42
	v_min_i32_e32 v20, v31, v20
	v_sub_u32_e32 v47, v33, v43
	v_sub_u32_e32 v48, v34, v44
	v_min_i32_e32 v23, v24, v23
	v_cndmask_b32_e32 v24, 0, v41, vcc
	v_cmp_ge_i32_e32 vcc, v25, v40
	v_cmp_ge_i32_e64 s[4:5], v33, v43
	v_cmp_ge_i32_e64 s[6:7], v34, v44
	v_mad_u32_u24 v17, v29, 3, v17
	v_min_i32_e32 v19, v25, v19
	v_min_i32_e32 v21, v33, v21
	;; [unrolled: 1-line block ×3, first 2 shown]
	v_cndmask_b32_e32 v25, 0, v45, vcc
	v_cndmask_b32_e64 v33, 0, v48, s[6:7]
	v_mad_u32_u24 v34, v35, 3, v38
	s_movk_i32 s16, 0xc0
	s_mov_b32 s17, 0
	v_cmp_lt_i32_e32 vcc, v24, v23
	v_cmp_lt_i32_e64 s[0:1], v25, v19
	s_waitcnt vmcnt(0)
	v_perm_b32 v26, v28, v26, s2
	v_cmp_ge_i32_e64 s[2:3], v31, v42
	v_mad_u32_u24 v28, v30, 3, v36
	v_mad_u32_u24 v31, v32, 3, v37
	v_mul_u32_u24_e32 v36, 3, v0
	v_mov_b32_e32 v37, 0x60
	v_lshl_or_b32 v41, v27, 16, v26
	v_mad_u32_u24 v26, v29, 3, v8
	v_cndmask_b32_e64 v27, 0, v46, s[2:3]
	v_mad_u32_u24 v29, v30, 3, v10
	v_cndmask_b32_e64 v30, 0, v47, s[4:5]
	v_sub_u32_e64 v38, v36, v37 clamp
	v_min_i32_e32 v39, 0x60, v36
	v_cmp_lt_i32_e64 s[2:3], v27, v20
	v_cmp_lt_i32_e64 s[4:5], v30, v21
	v_mad_u32_u24 v32, v32, 3, v13
	v_cmp_lt_i32_e64 s[6:7], v33, v22
	v_mad_u32_u24 v35, v35, 3, v15
	v_cmp_lt_i32_e64 s[8:9], v38, v39
	s_mov_b32 s21, 0x7060405
	s_mov_b32 s22, 0x7000604
	s_mov_b32 s23, 0xffff0000
	v_mad_u32_u24 v40, v0, 3, v37
	s_branch .LBB44_2
.LBB44_1:                               ;   in Loop: Header=BB44_2 Depth=1
	s_or_b64 exec, exec, s[14:15]
	v_cndmask_b32_e64 v44, v44, v45, s[12:13]
	v_cmp_ge_i32_e64 s[12:13], v47, v37
	s_waitcnt lgkmcnt(0)
	v_cmp_lt_i16_sdwa s[14:15], sext(v49), sext(v42) src0_sel:BYTE_0 src1_sel:BYTE_0
	v_cndmask_b32_e64 v43, v41, v43, s[10:11]
	v_cmp_gt_i32_e64 s[10:11], s16, v46
	s_or_b64 s[12:13], s[12:13], s[14:15]
	s_and_b64 s[10:11], s[10:11], s[12:13]
	v_cndmask_b32_e64 v42, v42, v49, s[10:11]
	v_lshlrev_b16_e32 v41, 8, v44
	v_and_b32_e32 v45, 0xff, v42
	v_or_b32_sdwa v41, v43, v41 dst_sel:DWORD dst_unused:UNUSED_PAD src0_sel:BYTE_0 src1_sel:DWORD
	v_lshlrev_b32_e32 v45, 16, v45
	s_add_i32 s17, s17, 1
	s_cmp_eq_u32 s17, 10
	v_or_b32_sdwa v41, v41, v45 dst_sel:DWORD dst_unused:UNUSED_PAD src0_sel:WORD_0 src1_sel:DWORD
	s_cbranch_scc1 .LBB44_74
.LBB44_2:                               ; =>This Loop Header: Depth=1
                                        ;     Child Loop BB44_4 Depth 2
                                        ;     Child Loop BB44_16 Depth 2
	;; [unrolled: 1-line block ×6, first 2 shown]
	v_lshrrev_b32_e32 v43, 8, v41
	v_perm_b32 v42, v41, v41, s21
	v_cmp_lt_i16_sdwa s[10:11], sext(v43), sext(v41) src0_sel:BYTE_0 src1_sel:BYTE_0
	v_cndmask_b32_e64 v42, v41, v42, s[10:11]
	v_lshrrev_b32_e32 v44, 16, v42
	v_min_i16_sdwa v45, sext(v43), sext(v41) dst_sel:DWORD dst_unused:UNUSED_PAD src0_sel:BYTE_0 src1_sel:BYTE_0
	v_max_i16_sdwa v41, sext(v43), sext(v41) dst_sel:DWORD dst_unused:UNUSED_PAD src0_sel:BYTE_0 src1_sel:BYTE_0
	v_perm_b32 v43, v42, v41, s22
	v_cmp_lt_i16_sdwa s[10:11], sext(v44), v41 src0_sel:BYTE_0 src1_sel:DWORD
	v_cndmask_b32_e64 v42, v42, v43, s[10:11]
	v_min_i16_sdwa v41, sext(v44), v41 dst_sel:DWORD dst_unused:UNUSED_PAD src0_sel:BYTE_0 src1_sel:DWORD
	v_lshlrev_b16_e32 v43, 8, v45
	v_or_b32_sdwa v41, v41, v43 dst_sel:DWORD dst_unused:UNUSED_PAD src0_sel:BYTE_0 src1_sel:DWORD
	v_and_b32_e32 v41, 0xffff, v41
	v_and_or_b32 v41, v42, s23, v41
	v_cmp_lt_i16_sdwa s[10:11], sext(v44), v45 src0_sel:BYTE_0 src1_sel:DWORD
	v_cndmask_b32_e64 v41, v42, v41, s[10:11]
	v_lshrrev_b32_e32 v42, 8, v41
	; wave barrier
	ds_write_b8 v36, v41
	ds_write_b8 v36, v42 offset:1
	ds_write_b8_d16_hi v36, v41 offset:2
	v_mov_b32_e32 v41, v24
	s_waitcnt lgkmcnt(0)
	; wave barrier
	s_and_saveexec_b64 s[12:13], vcc
	s_cbranch_execz .LBB44_6
; %bb.3:                                ;   in Loop: Header=BB44_2 Depth=1
	s_mov_b64 s[14:15], 0
	v_mov_b32_e32 v41, v24
	v_mov_b32_e32 v42, v23
.LBB44_4:                               ;   Parent Loop BB44_2 Depth=1
                                        ; =>  This Inner Loop Header: Depth=2
	v_sub_u32_e32 v43, v42, v41
	v_lshrrev_b32_e32 v43, 1, v43
	v_add_u32_e32 v43, v43, v41
	v_add_u32_e32 v44, v5, v43
	v_xad_u32 v45, v43, -1, v16
	ds_read_i8 v44, v44
	ds_read_i8 v45, v45 offset:3
	v_add_u32_e32 v46, 1, v43
	s_waitcnt lgkmcnt(0)
	v_cmp_lt_i16_e64 s[10:11], v45, v44
	v_cndmask_b32_e64 v42, v42, v43, s[10:11]
	v_cndmask_b32_e64 v41, v46, v41, s[10:11]
	v_cmp_ge_i32_e64 s[10:11], v41, v42
	s_or_b64 s[14:15], s[10:11], s[14:15]
	s_andn2_b64 exec, exec, s[14:15]
	s_cbranch_execnz .LBB44_4
; %bb.5:                                ;   in Loop: Header=BB44_2 Depth=1
	s_or_b64 exec, exec, s[14:15]
.LBB44_6:                               ;   in Loop: Header=BB44_2 Depth=1
	s_or_b64 exec, exec, s[12:13]
	v_add_u32_e32 v44, v41, v5
	v_sub_u32_e32 v47, v16, v41
	ds_read_u8 v42, v44
	ds_read_u8 v43, v47 offset:3
	v_sub_u32_e32 v46, v18, v41
	v_cmp_le_i32_e64 s[12:13], v6, v44
	v_cmp_gt_i32_e64 s[10:11], v7, v46
	s_waitcnt lgkmcnt(1)
	v_bfe_i32 v41, v42, 0, 8
	s_waitcnt lgkmcnt(0)
	v_bfe_i32 v42, v43, 0, 8
	v_cmp_lt_i16_e64 s[14:15], v42, v41
	s_or_b64 s[12:13], s[12:13], s[14:15]
	s_and_b64 s[10:11], s[10:11], s[12:13]
	s_xor_b64 s[12:13], s[10:11], -1
                                        ; implicit-def: $vgpr43
	s_and_saveexec_b64 s[14:15], s[12:13]
	s_xor_b64 s[12:13], exec, s[14:15]
; %bb.7:                                ;   in Loop: Header=BB44_2 Depth=1
	ds_read_u8 v43, v44 offset:1
                                        ; implicit-def: $vgpr47
; %bb.8:                                ;   in Loop: Header=BB44_2 Depth=1
	s_or_saveexec_b64 s[12:13], s[12:13]
	v_mov_b32_e32 v45, v42
	s_xor_b64 exec, exec, s[12:13]
	s_cbranch_execz .LBB44_10
; %bb.9:                                ;   in Loop: Header=BB44_2 Depth=1
	ds_read_u8 v45, v47 offset:4
	s_waitcnt lgkmcnt(1)
	v_mov_b32_e32 v43, v41
.LBB44_10:                              ;   in Loop: Header=BB44_2 Depth=1
	s_or_b64 exec, exec, s[12:13]
	v_add_u32_e32 v48, 1, v44
	v_add_u32_e32 v47, 1, v46
	v_cndmask_b32_e64 v44, v48, v44, s[10:11]
	v_cndmask_b32_e64 v46, v46, v47, s[10:11]
	v_cmp_ge_i32_e64 s[14:15], v44, v6
	s_waitcnt lgkmcnt(0)
	v_cmp_lt_i16_sdwa s[24:25], sext(v45), sext(v43) src0_sel:BYTE_0 src1_sel:BYTE_0
	v_cmp_lt_i32_e64 s[12:13], v46, v7
	s_or_b64 s[14:15], s[14:15], s[24:25]
	s_and_b64 s[12:13], s[12:13], s[14:15]
	s_xor_b64 s[14:15], s[12:13], -1
                                        ; implicit-def: $vgpr47
	s_and_saveexec_b64 s[24:25], s[14:15]
	s_xor_b64 s[14:15], exec, s[24:25]
; %bb.11:                               ;   in Loop: Header=BB44_2 Depth=1
	ds_read_u8 v47, v44 offset:1
; %bb.12:                               ;   in Loop: Header=BB44_2 Depth=1
	s_or_saveexec_b64 s[14:15], s[14:15]
	v_mov_b32_e32 v48, v45
	s_xor_b64 exec, exec, s[14:15]
	s_cbranch_execz .LBB44_14
; %bb.13:                               ;   in Loop: Header=BB44_2 Depth=1
	ds_read_u8 v48, v46 offset:1
	s_waitcnt lgkmcnt(1)
	v_mov_b32_e32 v47, v43
.LBB44_14:                              ;   in Loop: Header=BB44_2 Depth=1
	s_or_b64 exec, exec, s[14:15]
	v_add_u32_e32 v49, 1, v44
	v_cndmask_b32_e64 v43, v43, v45, s[12:13]
	v_add_u32_e32 v45, 1, v46
	v_cndmask_b32_e64 v44, v49, v44, s[12:13]
	v_cndmask_b32_e64 v45, v46, v45, s[12:13]
	v_cmp_ge_i32_e64 s[12:13], v44, v6
	s_waitcnt lgkmcnt(0)
	v_cmp_lt_i16_sdwa s[14:15], sext(v48), sext(v47) src0_sel:BYTE_0 src1_sel:BYTE_0
	v_cndmask_b32_e64 v41, v41, v42, s[10:11]
	v_cmp_lt_i32_e64 s[10:11], v45, v7
	s_or_b64 s[12:13], s[12:13], s[14:15]
	s_and_b64 s[10:11], s[10:11], s[12:13]
	v_cndmask_b32_e64 v42, v47, v48, s[10:11]
	; wave barrier
	ds_write_b8 v36, v41
	ds_write_b8 v36, v43 offset:1
	ds_write_b8 v36, v42 offset:2
	v_mov_b32_e32 v41, v25
	s_waitcnt lgkmcnt(0)
	; wave barrier
	s_and_saveexec_b64 s[12:13], s[0:1]
	s_cbranch_execz .LBB44_18
; %bb.15:                               ;   in Loop: Header=BB44_2 Depth=1
	s_mov_b64 s[14:15], 0
	v_mov_b32_e32 v41, v25
	v_mov_b32_e32 v42, v19
.LBB44_16:                              ;   Parent Loop BB44_2 Depth=1
                                        ; =>  This Inner Loop Header: Depth=2
	v_sub_u32_e32 v43, v42, v41
	v_lshrrev_b32_e32 v43, 1, v43
	v_add_u32_e32 v43, v43, v41
	v_add_u32_e32 v44, v1, v43
	v_xad_u32 v45, v43, -1, v17
	ds_read_i8 v44, v44
	ds_read_i8 v45, v45 offset:6
	v_add_u32_e32 v46, 1, v43
	s_waitcnt lgkmcnt(0)
	v_cmp_lt_i16_e64 s[10:11], v45, v44
	v_cndmask_b32_e64 v42, v42, v43, s[10:11]
	v_cndmask_b32_e64 v41, v46, v41, s[10:11]
	v_cmp_ge_i32_e64 s[10:11], v41, v42
	s_or_b64 s[14:15], s[10:11], s[14:15]
	s_andn2_b64 exec, exec, s[14:15]
	s_cbranch_execnz .LBB44_16
; %bb.17:                               ;   in Loop: Header=BB44_2 Depth=1
	s_or_b64 exec, exec, s[14:15]
.LBB44_18:                              ;   in Loop: Header=BB44_2 Depth=1
	s_or_b64 exec, exec, s[12:13]
	v_add_u32_e32 v44, v41, v1
	v_sub_u32_e32 v47, v17, v41
	ds_read_u8 v42, v44
	ds_read_u8 v43, v47 offset:6
	v_sub_u32_e32 v46, v26, v41
	v_cmp_le_i32_e64 s[12:13], v8, v44
	v_cmp_gt_i32_e64 s[10:11], v9, v46
	s_waitcnt lgkmcnt(1)
	v_bfe_i32 v41, v42, 0, 8
	s_waitcnt lgkmcnt(0)
	v_bfe_i32 v42, v43, 0, 8
	v_cmp_lt_i16_e64 s[14:15], v42, v41
	s_or_b64 s[12:13], s[12:13], s[14:15]
	s_and_b64 s[10:11], s[10:11], s[12:13]
	s_xor_b64 s[12:13], s[10:11], -1
                                        ; implicit-def: $vgpr43
	s_and_saveexec_b64 s[14:15], s[12:13]
	s_xor_b64 s[12:13], exec, s[14:15]
; %bb.19:                               ;   in Loop: Header=BB44_2 Depth=1
	ds_read_u8 v43, v44 offset:1
                                        ; implicit-def: $vgpr47
; %bb.20:                               ;   in Loop: Header=BB44_2 Depth=1
	s_or_saveexec_b64 s[12:13], s[12:13]
	v_mov_b32_e32 v45, v42
	s_xor_b64 exec, exec, s[12:13]
	s_cbranch_execz .LBB44_22
; %bb.21:                               ;   in Loop: Header=BB44_2 Depth=1
	ds_read_u8 v45, v47 offset:7
	s_waitcnt lgkmcnt(1)
	v_mov_b32_e32 v43, v41
.LBB44_22:                              ;   in Loop: Header=BB44_2 Depth=1
	s_or_b64 exec, exec, s[12:13]
	v_add_u32_e32 v48, 1, v44
	v_add_u32_e32 v47, 1, v46
	v_cndmask_b32_e64 v44, v48, v44, s[10:11]
	v_cndmask_b32_e64 v46, v46, v47, s[10:11]
	v_cmp_ge_i32_e64 s[14:15], v44, v8
	s_waitcnt lgkmcnt(0)
	v_cmp_lt_i16_sdwa s[24:25], sext(v45), sext(v43) src0_sel:BYTE_0 src1_sel:BYTE_0
	v_cmp_lt_i32_e64 s[12:13], v46, v9
	s_or_b64 s[14:15], s[14:15], s[24:25]
	s_and_b64 s[12:13], s[12:13], s[14:15]
	s_xor_b64 s[14:15], s[12:13], -1
                                        ; implicit-def: $vgpr47
	s_and_saveexec_b64 s[24:25], s[14:15]
	s_xor_b64 s[14:15], exec, s[24:25]
; %bb.23:                               ;   in Loop: Header=BB44_2 Depth=1
	ds_read_u8 v47, v44 offset:1
; %bb.24:                               ;   in Loop: Header=BB44_2 Depth=1
	s_or_saveexec_b64 s[14:15], s[14:15]
	v_mov_b32_e32 v48, v45
	s_xor_b64 exec, exec, s[14:15]
	s_cbranch_execz .LBB44_26
; %bb.25:                               ;   in Loop: Header=BB44_2 Depth=1
	ds_read_u8 v48, v46 offset:1
	s_waitcnt lgkmcnt(1)
	v_mov_b32_e32 v47, v43
.LBB44_26:                              ;   in Loop: Header=BB44_2 Depth=1
	s_or_b64 exec, exec, s[14:15]
	v_add_u32_e32 v49, 1, v44
	v_cndmask_b32_e64 v43, v43, v45, s[12:13]
	v_add_u32_e32 v45, 1, v46
	v_cndmask_b32_e64 v44, v49, v44, s[12:13]
	v_cndmask_b32_e64 v45, v46, v45, s[12:13]
	v_cmp_ge_i32_e64 s[12:13], v44, v8
	s_waitcnt lgkmcnt(0)
	v_cmp_lt_i16_sdwa s[14:15], sext(v48), sext(v47) src0_sel:BYTE_0 src1_sel:BYTE_0
	v_cndmask_b32_e64 v41, v41, v42, s[10:11]
	v_cmp_lt_i32_e64 s[10:11], v45, v9
	s_or_b64 s[12:13], s[12:13], s[14:15]
	s_and_b64 s[10:11], s[10:11], s[12:13]
	v_cndmask_b32_e64 v42, v47, v48, s[10:11]
	; wave barrier
	ds_write_b8 v36, v41
	ds_write_b8 v36, v43 offset:1
	ds_write_b8 v36, v42 offset:2
	v_mov_b32_e32 v41, v27
	s_waitcnt lgkmcnt(0)
	; wave barrier
	s_and_saveexec_b64 s[12:13], s[2:3]
	s_cbranch_execz .LBB44_30
; %bb.27:                               ;   in Loop: Header=BB44_2 Depth=1
	s_mov_b64 s[14:15], 0
	v_mov_b32_e32 v41, v27
	v_mov_b32_e32 v42, v20
.LBB44_28:                              ;   Parent Loop BB44_2 Depth=1
                                        ; =>  This Inner Loop Header: Depth=2
	v_sub_u32_e32 v43, v42, v41
	v_lshrrev_b32_e32 v43, 1, v43
	v_add_u32_e32 v43, v43, v41
	v_add_u32_e32 v44, v2, v43
	v_xad_u32 v45, v43, -1, v28
	ds_read_i8 v44, v44
	ds_read_i8 v45, v45 offset:12
	v_add_u32_e32 v46, 1, v43
	s_waitcnt lgkmcnt(0)
	v_cmp_lt_i16_e64 s[10:11], v45, v44
	v_cndmask_b32_e64 v42, v42, v43, s[10:11]
	v_cndmask_b32_e64 v41, v46, v41, s[10:11]
	v_cmp_ge_i32_e64 s[10:11], v41, v42
	s_or_b64 s[14:15], s[10:11], s[14:15]
	s_andn2_b64 exec, exec, s[14:15]
	s_cbranch_execnz .LBB44_28
; %bb.29:                               ;   in Loop: Header=BB44_2 Depth=1
	s_or_b64 exec, exec, s[14:15]
.LBB44_30:                              ;   in Loop: Header=BB44_2 Depth=1
	s_or_b64 exec, exec, s[12:13]
	v_add_u32_e32 v44, v41, v2
	v_sub_u32_e32 v47, v28, v41
	ds_read_u8 v42, v44
	ds_read_u8 v43, v47 offset:12
	v_sub_u32_e32 v46, v29, v41
	v_cmp_le_i32_e64 s[12:13], v10, v44
	v_cmp_gt_i32_e64 s[10:11], v11, v46
	s_waitcnt lgkmcnt(1)
	v_bfe_i32 v41, v42, 0, 8
	s_waitcnt lgkmcnt(0)
	v_bfe_i32 v42, v43, 0, 8
	v_cmp_lt_i16_e64 s[14:15], v42, v41
	s_or_b64 s[12:13], s[12:13], s[14:15]
	s_and_b64 s[10:11], s[10:11], s[12:13]
	s_xor_b64 s[12:13], s[10:11], -1
                                        ; implicit-def: $vgpr43
	s_and_saveexec_b64 s[14:15], s[12:13]
	s_xor_b64 s[12:13], exec, s[14:15]
; %bb.31:                               ;   in Loop: Header=BB44_2 Depth=1
	ds_read_u8 v43, v44 offset:1
                                        ; implicit-def: $vgpr47
; %bb.32:                               ;   in Loop: Header=BB44_2 Depth=1
	s_or_saveexec_b64 s[12:13], s[12:13]
	v_mov_b32_e32 v45, v42
	s_xor_b64 exec, exec, s[12:13]
	s_cbranch_execz .LBB44_34
; %bb.33:                               ;   in Loop: Header=BB44_2 Depth=1
	ds_read_u8 v45, v47 offset:13
	s_waitcnt lgkmcnt(1)
	v_mov_b32_e32 v43, v41
.LBB44_34:                              ;   in Loop: Header=BB44_2 Depth=1
	s_or_b64 exec, exec, s[12:13]
	v_add_u32_e32 v48, 1, v44
	v_add_u32_e32 v47, 1, v46
	v_cndmask_b32_e64 v44, v48, v44, s[10:11]
	v_cndmask_b32_e64 v46, v46, v47, s[10:11]
	v_cmp_ge_i32_e64 s[14:15], v44, v10
	s_waitcnt lgkmcnt(0)
	v_cmp_lt_i16_sdwa s[24:25], sext(v45), sext(v43) src0_sel:BYTE_0 src1_sel:BYTE_0
	v_cmp_lt_i32_e64 s[12:13], v46, v11
	s_or_b64 s[14:15], s[14:15], s[24:25]
	s_and_b64 s[12:13], s[12:13], s[14:15]
	s_xor_b64 s[14:15], s[12:13], -1
                                        ; implicit-def: $vgpr47
	s_and_saveexec_b64 s[24:25], s[14:15]
	s_xor_b64 s[14:15], exec, s[24:25]
; %bb.35:                               ;   in Loop: Header=BB44_2 Depth=1
	ds_read_u8 v47, v44 offset:1
; %bb.36:                               ;   in Loop: Header=BB44_2 Depth=1
	s_or_saveexec_b64 s[14:15], s[14:15]
	v_mov_b32_e32 v48, v45
	s_xor_b64 exec, exec, s[14:15]
	s_cbranch_execz .LBB44_38
; %bb.37:                               ;   in Loop: Header=BB44_2 Depth=1
	ds_read_u8 v48, v46 offset:1
	s_waitcnt lgkmcnt(1)
	v_mov_b32_e32 v47, v43
.LBB44_38:                              ;   in Loop: Header=BB44_2 Depth=1
	s_or_b64 exec, exec, s[14:15]
	v_add_u32_e32 v49, 1, v44
	v_cndmask_b32_e64 v43, v43, v45, s[12:13]
	v_add_u32_e32 v45, 1, v46
	v_cndmask_b32_e64 v44, v49, v44, s[12:13]
	v_cndmask_b32_e64 v45, v46, v45, s[12:13]
	v_cmp_ge_i32_e64 s[12:13], v44, v10
	s_waitcnt lgkmcnt(0)
	v_cmp_lt_i16_sdwa s[14:15], sext(v48), sext(v47) src0_sel:BYTE_0 src1_sel:BYTE_0
	v_cndmask_b32_e64 v41, v41, v42, s[10:11]
	v_cmp_lt_i32_e64 s[10:11], v45, v11
	s_or_b64 s[12:13], s[12:13], s[14:15]
	s_and_b64 s[10:11], s[10:11], s[12:13]
	v_cndmask_b32_e64 v42, v47, v48, s[10:11]
	; wave barrier
	ds_write_b8 v36, v41
	ds_write_b8 v36, v43 offset:1
	ds_write_b8 v36, v42 offset:2
	v_mov_b32_e32 v41, v30
	s_waitcnt lgkmcnt(0)
	; wave barrier
	s_and_saveexec_b64 s[12:13], s[4:5]
	s_cbranch_execz .LBB44_42
; %bb.39:                               ;   in Loop: Header=BB44_2 Depth=1
	s_mov_b64 s[14:15], 0
	v_mov_b32_e32 v41, v30
	v_mov_b32_e32 v42, v21
.LBB44_40:                              ;   Parent Loop BB44_2 Depth=1
                                        ; =>  This Inner Loop Header: Depth=2
	v_sub_u32_e32 v43, v42, v41
	v_lshrrev_b32_e32 v43, 1, v43
	v_add_u32_e32 v43, v43, v41
	v_add_u32_e32 v44, v3, v43
	v_xad_u32 v45, v43, -1, v31
	ds_read_i8 v44, v44
	ds_read_i8 v45, v45 offset:24
	v_add_u32_e32 v46, 1, v43
	s_waitcnt lgkmcnt(0)
	v_cmp_lt_i16_e64 s[10:11], v45, v44
	v_cndmask_b32_e64 v42, v42, v43, s[10:11]
	v_cndmask_b32_e64 v41, v46, v41, s[10:11]
	v_cmp_ge_i32_e64 s[10:11], v41, v42
	s_or_b64 s[14:15], s[10:11], s[14:15]
	s_andn2_b64 exec, exec, s[14:15]
	s_cbranch_execnz .LBB44_40
; %bb.41:                               ;   in Loop: Header=BB44_2 Depth=1
	s_or_b64 exec, exec, s[14:15]
.LBB44_42:                              ;   in Loop: Header=BB44_2 Depth=1
	s_or_b64 exec, exec, s[12:13]
	v_add_u32_e32 v44, v41, v3
	v_sub_u32_e32 v47, v31, v41
	ds_read_u8 v42, v44
	ds_read_u8 v43, v47 offset:24
	v_sub_u32_e32 v46, v32, v41
	v_cmp_le_i32_e64 s[12:13], v13, v44
	v_cmp_gt_i32_e64 s[10:11], v12, v46
	s_waitcnt lgkmcnt(1)
	v_bfe_i32 v41, v42, 0, 8
	s_waitcnt lgkmcnt(0)
	v_bfe_i32 v42, v43, 0, 8
	v_cmp_lt_i16_e64 s[14:15], v42, v41
	s_or_b64 s[12:13], s[12:13], s[14:15]
	s_and_b64 s[10:11], s[10:11], s[12:13]
	s_xor_b64 s[12:13], s[10:11], -1
                                        ; implicit-def: $vgpr43
	s_and_saveexec_b64 s[14:15], s[12:13]
	s_xor_b64 s[12:13], exec, s[14:15]
; %bb.43:                               ;   in Loop: Header=BB44_2 Depth=1
	ds_read_u8 v43, v44 offset:1
                                        ; implicit-def: $vgpr47
; %bb.44:                               ;   in Loop: Header=BB44_2 Depth=1
	s_or_saveexec_b64 s[12:13], s[12:13]
	v_mov_b32_e32 v45, v42
	s_xor_b64 exec, exec, s[12:13]
	s_cbranch_execz .LBB44_46
; %bb.45:                               ;   in Loop: Header=BB44_2 Depth=1
	ds_read_u8 v45, v47 offset:25
	s_waitcnt lgkmcnt(1)
	v_mov_b32_e32 v43, v41
.LBB44_46:                              ;   in Loop: Header=BB44_2 Depth=1
	s_or_b64 exec, exec, s[12:13]
	v_add_u32_e32 v48, 1, v44
	v_add_u32_e32 v47, 1, v46
	v_cndmask_b32_e64 v44, v48, v44, s[10:11]
	v_cndmask_b32_e64 v46, v46, v47, s[10:11]
	v_cmp_ge_i32_e64 s[14:15], v44, v13
	s_waitcnt lgkmcnt(0)
	v_cmp_lt_i16_sdwa s[24:25], sext(v45), sext(v43) src0_sel:BYTE_0 src1_sel:BYTE_0
	v_cmp_lt_i32_e64 s[12:13], v46, v12
	s_or_b64 s[14:15], s[14:15], s[24:25]
	s_and_b64 s[12:13], s[12:13], s[14:15]
	s_xor_b64 s[14:15], s[12:13], -1
                                        ; implicit-def: $vgpr47
	s_and_saveexec_b64 s[24:25], s[14:15]
	s_xor_b64 s[14:15], exec, s[24:25]
; %bb.47:                               ;   in Loop: Header=BB44_2 Depth=1
	ds_read_u8 v47, v44 offset:1
; %bb.48:                               ;   in Loop: Header=BB44_2 Depth=1
	s_or_saveexec_b64 s[14:15], s[14:15]
	v_mov_b32_e32 v48, v45
	s_xor_b64 exec, exec, s[14:15]
	s_cbranch_execz .LBB44_50
; %bb.49:                               ;   in Loop: Header=BB44_2 Depth=1
	ds_read_u8 v48, v46 offset:1
	s_waitcnt lgkmcnt(1)
	v_mov_b32_e32 v47, v43
.LBB44_50:                              ;   in Loop: Header=BB44_2 Depth=1
	s_or_b64 exec, exec, s[14:15]
	v_add_u32_e32 v49, 1, v44
	v_cndmask_b32_e64 v43, v43, v45, s[12:13]
	v_add_u32_e32 v45, 1, v46
	v_cndmask_b32_e64 v44, v49, v44, s[12:13]
	v_cndmask_b32_e64 v45, v46, v45, s[12:13]
	v_cmp_ge_i32_e64 s[12:13], v44, v13
	s_waitcnt lgkmcnt(0)
	v_cmp_lt_i16_sdwa s[14:15], sext(v48), sext(v47) src0_sel:BYTE_0 src1_sel:BYTE_0
	v_cndmask_b32_e64 v41, v41, v42, s[10:11]
	v_cmp_lt_i32_e64 s[10:11], v45, v12
	s_or_b64 s[12:13], s[12:13], s[14:15]
	s_and_b64 s[10:11], s[10:11], s[12:13]
	v_cndmask_b32_e64 v42, v47, v48, s[10:11]
	; wave barrier
	ds_write_b8 v36, v41
	ds_write_b8 v36, v43 offset:1
	ds_write_b8 v36, v42 offset:2
	v_mov_b32_e32 v41, v33
	s_waitcnt lgkmcnt(0)
	; wave barrier
	s_and_saveexec_b64 s[12:13], s[6:7]
	s_cbranch_execz .LBB44_54
; %bb.51:                               ;   in Loop: Header=BB44_2 Depth=1
	s_mov_b64 s[14:15], 0
	v_mov_b32_e32 v41, v33
	v_mov_b32_e32 v42, v22
.LBB44_52:                              ;   Parent Loop BB44_2 Depth=1
                                        ; =>  This Inner Loop Header: Depth=2
	v_sub_u32_e32 v43, v42, v41
	v_lshrrev_b32_e32 v43, 1, v43
	v_add_u32_e32 v43, v43, v41
	v_add_u32_e32 v44, v4, v43
	v_xad_u32 v45, v43, -1, v34
	ds_read_i8 v44, v44
	ds_read_i8 v45, v45 offset:48
	v_add_u32_e32 v46, 1, v43
	s_waitcnt lgkmcnt(0)
	v_cmp_lt_i16_e64 s[10:11], v45, v44
	v_cndmask_b32_e64 v42, v42, v43, s[10:11]
	v_cndmask_b32_e64 v41, v46, v41, s[10:11]
	v_cmp_ge_i32_e64 s[10:11], v41, v42
	s_or_b64 s[14:15], s[10:11], s[14:15]
	s_andn2_b64 exec, exec, s[14:15]
	s_cbranch_execnz .LBB44_52
; %bb.53:                               ;   in Loop: Header=BB44_2 Depth=1
	s_or_b64 exec, exec, s[14:15]
.LBB44_54:                              ;   in Loop: Header=BB44_2 Depth=1
	s_or_b64 exec, exec, s[12:13]
	v_add_u32_e32 v44, v41, v4
	v_sub_u32_e32 v47, v34, v41
	ds_read_u8 v42, v44
	ds_read_u8 v43, v47 offset:48
	v_sub_u32_e32 v46, v35, v41
	v_cmp_le_i32_e64 s[12:13], v15, v44
	v_cmp_gt_i32_e64 s[10:11], v14, v46
	s_waitcnt lgkmcnt(1)
	v_bfe_i32 v41, v42, 0, 8
	s_waitcnt lgkmcnt(0)
	v_bfe_i32 v42, v43, 0, 8
	v_cmp_lt_i16_e64 s[14:15], v42, v41
	s_or_b64 s[12:13], s[12:13], s[14:15]
	s_and_b64 s[10:11], s[10:11], s[12:13]
	s_xor_b64 s[12:13], s[10:11], -1
                                        ; implicit-def: $vgpr43
	s_and_saveexec_b64 s[14:15], s[12:13]
	s_xor_b64 s[12:13], exec, s[14:15]
; %bb.55:                               ;   in Loop: Header=BB44_2 Depth=1
	ds_read_u8 v43, v44 offset:1
                                        ; implicit-def: $vgpr47
; %bb.56:                               ;   in Loop: Header=BB44_2 Depth=1
	s_or_saveexec_b64 s[12:13], s[12:13]
	v_mov_b32_e32 v45, v42
	s_xor_b64 exec, exec, s[12:13]
	s_cbranch_execz .LBB44_58
; %bb.57:                               ;   in Loop: Header=BB44_2 Depth=1
	ds_read_u8 v45, v47 offset:49
	s_waitcnt lgkmcnt(1)
	v_mov_b32_e32 v43, v41
.LBB44_58:                              ;   in Loop: Header=BB44_2 Depth=1
	s_or_b64 exec, exec, s[12:13]
	v_add_u32_e32 v48, 1, v44
	v_add_u32_e32 v47, 1, v46
	v_cndmask_b32_e64 v44, v48, v44, s[10:11]
	v_cndmask_b32_e64 v46, v46, v47, s[10:11]
	v_cmp_ge_i32_e64 s[14:15], v44, v15
	s_waitcnt lgkmcnt(0)
	v_cmp_lt_i16_sdwa s[24:25], sext(v45), sext(v43) src0_sel:BYTE_0 src1_sel:BYTE_0
	v_cmp_lt_i32_e64 s[12:13], v46, v14
	s_or_b64 s[14:15], s[14:15], s[24:25]
	s_and_b64 s[12:13], s[12:13], s[14:15]
	s_xor_b64 s[14:15], s[12:13], -1
                                        ; implicit-def: $vgpr47
	s_and_saveexec_b64 s[24:25], s[14:15]
	s_xor_b64 s[14:15], exec, s[24:25]
; %bb.59:                               ;   in Loop: Header=BB44_2 Depth=1
	ds_read_u8 v47, v44 offset:1
; %bb.60:                               ;   in Loop: Header=BB44_2 Depth=1
	s_or_saveexec_b64 s[14:15], s[14:15]
	v_mov_b32_e32 v48, v45
	s_xor_b64 exec, exec, s[14:15]
	s_cbranch_execz .LBB44_62
; %bb.61:                               ;   in Loop: Header=BB44_2 Depth=1
	ds_read_u8 v48, v46 offset:1
	s_waitcnt lgkmcnt(1)
	v_mov_b32_e32 v47, v43
.LBB44_62:                              ;   in Loop: Header=BB44_2 Depth=1
	s_or_b64 exec, exec, s[14:15]
	v_add_u32_e32 v49, 1, v44
	v_cndmask_b32_e64 v43, v43, v45, s[12:13]
	v_add_u32_e32 v45, 1, v46
	v_cndmask_b32_e64 v44, v49, v44, s[12:13]
	v_cndmask_b32_e64 v45, v46, v45, s[12:13]
	v_cmp_ge_i32_e64 s[12:13], v44, v15
	s_waitcnt lgkmcnt(0)
	v_cmp_lt_i16_sdwa s[14:15], sext(v48), sext(v47) src0_sel:BYTE_0 src1_sel:BYTE_0
	v_cndmask_b32_e64 v41, v41, v42, s[10:11]
	v_cmp_lt_i32_e64 s[10:11], v45, v14
	s_or_b64 s[12:13], s[12:13], s[14:15]
	s_and_b64 s[10:11], s[10:11], s[12:13]
	v_cndmask_b32_e64 v42, v47, v48, s[10:11]
	; wave barrier
	ds_write_b8 v36, v41
	ds_write_b8 v36, v43 offset:1
	ds_write_b8 v36, v42 offset:2
	v_mov_b32_e32 v42, v38
	s_waitcnt lgkmcnt(0)
	; wave barrier
	s_and_saveexec_b64 s[12:13], s[8:9]
	s_cbranch_execz .LBB44_66
; %bb.63:                               ;   in Loop: Header=BB44_2 Depth=1
	s_mov_b64 s[14:15], 0
	v_mov_b32_e32 v42, v38
	v_mov_b32_e32 v41, v39
.LBB44_64:                              ;   Parent Loop BB44_2 Depth=1
                                        ; =>  This Inner Loop Header: Depth=2
	v_sub_u32_e32 v43, v41, v42
	v_lshrrev_b32_e32 v43, 1, v43
	v_add_u32_e32 v43, v43, v42
	v_xad_u32 v44, v43, -1, v36
	ds_read_i8 v45, v43
	ds_read_i8 v44, v44 offset:96
	v_add_u32_e32 v46, 1, v43
	s_waitcnt lgkmcnt(0)
	v_cmp_lt_i16_e64 s[10:11], v44, v45
	v_cndmask_b32_e64 v41, v41, v43, s[10:11]
	v_cndmask_b32_e64 v42, v46, v42, s[10:11]
	v_cmp_ge_i32_e64 s[10:11], v42, v41
	s_or_b64 s[14:15], s[10:11], s[14:15]
	s_andn2_b64 exec, exec, s[14:15]
	s_cbranch_execnz .LBB44_64
; %bb.65:                               ;   in Loop: Header=BB44_2 Depth=1
	s_or_b64 exec, exec, s[14:15]
.LBB44_66:                              ;   in Loop: Header=BB44_2 Depth=1
	s_or_b64 exec, exec, s[12:13]
	v_sub_u32_e32 v47, v36, v42
	ds_read_u8 v41, v42
	ds_read_u8 v43, v47 offset:96
	v_sub_u32_e32 v46, v40, v42
	v_cmp_le_i32_e64 s[12:13], v37, v42
	v_cmp_gt_i32_e64 s[10:11], s16, v46
	s_waitcnt lgkmcnt(1)
	v_bfe_i32 v41, v41, 0, 8
	s_waitcnt lgkmcnt(0)
	v_bfe_i32 v43, v43, 0, 8
	v_cmp_lt_i16_e64 s[14:15], v43, v41
	s_or_b64 s[12:13], s[12:13], s[14:15]
	s_and_b64 s[10:11], s[10:11], s[12:13]
	s_xor_b64 s[12:13], s[10:11], -1
                                        ; implicit-def: $vgpr44
	s_and_saveexec_b64 s[14:15], s[12:13]
	s_xor_b64 s[12:13], exec, s[14:15]
; %bb.67:                               ;   in Loop: Header=BB44_2 Depth=1
	ds_read_u8 v44, v42 offset:1
                                        ; implicit-def: $vgpr47
; %bb.68:                               ;   in Loop: Header=BB44_2 Depth=1
	s_or_saveexec_b64 s[12:13], s[12:13]
	v_mov_b32_e32 v45, v43
	s_xor_b64 exec, exec, s[12:13]
	s_cbranch_execz .LBB44_70
; %bb.69:                               ;   in Loop: Header=BB44_2 Depth=1
	ds_read_u8 v45, v47 offset:97
	s_waitcnt lgkmcnt(1)
	v_mov_b32_e32 v44, v41
.LBB44_70:                              ;   in Loop: Header=BB44_2 Depth=1
	s_or_b64 exec, exec, s[12:13]
	v_add_u32_e32 v48, 1, v42
	v_add_u32_e32 v47, 1, v46
	v_cndmask_b32_e64 v48, v48, v42, s[10:11]
	v_cndmask_b32_e64 v46, v46, v47, s[10:11]
	v_cmp_ge_i32_e64 s[14:15], v48, v37
	s_waitcnt lgkmcnt(0)
	v_cmp_lt_i16_sdwa s[24:25], sext(v45), sext(v44) src0_sel:BYTE_0 src1_sel:BYTE_0
	v_cmp_gt_i32_e64 s[12:13], s16, v46
	s_or_b64 s[14:15], s[14:15], s[24:25]
	s_and_b64 s[12:13], s[12:13], s[14:15]
	s_xor_b64 s[14:15], s[12:13], -1
                                        ; implicit-def: $vgpr42
                                        ; implicit-def: $vgpr47
	s_and_saveexec_b64 s[24:25], s[14:15]
	s_xor_b64 s[14:15], exec, s[24:25]
; %bb.71:                               ;   in Loop: Header=BB44_2 Depth=1
	ds_read_u8 v42, v48 offset:1
	v_add_u32_e32 v47, 1, v48
                                        ; implicit-def: $vgpr48
; %bb.72:                               ;   in Loop: Header=BB44_2 Depth=1
	s_or_saveexec_b64 s[14:15], s[14:15]
	v_mov_b32_e32 v49, v45
	s_xor_b64 exec, exec, s[14:15]
	s_cbranch_execz .LBB44_1
; %bb.73:                               ;   in Loop: Header=BB44_2 Depth=1
	ds_read_u8 v49, v46 offset:1
	v_add_u32_e32 v46, 1, v46
	v_mov_b32_e32 v47, v48
	s_waitcnt lgkmcnt(1)
	v_mov_b32_e32 v42, v44
	s_branch .LBB44_1
.LBB44_74:
	s_add_u32 s0, s18, s20
	s_addc_u32 s1, s19, 0
	v_mov_b32_e32 v1, s1
	v_add_co_u32_e32 v0, vcc, s0, v0
	v_addc_co_u32_e32 v1, vcc, 0, v1, vcc
	global_store_byte v[0:1], v43, off
	global_store_byte v[0:1], v44, off offset:64
	global_store_byte v[0:1], v42, off offset:128
	s_endpgm
	.section	.rodata,"a",@progbits
	.p2align	6, 0x0
	.amdhsa_kernel _Z16sort_keys_kernelIaLj64ELj3EN10test_utils4lessELj10EEvPKT_PS2_T2_
		.amdhsa_group_segment_fixed_size 193
		.amdhsa_private_segment_fixed_size 0
		.amdhsa_kernarg_size 20
		.amdhsa_user_sgpr_count 6
		.amdhsa_user_sgpr_private_segment_buffer 1
		.amdhsa_user_sgpr_dispatch_ptr 0
		.amdhsa_user_sgpr_queue_ptr 0
		.amdhsa_user_sgpr_kernarg_segment_ptr 1
		.amdhsa_user_sgpr_dispatch_id 0
		.amdhsa_user_sgpr_flat_scratch_init 0
		.amdhsa_user_sgpr_private_segment_size 0
		.amdhsa_uses_dynamic_stack 0
		.amdhsa_system_sgpr_private_segment_wavefront_offset 0
		.amdhsa_system_sgpr_workgroup_id_x 1
		.amdhsa_system_sgpr_workgroup_id_y 0
		.amdhsa_system_sgpr_workgroup_id_z 0
		.amdhsa_system_sgpr_workgroup_info 0
		.amdhsa_system_vgpr_workitem_id 0
		.amdhsa_next_free_vgpr 50
		.amdhsa_next_free_sgpr 26
		.amdhsa_reserve_vcc 1
		.amdhsa_reserve_flat_scratch 0
		.amdhsa_float_round_mode_32 0
		.amdhsa_float_round_mode_16_64 0
		.amdhsa_float_denorm_mode_32 3
		.amdhsa_float_denorm_mode_16_64 3
		.amdhsa_dx10_clamp 1
		.amdhsa_ieee_mode 1
		.amdhsa_fp16_overflow 0
		.amdhsa_exception_fp_ieee_invalid_op 0
		.amdhsa_exception_fp_denorm_src 0
		.amdhsa_exception_fp_ieee_div_zero 0
		.amdhsa_exception_fp_ieee_overflow 0
		.amdhsa_exception_fp_ieee_underflow 0
		.amdhsa_exception_fp_ieee_inexact 0
		.amdhsa_exception_int_div_zero 0
	.end_amdhsa_kernel
	.section	.text._Z16sort_keys_kernelIaLj64ELj3EN10test_utils4lessELj10EEvPKT_PS2_T2_,"axG",@progbits,_Z16sort_keys_kernelIaLj64ELj3EN10test_utils4lessELj10EEvPKT_PS2_T2_,comdat
.Lfunc_end44:
	.size	_Z16sort_keys_kernelIaLj64ELj3EN10test_utils4lessELj10EEvPKT_PS2_T2_, .Lfunc_end44-_Z16sort_keys_kernelIaLj64ELj3EN10test_utils4lessELj10EEvPKT_PS2_T2_
                                        ; -- End function
	.set _Z16sort_keys_kernelIaLj64ELj3EN10test_utils4lessELj10EEvPKT_PS2_T2_.num_vgpr, 50
	.set _Z16sort_keys_kernelIaLj64ELj3EN10test_utils4lessELj10EEvPKT_PS2_T2_.num_agpr, 0
	.set _Z16sort_keys_kernelIaLj64ELj3EN10test_utils4lessELj10EEvPKT_PS2_T2_.numbered_sgpr, 26
	.set _Z16sort_keys_kernelIaLj64ELj3EN10test_utils4lessELj10EEvPKT_PS2_T2_.num_named_barrier, 0
	.set _Z16sort_keys_kernelIaLj64ELj3EN10test_utils4lessELj10EEvPKT_PS2_T2_.private_seg_size, 0
	.set _Z16sort_keys_kernelIaLj64ELj3EN10test_utils4lessELj10EEvPKT_PS2_T2_.uses_vcc, 1
	.set _Z16sort_keys_kernelIaLj64ELj3EN10test_utils4lessELj10EEvPKT_PS2_T2_.uses_flat_scratch, 0
	.set _Z16sort_keys_kernelIaLj64ELj3EN10test_utils4lessELj10EEvPKT_PS2_T2_.has_dyn_sized_stack, 0
	.set _Z16sort_keys_kernelIaLj64ELj3EN10test_utils4lessELj10EEvPKT_PS2_T2_.has_recursion, 0
	.set _Z16sort_keys_kernelIaLj64ELj3EN10test_utils4lessELj10EEvPKT_PS2_T2_.has_indirect_call, 0
	.section	.AMDGPU.csdata,"",@progbits
; Kernel info:
; codeLenInByte = 3820
; TotalNumSgprs: 30
; NumVgprs: 50
; ScratchSize: 0
; MemoryBound: 0
; FloatMode: 240
; IeeeMode: 1
; LDSByteSize: 193 bytes/workgroup (compile time only)
; SGPRBlocks: 3
; VGPRBlocks: 12
; NumSGPRsForWavesPerEU: 30
; NumVGPRsForWavesPerEU: 50
; Occupancy: 4
; WaveLimiterHint : 0
; COMPUTE_PGM_RSRC2:SCRATCH_EN: 0
; COMPUTE_PGM_RSRC2:USER_SGPR: 6
; COMPUTE_PGM_RSRC2:TRAP_HANDLER: 0
; COMPUTE_PGM_RSRC2:TGID_X_EN: 1
; COMPUTE_PGM_RSRC2:TGID_Y_EN: 0
; COMPUTE_PGM_RSRC2:TGID_Z_EN: 0
; COMPUTE_PGM_RSRC2:TIDIG_COMP_CNT: 0
	.section	.text._Z17sort_pairs_kernelIaLj64ELj3EN10test_utils4lessELj10EEvPKT_PS2_T2_,"axG",@progbits,_Z17sort_pairs_kernelIaLj64ELj3EN10test_utils4lessELj10EEvPKT_PS2_T2_,comdat
	.protected	_Z17sort_pairs_kernelIaLj64ELj3EN10test_utils4lessELj10EEvPKT_PS2_T2_ ; -- Begin function _Z17sort_pairs_kernelIaLj64ELj3EN10test_utils4lessELj10EEvPKT_PS2_T2_
	.globl	_Z17sort_pairs_kernelIaLj64ELj3EN10test_utils4lessELj10EEvPKT_PS2_T2_
	.p2align	8
	.type	_Z17sort_pairs_kernelIaLj64ELj3EN10test_utils4lessELj10EEvPKT_PS2_T2_,@function
_Z17sort_pairs_kernelIaLj64ELj3EN10test_utils4lessELj10EEvPKT_PS2_T2_: ; @_Z17sort_pairs_kernelIaLj64ELj3EN10test_utils4lessELj10EEvPKT_PS2_T2_
; %bb.0:
	s_load_dwordx4 s[20:23], s[4:5], 0x0
	s_mul_i32 s24, s6, 0xc0
	v_and_b32_e32 v1, 62, v0
	v_and_b32_e32 v2, 1, v0
	;; [unrolled: 1-line block ×3, first 2 shown]
	s_waitcnt lgkmcnt(0)
	s_add_u32 s0, s20, s24
	s_addc_u32 s1, s21, 0
	global_load_ubyte v24, v0, s[0:1]
	global_load_ubyte v25, v0, s[0:1] offset:64
	global_load_ubyte v26, v0, s[0:1] offset:128
	v_and_b32_e32 v4, 56, v0
	v_and_b32_e32 v5, 48, v0
	;; [unrolled: 1-line block ×3, first 2 shown]
	v_mul_u32_u24_e32 v7, 3, v1
	v_cmp_eq_u32_e32 vcc, 1, v2
	v_mul_u32_u24_e32 v2, 3, v3
	v_mul_u32_u24_e32 v3, 3, v4
	v_mul_u32_u24_e32 v4, 3, v5
	v_mul_u32_u24_e32 v5, 3, v6
	v_min_u32_e32 v16, 0xbd, v7
	v_min_u32_e32 v8, 0xba, v7
	;; [unrolled: 1-line block ×10, first 2 shown]
	v_and_b32_e32 v27, 3, v0
	v_and_b32_e32 v29, 7, v0
	;; [unrolled: 1-line block ×4, first 2 shown]
	v_min_u32_e32 v1, 0xc0, v2
	v_min_u32_e32 v2, 0xc0, v3
	;; [unrolled: 1-line block ×5, first 2 shown]
	v_add_u32_e32 v6, 3, v16
	v_add_u32_e32 v7, 6, v8
	v_add_u32_e32 v8, 6, v34
	v_add_u32_e32 v9, 12, v9
	v_add_u32_e32 v10, 12, v36
	v_add_u32_e32 v11, 24, v11
	v_add_u32_e32 v12, 48, v12
	v_add_u32_e32 v13, 24, v37
	v_add_u32_e32 v14, 0x60, v14
	v_add_u32_e32 v15, 48, v38
	s_mov_b32 s25, 0xc0c0004
	v_cndmask_b32_e64 v23, 0, 3, vcc
	v_mul_u32_u24_e32 v28, 3, v27
	v_mul_u32_u24_e32 v30, 3, v29
	;; [unrolled: 1-line block ×4, first 2 shown]
	v_sub_u32_e32 v39, v7, v6
	v_sub_u32_e32 v18, v8, v1
	;; [unrolled: 1-line block ×12, first 2 shown]
	v_min_i32_e32 v18, v28, v18
	v_sub_u32_e32 v49, v30, v45
	v_sub_u32_e32 v50, v31, v46
	v_min_i32_e32 v20, v31, v20
	v_sub_u32_e32 v51, v33, v47
	v_cmp_ge_i32_e32 vcc, v23, v39
	v_cmp_ge_i32_e64 s[0:1], v28, v40
	v_cmp_ge_i32_e64 s[2:3], v30, v45
	v_mad_u32_u24 v28, v29, 3, v36
	v_cmp_ge_i32_e64 s[4:5], v31, v46
	v_mad_u32_u24 v31, v32, 3, v37
	v_cmp_ge_i32_e64 s[6:7], v33, v47
	v_mul_u32_u24_e32 v36, 3, v0
	v_mov_b32_e32 v37, 0x60
	v_add_u32_e32 v16, v16, v23
	v_add_u32_e32 v17, v6, v23
	v_min_i32_e32 v19, v30, v19
	v_min_i32_e32 v21, v33, v21
	;; [unrolled: 1-line block ×3, first 2 shown]
	v_cndmask_b32_e32 v23, 0, v41, vcc
	v_cndmask_b32_e64 v30, 0, v50, s[4:5]
	s_waitcnt vmcnt(2)
	v_add_u16_e32 v42, 1, v24
	s_waitcnt vmcnt(1)
	v_perm_b32 v39, v24, v25, s25
	s_waitcnt vmcnt(0)
	v_lshlrev_b32_e32 v44, 16, v26
	v_add_u16_e32 v43, 1, v25
	v_add_u16_e32 v41, 1, v26
	v_or_b32_e32 v44, v39, v44
	v_cndmask_b32_e64 v24, 0, v48, s[0:1]
	v_mad_u32_u24 v25, v27, 3, v34
	v_mad_u32_u24 v26, v27, 3, v8
	v_cndmask_b32_e64 v27, 0, v49, s[2:3]
	v_cndmask_b32_e64 v33, 0, v51, s[6:7]
	v_mad_u32_u24 v34, v35, 3, v38
	v_sub_u32_e64 v38, v36, v37 clamp
	v_min_i32_e32 v39, 0x60, v36
	s_movk_i32 s26, 0xc0
	s_mov_b32 s27, 0
	v_cmp_lt_i32_e32 vcc, v23, v22
	v_cmp_lt_i32_e64 s[0:1], v24, v18
	v_cmp_lt_i32_e64 s[2:3], v27, v19
	v_mad_u32_u24 v29, v29, 3, v10
	v_cmp_lt_i32_e64 s[4:5], v30, v20
	v_mad_u32_u24 v32, v32, 3, v13
	;; [unrolled: 2-line block ×3, first 2 shown]
	v_cmp_lt_i32_e64 s[8:9], v38, v39
	s_mov_b32 s28, 0x7060405
	s_mov_b32 s29, 0x7000604
	;; [unrolled: 1-line block ×5, first 2 shown]
	v_mad_u32_u24 v40, v0, 3, v37
	s_branch .LBB45_2
.LBB45_1:                               ;   in Loop: Header=BB45_2 Depth=1
	s_or_b64 exec, exec, s[14:15]
	v_cndmask_b32_e64 v46, v46, v47, s[10:11]
	v_cndmask_b32_e64 v47, v48, v49, s[12:13]
	v_cmp_ge_i32_e64 s[12:13], v51, v37
	s_waitcnt lgkmcnt(0)
	v_cmp_lt_i16_sdwa s[14:15], sext(v55), sext(v53) src0_sel:BYTE_0 src1_sel:BYTE_0
	v_cndmask_b32_e64 v44, v44, v45, s[10:11]
	v_cmp_gt_i32_e64 s[10:11], s26, v50
	s_or_b64 s[12:13], s[12:13], s[14:15]
	s_and_b64 s[10:11], s[10:11], s[12:13]
	v_cndmask_b32_e64 v50, v51, v50, s[10:11]
	; wave barrier
	ds_write_b8 v36, v41
	ds_write_b8 v36, v43 offset:1
	ds_write_b8 v36, v42 offset:2
	s_waitcnt lgkmcnt(0)
	; wave barrier
	ds_read_u8 v42, v44
	ds_read_u8 v43, v52
	;; [unrolled: 1-line block ×3, first 2 shown]
	v_cndmask_b32_e64 v45, v53, v55, s[10:11]
	v_lshlrev_b16_e32 v48, 8, v47
	v_and_b32_e32 v49, 0xff, v45
	v_or_b32_sdwa v48, v46, v48 dst_sel:DWORD dst_unused:UNUSED_PAD src0_sel:BYTE_0 src1_sel:DWORD
	v_lshlrev_b32_e32 v44, 16, v49
	s_add_i32 s27, s27, 1
	s_cmp_eq_u32 s27, 10
	v_or_b32_sdwa v44, v48, v44 dst_sel:DWORD dst_unused:UNUSED_PAD src0_sel:WORD_0 src1_sel:DWORD
	s_cbranch_scc1 .LBB45_74
.LBB45_2:                               ; =>This Loop Header: Depth=1
                                        ;     Child Loop BB45_4 Depth 2
                                        ;     Child Loop BB45_16 Depth 2
                                        ;     Child Loop BB45_28 Depth 2
                                        ;     Child Loop BB45_40 Depth 2
                                        ;     Child Loop BB45_52 Depth 2
                                        ;     Child Loop BB45_64 Depth 2
	v_lshrrev_b32_e32 v46, 8, v44
	v_perm_b32 v45, v44, v44, s28
	v_cmp_lt_i16_sdwa s[10:11], sext(v46), sext(v44) src0_sel:BYTE_0 src1_sel:BYTE_0
	v_cndmask_b32_e64 v45, v44, v45, s[10:11]
	v_lshrrev_b32_e32 v47, 16, v45
	v_max_i16_sdwa v44, sext(v46), sext(v44) dst_sel:DWORD dst_unused:UNUSED_PAD src0_sel:BYTE_0 src1_sel:BYTE_0
	v_perm_b32 v46, v45, v44, s29
	v_cmp_lt_i16_sdwa s[12:13], sext(v47), v44 src0_sel:BYTE_0 src1_sel:DWORD
	v_cndmask_b32_e64 v45, v45, v46, s[12:13]
	v_lshlrev_b16_e32 v46, 8, v45
	v_min_i16_sdwa v44, sext(v47), v44 dst_sel:DWORD dst_unused:UNUSED_PAD src0_sel:BYTE_0 src1_sel:DWORD
	v_or_b32_sdwa v46, v44, v46 dst_sel:DWORD dst_unused:UNUSED_PAD src0_sel:BYTE_0 src1_sel:DWORD
	v_and_b32_e32 v46, 0xffff, v46
	v_and_or_b32 v46, v45, s30, v46
	v_cmp_lt_i16_sdwa s[14:15], v44, sext(v45) src0_sel:DWORD src1_sel:BYTE_0
	v_cndmask_b32_e64 v44, v45, v46, s[14:15]
	v_lshrrev_b32_e32 v45, 8, v44
	; wave barrier
	ds_write_b8 v36, v44
	ds_write_b8 v36, v45 offset:1
	ds_write_b8_d16_hi v36, v44 offset:2
	v_mov_b32_e32 v45, v23
	s_waitcnt lgkmcnt(0)
	; wave barrier
	s_and_saveexec_b64 s[18:19], vcc
	s_cbranch_execz .LBB45_6
; %bb.3:                                ;   in Loop: Header=BB45_2 Depth=1
	s_mov_b64 s[20:21], 0
	v_mov_b32_e32 v45, v23
	v_mov_b32_e32 v44, v22
.LBB45_4:                               ;   Parent Loop BB45_2 Depth=1
                                        ; =>  This Inner Loop Header: Depth=2
	v_sub_u32_e32 v46, v44, v45
	v_lshrrev_b32_e32 v46, 1, v46
	v_add_u32_e32 v46, v46, v45
	v_add_u32_e32 v47, v5, v46
	v_xad_u32 v48, v46, -1, v16
	ds_read_i8 v47, v47
	ds_read_i8 v48, v48 offset:3
	v_add_u32_e32 v49, 1, v46
	s_waitcnt lgkmcnt(0)
	v_cmp_lt_i16_e64 s[16:17], v48, v47
	v_cndmask_b32_e64 v44, v44, v46, s[16:17]
	v_cndmask_b32_e64 v45, v49, v45, s[16:17]
	v_cmp_ge_i32_e64 s[16:17], v45, v44
	s_or_b64 s[20:21], s[16:17], s[20:21]
	s_andn2_b64 exec, exec, s[20:21]
	s_cbranch_execnz .LBB45_4
; %bb.5:                                ;   in Loop: Header=BB45_2 Depth=1
	s_or_b64 exec, exec, s[20:21]
.LBB45_6:                               ;   in Loop: Header=BB45_2 Depth=1
	s_or_b64 exec, exec, s[18:19]
	v_add_u32_e32 v44, v45, v5
	v_sub_u32_e32 v49, v16, v45
	ds_read_u8 v46, v44
	ds_read_u8 v47, v49 offset:3
	v_sub_u32_e32 v45, v17, v45
	v_cmp_le_i32_e64 s[18:19], v6, v44
	v_cmp_gt_i32_e64 s[16:17], v7, v45
	s_waitcnt lgkmcnt(1)
	v_bfe_i32 v46, v46, 0, 8
	s_waitcnt lgkmcnt(0)
	v_bfe_i32 v47, v47, 0, 8
	v_cmp_lt_i16_e64 s[20:21], v47, v46
	s_or_b64 s[18:19], s[18:19], s[20:21]
	s_and_b64 s[16:17], s[16:17], s[18:19]
	s_xor_b64 s[18:19], s[16:17], -1
                                        ; implicit-def: $vgpr48
	s_and_saveexec_b64 s[20:21], s[18:19]
	s_xor_b64 s[18:19], exec, s[20:21]
; %bb.7:                                ;   in Loop: Header=BB45_2 Depth=1
	ds_read_u8 v48, v44 offset:1
                                        ; implicit-def: $vgpr49
; %bb.8:                                ;   in Loop: Header=BB45_2 Depth=1
	s_or_saveexec_b64 s[18:19], s[18:19]
	v_mov_b32_e32 v50, v47
	s_xor_b64 exec, exec, s[18:19]
	s_cbranch_execz .LBB45_10
; %bb.9:                                ;   in Loop: Header=BB45_2 Depth=1
	ds_read_u8 v50, v49 offset:4
	s_waitcnt lgkmcnt(1)
	v_mov_b32_e32 v48, v46
.LBB45_10:                              ;   in Loop: Header=BB45_2 Depth=1
	s_or_b64 exec, exec, s[18:19]
	v_add_u32_e32 v52, 1, v44
	v_add_u32_e32 v49, 1, v45
	v_cndmask_b32_e64 v52, v52, v44, s[16:17]
	v_cndmask_b32_e64 v51, v45, v49, s[16:17]
	v_cmp_ge_i32_e64 s[20:21], v52, v6
	s_waitcnt lgkmcnt(0)
	v_cmp_lt_i16_sdwa s[34:35], sext(v50), sext(v48) src0_sel:BYTE_0 src1_sel:BYTE_0
	v_cmp_lt_i32_e64 s[18:19], v51, v7
	s_or_b64 s[20:21], s[20:21], s[34:35]
	s_and_b64 s[18:19], s[18:19], s[20:21]
	s_xor_b64 s[20:21], s[18:19], -1
                                        ; implicit-def: $vgpr49
	s_and_saveexec_b64 s[34:35], s[20:21]
	s_xor_b64 s[20:21], exec, s[34:35]
; %bb.11:                               ;   in Loop: Header=BB45_2 Depth=1
	ds_read_u8 v49, v52 offset:1
; %bb.12:                               ;   in Loop: Header=BB45_2 Depth=1
	s_or_saveexec_b64 s[20:21], s[20:21]
	v_mov_b32_e32 v53, v50
	s_xor_b64 exec, exec, s[20:21]
	s_cbranch_execz .LBB45_14
; %bb.13:                               ;   in Loop: Header=BB45_2 Depth=1
	ds_read_u8 v53, v51 offset:1
	s_waitcnt lgkmcnt(1)
	v_mov_b32_e32 v49, v48
.LBB45_14:                              ;   in Loop: Header=BB45_2 Depth=1
	s_or_b64 exec, exec, s[20:21]
	v_cndmask_b32_e64 v44, v44, v45, s[16:17]
	v_perm_b32 v45, v43, v42, s25
	v_perm_b32 v42, v42, v43, s25
	v_and_b32_e32 v43, 0xff, v41
	v_cndmask_b32_e64 v42, v42, v45, s[10:11]
	v_lshlrev_b32_e32 v43, 16, v43
	v_lshrrev_b16_e32 v45, 8, v42
	v_or_b32_e32 v43, v42, v43
	v_perm_b32 v41, v42, v41, s25
	v_lshlrev_b32_e32 v42, 16, v45
	v_or_b32_e32 v41, v41, v42
	v_cndmask_b32_e64 v41, v43, v41, s[12:13]
	v_add_u32_e32 v54, 1, v52
	v_perm_b32 v42, 0, v41, s31
	v_cndmask_b32_e64 v48, v48, v50, s[18:19]
	v_add_u32_e32 v50, 1, v51
	v_cndmask_b32_e64 v54, v54, v52, s[18:19]
	v_and_or_b32 v42, v41, s33, v42
	v_cndmask_b32_e64 v50, v51, v50, s[18:19]
	v_cndmask_b32_e64 v41, v41, v42, s[14:15]
	v_cmp_ge_i32_e64 s[12:13], v54, v6
	s_waitcnt lgkmcnt(0)
	v_cmp_lt_i16_sdwa s[14:15], sext(v53), sext(v49) src0_sel:BYTE_0 src1_sel:BYTE_0
	v_cmp_lt_i32_e64 s[10:11], v50, v7
	s_or_b64 s[12:13], s[12:13], s[14:15]
	s_and_b64 s[10:11], s[10:11], s[12:13]
	v_cndmask_b32_e64 v42, v54, v50, s[10:11]
	v_lshrrev_b32_e32 v43, 8, v41
	v_cndmask_b32_e64 v51, v52, v51, s[18:19]
	; wave barrier
	ds_write_b8 v36, v41
	ds_write_b8 v36, v43 offset:1
	ds_write_b8_d16_hi v36, v41 offset:2
	s_waitcnt lgkmcnt(0)
	; wave barrier
	ds_read_u8 v41, v44
	ds_read_u8 v42, v42
	;; [unrolled: 1-line block ×3, first 2 shown]
	v_cndmask_b32_e64 v46, v46, v47, s[16:17]
	v_cndmask_b32_e64 v45, v49, v53, s[10:11]
	s_waitcnt lgkmcnt(0)
	; wave barrier
	ds_write_b8 v36, v46
	ds_write_b8 v36, v48 offset:1
	ds_write_b8 v36, v45 offset:2
	v_mov_b32_e32 v45, v24
	s_waitcnt lgkmcnt(0)
	; wave barrier
	s_and_saveexec_b64 s[12:13], s[0:1]
	s_cbranch_execz .LBB45_18
; %bb.15:                               ;   in Loop: Header=BB45_2 Depth=1
	s_mov_b64 s[14:15], 0
	v_mov_b32_e32 v45, v24
	v_mov_b32_e32 v44, v18
.LBB45_16:                              ;   Parent Loop BB45_2 Depth=1
                                        ; =>  This Inner Loop Header: Depth=2
	v_sub_u32_e32 v46, v44, v45
	v_lshrrev_b32_e32 v46, 1, v46
	v_add_u32_e32 v46, v46, v45
	v_add_u32_e32 v47, v1, v46
	v_xad_u32 v48, v46, -1, v25
	ds_read_i8 v47, v47
	ds_read_i8 v48, v48 offset:6
	v_add_u32_e32 v49, 1, v46
	s_waitcnt lgkmcnt(0)
	v_cmp_lt_i16_e64 s[10:11], v48, v47
	v_cndmask_b32_e64 v44, v44, v46, s[10:11]
	v_cndmask_b32_e64 v45, v49, v45, s[10:11]
	v_cmp_ge_i32_e64 s[10:11], v45, v44
	s_or_b64 s[14:15], s[10:11], s[14:15]
	s_andn2_b64 exec, exec, s[14:15]
	s_cbranch_execnz .LBB45_16
; %bb.17:                               ;   in Loop: Header=BB45_2 Depth=1
	s_or_b64 exec, exec, s[14:15]
.LBB45_18:                              ;   in Loop: Header=BB45_2 Depth=1
	s_or_b64 exec, exec, s[12:13]
	v_add_u32_e32 v44, v45, v1
	v_sub_u32_e32 v50, v25, v45
	ds_read_u8 v46, v44
	ds_read_u8 v47, v50 offset:6
	v_sub_u32_e32 v45, v26, v45
	v_cmp_le_i32_e64 s[12:13], v8, v44
	v_cmp_gt_i32_e64 s[10:11], v9, v45
	s_waitcnt lgkmcnt(1)
	v_bfe_i32 v46, v46, 0, 8
	s_waitcnt lgkmcnt(0)
	v_bfe_i32 v47, v47, 0, 8
	v_cmp_lt_i16_e64 s[14:15], v47, v46
	s_or_b64 s[12:13], s[12:13], s[14:15]
	s_and_b64 s[10:11], s[10:11], s[12:13]
	s_xor_b64 s[12:13], s[10:11], -1
                                        ; implicit-def: $vgpr48
	s_and_saveexec_b64 s[14:15], s[12:13]
	s_xor_b64 s[12:13], exec, s[14:15]
; %bb.19:                               ;   in Loop: Header=BB45_2 Depth=1
	ds_read_u8 v48, v44 offset:1
                                        ; implicit-def: $vgpr50
; %bb.20:                               ;   in Loop: Header=BB45_2 Depth=1
	s_or_saveexec_b64 s[12:13], s[12:13]
	v_mov_b32_e32 v49, v47
	s_xor_b64 exec, exec, s[12:13]
	s_cbranch_execz .LBB45_22
; %bb.21:                               ;   in Loop: Header=BB45_2 Depth=1
	ds_read_u8 v49, v50 offset:7
	s_waitcnt lgkmcnt(1)
	v_mov_b32_e32 v48, v46
.LBB45_22:                              ;   in Loop: Header=BB45_2 Depth=1
	s_or_b64 exec, exec, s[12:13]
	v_add_u32_e32 v51, 1, v44
	v_add_u32_e32 v50, 1, v45
	v_cndmask_b32_e64 v51, v51, v44, s[10:11]
	v_cndmask_b32_e64 v50, v45, v50, s[10:11]
	v_cmp_ge_i32_e64 s[14:15], v51, v8
	s_waitcnt lgkmcnt(0)
	v_cmp_lt_i16_sdwa s[16:17], sext(v49), sext(v48) src0_sel:BYTE_0 src1_sel:BYTE_0
	v_cmp_lt_i32_e64 s[12:13], v50, v9
	s_or_b64 s[14:15], s[14:15], s[16:17]
	s_and_b64 s[12:13], s[12:13], s[14:15]
	s_xor_b64 s[14:15], s[12:13], -1
                                        ; implicit-def: $vgpr52
	s_and_saveexec_b64 s[16:17], s[14:15]
	s_xor_b64 s[14:15], exec, s[16:17]
; %bb.23:                               ;   in Loop: Header=BB45_2 Depth=1
	ds_read_u8 v52, v51 offset:1
; %bb.24:                               ;   in Loop: Header=BB45_2 Depth=1
	s_or_saveexec_b64 s[14:15], s[14:15]
	v_mov_b32_e32 v53, v49
	s_xor_b64 exec, exec, s[14:15]
	s_cbranch_execz .LBB45_26
; %bb.25:                               ;   in Loop: Header=BB45_2 Depth=1
	ds_read_u8 v53, v50 offset:1
	s_waitcnt lgkmcnt(1)
	v_mov_b32_e32 v52, v48
.LBB45_26:                              ;   in Loop: Header=BB45_2 Depth=1
	s_or_b64 exec, exec, s[14:15]
	v_add_u32_e32 v54, 1, v51
	v_cndmask_b32_e64 v48, v48, v49, s[12:13]
	v_add_u32_e32 v49, 1, v50
	v_cndmask_b32_e64 v54, v54, v51, s[12:13]
	v_cndmask_b32_e64 v49, v50, v49, s[12:13]
	;; [unrolled: 1-line block ×3, first 2 shown]
	v_cmp_ge_i32_e64 s[12:13], v54, v8
	s_waitcnt lgkmcnt(0)
	v_cmp_lt_i16_sdwa s[14:15], sext(v53), sext(v52) src0_sel:BYTE_0 src1_sel:BYTE_0
	v_cndmask_b32_e64 v46, v46, v47, s[10:11]
	v_cndmask_b32_e64 v44, v44, v45, s[10:11]
	v_cmp_lt_i32_e64 s[10:11], v49, v9
	s_or_b64 s[12:13], s[12:13], s[14:15]
	s_and_b64 s[10:11], s[10:11], s[12:13]
	v_cndmask_b32_e64 v47, v54, v49, s[10:11]
	; wave barrier
	ds_write_b8 v36, v41
	ds_write_b8 v36, v43 offset:1
	ds_write_b8 v36, v42 offset:2
	s_waitcnt lgkmcnt(0)
	; wave barrier
	ds_read_u8 v41, v44
	ds_read_u8 v42, v47
	;; [unrolled: 1-line block ×3, first 2 shown]
	v_cndmask_b32_e64 v45, v52, v53, s[10:11]
	s_waitcnt lgkmcnt(0)
	; wave barrier
	ds_write_b8 v36, v46
	ds_write_b8 v36, v48 offset:1
	ds_write_b8 v36, v45 offset:2
	v_mov_b32_e32 v45, v27
	s_waitcnt lgkmcnt(0)
	; wave barrier
	s_and_saveexec_b64 s[12:13], s[2:3]
	s_cbranch_execz .LBB45_30
; %bb.27:                               ;   in Loop: Header=BB45_2 Depth=1
	s_mov_b64 s[14:15], 0
	v_mov_b32_e32 v45, v27
	v_mov_b32_e32 v44, v19
.LBB45_28:                              ;   Parent Loop BB45_2 Depth=1
                                        ; =>  This Inner Loop Header: Depth=2
	v_sub_u32_e32 v46, v44, v45
	v_lshrrev_b32_e32 v46, 1, v46
	v_add_u32_e32 v46, v46, v45
	v_add_u32_e32 v47, v2, v46
	v_xad_u32 v48, v46, -1, v28
	ds_read_i8 v47, v47
	ds_read_i8 v48, v48 offset:12
	v_add_u32_e32 v49, 1, v46
	s_waitcnt lgkmcnt(0)
	v_cmp_lt_i16_e64 s[10:11], v48, v47
	v_cndmask_b32_e64 v44, v44, v46, s[10:11]
	v_cndmask_b32_e64 v45, v49, v45, s[10:11]
	v_cmp_ge_i32_e64 s[10:11], v45, v44
	s_or_b64 s[14:15], s[10:11], s[14:15]
	s_andn2_b64 exec, exec, s[14:15]
	s_cbranch_execnz .LBB45_28
; %bb.29:                               ;   in Loop: Header=BB45_2 Depth=1
	s_or_b64 exec, exec, s[14:15]
.LBB45_30:                              ;   in Loop: Header=BB45_2 Depth=1
	s_or_b64 exec, exec, s[12:13]
	v_add_u32_e32 v44, v45, v2
	v_sub_u32_e32 v50, v28, v45
	ds_read_u8 v46, v44
	ds_read_u8 v47, v50 offset:12
	v_sub_u32_e32 v45, v29, v45
	v_cmp_le_i32_e64 s[12:13], v10, v44
	v_cmp_gt_i32_e64 s[10:11], v11, v45
	s_waitcnt lgkmcnt(1)
	v_bfe_i32 v46, v46, 0, 8
	s_waitcnt lgkmcnt(0)
	v_bfe_i32 v47, v47, 0, 8
	v_cmp_lt_i16_e64 s[14:15], v47, v46
	s_or_b64 s[12:13], s[12:13], s[14:15]
	s_and_b64 s[10:11], s[10:11], s[12:13]
	s_xor_b64 s[12:13], s[10:11], -1
                                        ; implicit-def: $vgpr48
	s_and_saveexec_b64 s[14:15], s[12:13]
	s_xor_b64 s[12:13], exec, s[14:15]
; %bb.31:                               ;   in Loop: Header=BB45_2 Depth=1
	ds_read_u8 v48, v44 offset:1
                                        ; implicit-def: $vgpr50
; %bb.32:                               ;   in Loop: Header=BB45_2 Depth=1
	s_or_saveexec_b64 s[12:13], s[12:13]
	v_mov_b32_e32 v49, v47
	s_xor_b64 exec, exec, s[12:13]
	s_cbranch_execz .LBB45_34
; %bb.33:                               ;   in Loop: Header=BB45_2 Depth=1
	ds_read_u8 v49, v50 offset:13
	s_waitcnt lgkmcnt(1)
	v_mov_b32_e32 v48, v46
.LBB45_34:                              ;   in Loop: Header=BB45_2 Depth=1
	s_or_b64 exec, exec, s[12:13]
	v_add_u32_e32 v51, 1, v44
	v_add_u32_e32 v50, 1, v45
	v_cndmask_b32_e64 v51, v51, v44, s[10:11]
	v_cndmask_b32_e64 v50, v45, v50, s[10:11]
	v_cmp_ge_i32_e64 s[14:15], v51, v10
	s_waitcnt lgkmcnt(0)
	v_cmp_lt_i16_sdwa s[16:17], sext(v49), sext(v48) src0_sel:BYTE_0 src1_sel:BYTE_0
	v_cmp_lt_i32_e64 s[12:13], v50, v11
	s_or_b64 s[14:15], s[14:15], s[16:17]
	s_and_b64 s[12:13], s[12:13], s[14:15]
	s_xor_b64 s[14:15], s[12:13], -1
                                        ; implicit-def: $vgpr52
	s_and_saveexec_b64 s[16:17], s[14:15]
	s_xor_b64 s[14:15], exec, s[16:17]
; %bb.35:                               ;   in Loop: Header=BB45_2 Depth=1
	ds_read_u8 v52, v51 offset:1
; %bb.36:                               ;   in Loop: Header=BB45_2 Depth=1
	s_or_saveexec_b64 s[14:15], s[14:15]
	v_mov_b32_e32 v53, v49
	s_xor_b64 exec, exec, s[14:15]
	s_cbranch_execz .LBB45_38
; %bb.37:                               ;   in Loop: Header=BB45_2 Depth=1
	ds_read_u8 v53, v50 offset:1
	s_waitcnt lgkmcnt(1)
	v_mov_b32_e32 v52, v48
.LBB45_38:                              ;   in Loop: Header=BB45_2 Depth=1
	s_or_b64 exec, exec, s[14:15]
	v_add_u32_e32 v54, 1, v51
	v_cndmask_b32_e64 v48, v48, v49, s[12:13]
	v_add_u32_e32 v49, 1, v50
	v_cndmask_b32_e64 v54, v54, v51, s[12:13]
	v_cndmask_b32_e64 v49, v50, v49, s[12:13]
	;; [unrolled: 1-line block ×3, first 2 shown]
	v_cmp_ge_i32_e64 s[12:13], v54, v10
	s_waitcnt lgkmcnt(0)
	v_cmp_lt_i16_sdwa s[14:15], sext(v53), sext(v52) src0_sel:BYTE_0 src1_sel:BYTE_0
	v_cndmask_b32_e64 v46, v46, v47, s[10:11]
	v_cndmask_b32_e64 v44, v44, v45, s[10:11]
	v_cmp_lt_i32_e64 s[10:11], v49, v11
	s_or_b64 s[12:13], s[12:13], s[14:15]
	s_and_b64 s[10:11], s[10:11], s[12:13]
	v_cndmask_b32_e64 v47, v54, v49, s[10:11]
	; wave barrier
	ds_write_b8 v36, v41
	ds_write_b8 v36, v43 offset:1
	ds_write_b8 v36, v42 offset:2
	s_waitcnt lgkmcnt(0)
	; wave barrier
	ds_read_u8 v41, v44
	ds_read_u8 v42, v47
	;; [unrolled: 1-line block ×3, first 2 shown]
	v_cndmask_b32_e64 v45, v52, v53, s[10:11]
	s_waitcnt lgkmcnt(0)
	; wave barrier
	ds_write_b8 v36, v46
	ds_write_b8 v36, v48 offset:1
	ds_write_b8 v36, v45 offset:2
	v_mov_b32_e32 v45, v30
	s_waitcnt lgkmcnt(0)
	; wave barrier
	s_and_saveexec_b64 s[12:13], s[4:5]
	s_cbranch_execz .LBB45_42
; %bb.39:                               ;   in Loop: Header=BB45_2 Depth=1
	s_mov_b64 s[14:15], 0
	v_mov_b32_e32 v45, v30
	v_mov_b32_e32 v44, v20
.LBB45_40:                              ;   Parent Loop BB45_2 Depth=1
                                        ; =>  This Inner Loop Header: Depth=2
	v_sub_u32_e32 v46, v44, v45
	v_lshrrev_b32_e32 v46, 1, v46
	v_add_u32_e32 v46, v46, v45
	v_add_u32_e32 v47, v3, v46
	v_xad_u32 v48, v46, -1, v31
	ds_read_i8 v47, v47
	ds_read_i8 v48, v48 offset:24
	v_add_u32_e32 v49, 1, v46
	s_waitcnt lgkmcnt(0)
	v_cmp_lt_i16_e64 s[10:11], v48, v47
	v_cndmask_b32_e64 v44, v44, v46, s[10:11]
	v_cndmask_b32_e64 v45, v49, v45, s[10:11]
	v_cmp_ge_i32_e64 s[10:11], v45, v44
	s_or_b64 s[14:15], s[10:11], s[14:15]
	s_andn2_b64 exec, exec, s[14:15]
	s_cbranch_execnz .LBB45_40
; %bb.41:                               ;   in Loop: Header=BB45_2 Depth=1
	s_or_b64 exec, exec, s[14:15]
.LBB45_42:                              ;   in Loop: Header=BB45_2 Depth=1
	s_or_b64 exec, exec, s[12:13]
	v_add_u32_e32 v44, v45, v3
	v_sub_u32_e32 v50, v31, v45
	ds_read_u8 v46, v44
	ds_read_u8 v47, v50 offset:24
	v_sub_u32_e32 v45, v32, v45
	v_cmp_le_i32_e64 s[12:13], v13, v44
	v_cmp_gt_i32_e64 s[10:11], v12, v45
	s_waitcnt lgkmcnt(1)
	v_bfe_i32 v46, v46, 0, 8
	s_waitcnt lgkmcnt(0)
	v_bfe_i32 v47, v47, 0, 8
	v_cmp_lt_i16_e64 s[14:15], v47, v46
	s_or_b64 s[12:13], s[12:13], s[14:15]
	s_and_b64 s[10:11], s[10:11], s[12:13]
	s_xor_b64 s[12:13], s[10:11], -1
                                        ; implicit-def: $vgpr48
	s_and_saveexec_b64 s[14:15], s[12:13]
	s_xor_b64 s[12:13], exec, s[14:15]
; %bb.43:                               ;   in Loop: Header=BB45_2 Depth=1
	ds_read_u8 v48, v44 offset:1
                                        ; implicit-def: $vgpr50
; %bb.44:                               ;   in Loop: Header=BB45_2 Depth=1
	s_or_saveexec_b64 s[12:13], s[12:13]
	v_mov_b32_e32 v49, v47
	s_xor_b64 exec, exec, s[12:13]
	s_cbranch_execz .LBB45_46
; %bb.45:                               ;   in Loop: Header=BB45_2 Depth=1
	ds_read_u8 v49, v50 offset:25
	s_waitcnt lgkmcnt(1)
	v_mov_b32_e32 v48, v46
.LBB45_46:                              ;   in Loop: Header=BB45_2 Depth=1
	s_or_b64 exec, exec, s[12:13]
	v_add_u32_e32 v51, 1, v44
	v_add_u32_e32 v50, 1, v45
	v_cndmask_b32_e64 v51, v51, v44, s[10:11]
	v_cndmask_b32_e64 v50, v45, v50, s[10:11]
	v_cmp_ge_i32_e64 s[14:15], v51, v13
	s_waitcnt lgkmcnt(0)
	v_cmp_lt_i16_sdwa s[16:17], sext(v49), sext(v48) src0_sel:BYTE_0 src1_sel:BYTE_0
	v_cmp_lt_i32_e64 s[12:13], v50, v12
	s_or_b64 s[14:15], s[14:15], s[16:17]
	s_and_b64 s[12:13], s[12:13], s[14:15]
	s_xor_b64 s[14:15], s[12:13], -1
                                        ; implicit-def: $vgpr52
	s_and_saveexec_b64 s[16:17], s[14:15]
	s_xor_b64 s[14:15], exec, s[16:17]
; %bb.47:                               ;   in Loop: Header=BB45_2 Depth=1
	ds_read_u8 v52, v51 offset:1
; %bb.48:                               ;   in Loop: Header=BB45_2 Depth=1
	s_or_saveexec_b64 s[14:15], s[14:15]
	v_mov_b32_e32 v53, v49
	s_xor_b64 exec, exec, s[14:15]
	s_cbranch_execz .LBB45_50
; %bb.49:                               ;   in Loop: Header=BB45_2 Depth=1
	ds_read_u8 v53, v50 offset:1
	s_waitcnt lgkmcnt(1)
	v_mov_b32_e32 v52, v48
.LBB45_50:                              ;   in Loop: Header=BB45_2 Depth=1
	s_or_b64 exec, exec, s[14:15]
	v_add_u32_e32 v54, 1, v51
	v_cndmask_b32_e64 v48, v48, v49, s[12:13]
	v_add_u32_e32 v49, 1, v50
	v_cndmask_b32_e64 v54, v54, v51, s[12:13]
	v_cndmask_b32_e64 v49, v50, v49, s[12:13]
	;; [unrolled: 1-line block ×3, first 2 shown]
	v_cmp_ge_i32_e64 s[12:13], v54, v13
	s_waitcnt lgkmcnt(0)
	v_cmp_lt_i16_sdwa s[14:15], sext(v53), sext(v52) src0_sel:BYTE_0 src1_sel:BYTE_0
	v_cndmask_b32_e64 v46, v46, v47, s[10:11]
	v_cndmask_b32_e64 v44, v44, v45, s[10:11]
	v_cmp_lt_i32_e64 s[10:11], v49, v12
	s_or_b64 s[12:13], s[12:13], s[14:15]
	s_and_b64 s[10:11], s[10:11], s[12:13]
	v_cndmask_b32_e64 v47, v54, v49, s[10:11]
	; wave barrier
	ds_write_b8 v36, v41
	ds_write_b8 v36, v43 offset:1
	ds_write_b8 v36, v42 offset:2
	s_waitcnt lgkmcnt(0)
	; wave barrier
	ds_read_u8 v41, v44
	ds_read_u8 v42, v47
	;; [unrolled: 1-line block ×3, first 2 shown]
	v_cndmask_b32_e64 v45, v52, v53, s[10:11]
	s_waitcnt lgkmcnt(0)
	; wave barrier
	ds_write_b8 v36, v46
	ds_write_b8 v36, v48 offset:1
	ds_write_b8 v36, v45 offset:2
	v_mov_b32_e32 v45, v33
	s_waitcnt lgkmcnt(0)
	; wave barrier
	s_and_saveexec_b64 s[12:13], s[6:7]
	s_cbranch_execz .LBB45_54
; %bb.51:                               ;   in Loop: Header=BB45_2 Depth=1
	s_mov_b64 s[14:15], 0
	v_mov_b32_e32 v45, v33
	v_mov_b32_e32 v44, v21
.LBB45_52:                              ;   Parent Loop BB45_2 Depth=1
                                        ; =>  This Inner Loop Header: Depth=2
	v_sub_u32_e32 v46, v44, v45
	v_lshrrev_b32_e32 v46, 1, v46
	v_add_u32_e32 v46, v46, v45
	v_add_u32_e32 v47, v4, v46
	v_xad_u32 v48, v46, -1, v34
	ds_read_i8 v47, v47
	ds_read_i8 v48, v48 offset:48
	v_add_u32_e32 v49, 1, v46
	s_waitcnt lgkmcnt(0)
	v_cmp_lt_i16_e64 s[10:11], v48, v47
	v_cndmask_b32_e64 v44, v44, v46, s[10:11]
	v_cndmask_b32_e64 v45, v49, v45, s[10:11]
	v_cmp_ge_i32_e64 s[10:11], v45, v44
	s_or_b64 s[14:15], s[10:11], s[14:15]
	s_andn2_b64 exec, exec, s[14:15]
	s_cbranch_execnz .LBB45_52
; %bb.53:                               ;   in Loop: Header=BB45_2 Depth=1
	s_or_b64 exec, exec, s[14:15]
.LBB45_54:                              ;   in Loop: Header=BB45_2 Depth=1
	s_or_b64 exec, exec, s[12:13]
	v_add_u32_e32 v44, v45, v4
	v_sub_u32_e32 v50, v34, v45
	ds_read_u8 v46, v44
	ds_read_u8 v47, v50 offset:48
	v_sub_u32_e32 v45, v35, v45
	v_cmp_le_i32_e64 s[12:13], v15, v44
	v_cmp_gt_i32_e64 s[10:11], v14, v45
	s_waitcnt lgkmcnt(1)
	v_bfe_i32 v46, v46, 0, 8
	s_waitcnt lgkmcnt(0)
	v_bfe_i32 v47, v47, 0, 8
	v_cmp_lt_i16_e64 s[14:15], v47, v46
	s_or_b64 s[12:13], s[12:13], s[14:15]
	s_and_b64 s[10:11], s[10:11], s[12:13]
	s_xor_b64 s[12:13], s[10:11], -1
                                        ; implicit-def: $vgpr48
	s_and_saveexec_b64 s[14:15], s[12:13]
	s_xor_b64 s[12:13], exec, s[14:15]
; %bb.55:                               ;   in Loop: Header=BB45_2 Depth=1
	ds_read_u8 v48, v44 offset:1
                                        ; implicit-def: $vgpr50
; %bb.56:                               ;   in Loop: Header=BB45_2 Depth=1
	s_or_saveexec_b64 s[12:13], s[12:13]
	v_mov_b32_e32 v49, v47
	s_xor_b64 exec, exec, s[12:13]
	s_cbranch_execz .LBB45_58
; %bb.57:                               ;   in Loop: Header=BB45_2 Depth=1
	ds_read_u8 v49, v50 offset:49
	s_waitcnt lgkmcnt(1)
	v_mov_b32_e32 v48, v46
.LBB45_58:                              ;   in Loop: Header=BB45_2 Depth=1
	s_or_b64 exec, exec, s[12:13]
	v_add_u32_e32 v51, 1, v44
	v_add_u32_e32 v50, 1, v45
	v_cndmask_b32_e64 v51, v51, v44, s[10:11]
	v_cndmask_b32_e64 v50, v45, v50, s[10:11]
	v_cmp_ge_i32_e64 s[14:15], v51, v15
	s_waitcnt lgkmcnt(0)
	v_cmp_lt_i16_sdwa s[16:17], sext(v49), sext(v48) src0_sel:BYTE_0 src1_sel:BYTE_0
	v_cmp_lt_i32_e64 s[12:13], v50, v14
	s_or_b64 s[14:15], s[14:15], s[16:17]
	s_and_b64 s[12:13], s[12:13], s[14:15]
	s_xor_b64 s[14:15], s[12:13], -1
                                        ; implicit-def: $vgpr52
	s_and_saveexec_b64 s[16:17], s[14:15]
	s_xor_b64 s[14:15], exec, s[16:17]
; %bb.59:                               ;   in Loop: Header=BB45_2 Depth=1
	ds_read_u8 v52, v51 offset:1
; %bb.60:                               ;   in Loop: Header=BB45_2 Depth=1
	s_or_saveexec_b64 s[14:15], s[14:15]
	v_mov_b32_e32 v53, v49
	s_xor_b64 exec, exec, s[14:15]
	s_cbranch_execz .LBB45_62
; %bb.61:                               ;   in Loop: Header=BB45_2 Depth=1
	ds_read_u8 v53, v50 offset:1
	s_waitcnt lgkmcnt(1)
	v_mov_b32_e32 v52, v48
.LBB45_62:                              ;   in Loop: Header=BB45_2 Depth=1
	s_or_b64 exec, exec, s[14:15]
	v_add_u32_e32 v54, 1, v51
	v_cndmask_b32_e64 v48, v48, v49, s[12:13]
	v_add_u32_e32 v49, 1, v50
	v_cndmask_b32_e64 v54, v54, v51, s[12:13]
	v_cndmask_b32_e64 v49, v50, v49, s[12:13]
	;; [unrolled: 1-line block ×3, first 2 shown]
	v_cmp_ge_i32_e64 s[12:13], v54, v15
	s_waitcnt lgkmcnt(0)
	v_cmp_lt_i16_sdwa s[14:15], sext(v53), sext(v52) src0_sel:BYTE_0 src1_sel:BYTE_0
	v_cndmask_b32_e64 v46, v46, v47, s[10:11]
	v_cndmask_b32_e64 v44, v44, v45, s[10:11]
	v_cmp_lt_i32_e64 s[10:11], v49, v14
	s_or_b64 s[12:13], s[12:13], s[14:15]
	s_and_b64 s[10:11], s[10:11], s[12:13]
	v_cndmask_b32_e64 v47, v54, v49, s[10:11]
	; wave barrier
	ds_write_b8 v36, v41
	ds_write_b8 v36, v43 offset:1
	ds_write_b8 v36, v42 offset:2
	s_waitcnt lgkmcnt(0)
	; wave barrier
	ds_read_u8 v41, v44
	ds_read_u8 v42, v47
	;; [unrolled: 1-line block ×3, first 2 shown]
	v_mov_b32_e32 v44, v38
	v_cndmask_b32_e64 v45, v52, v53, s[10:11]
	s_waitcnt lgkmcnt(0)
	; wave barrier
	ds_write_b8 v36, v46
	ds_write_b8 v36, v48 offset:1
	ds_write_b8 v36, v45 offset:2
	s_waitcnt lgkmcnt(0)
	; wave barrier
	s_and_saveexec_b64 s[12:13], s[8:9]
	s_cbranch_execz .LBB45_66
; %bb.63:                               ;   in Loop: Header=BB45_2 Depth=1
	s_mov_b64 s[14:15], 0
	v_mov_b32_e32 v44, v38
	v_mov_b32_e32 v45, v39
.LBB45_64:                              ;   Parent Loop BB45_2 Depth=1
                                        ; =>  This Inner Loop Header: Depth=2
	v_sub_u32_e32 v46, v45, v44
	v_lshrrev_b32_e32 v46, 1, v46
	v_add_u32_e32 v46, v46, v44
	v_xad_u32 v47, v46, -1, v36
	ds_read_i8 v48, v46
	ds_read_i8 v47, v47 offset:96
	v_add_u32_e32 v49, 1, v46
	s_waitcnt lgkmcnt(0)
	v_cmp_lt_i16_e64 s[10:11], v47, v48
	v_cndmask_b32_e64 v45, v45, v46, s[10:11]
	v_cndmask_b32_e64 v44, v49, v44, s[10:11]
	v_cmp_ge_i32_e64 s[10:11], v44, v45
	s_or_b64 s[14:15], s[10:11], s[14:15]
	s_andn2_b64 exec, exec, s[14:15]
	s_cbranch_execnz .LBB45_64
; %bb.65:                               ;   in Loop: Header=BB45_2 Depth=1
	s_or_b64 exec, exec, s[14:15]
.LBB45_66:                              ;   in Loop: Header=BB45_2 Depth=1
	s_or_b64 exec, exec, s[12:13]
	v_sub_u32_e32 v50, v36, v44
	ds_read_u8 v46, v44
	ds_read_u8 v47, v50 offset:96
	v_sub_u32_e32 v45, v40, v44
	v_cmp_le_i32_e64 s[12:13], v37, v44
	v_cmp_gt_i32_e64 s[10:11], s26, v45
	s_waitcnt lgkmcnt(1)
	v_bfe_i32 v46, v46, 0, 8
	s_waitcnt lgkmcnt(0)
	v_bfe_i32 v47, v47, 0, 8
	v_cmp_lt_i16_e64 s[14:15], v47, v46
	s_or_b64 s[12:13], s[12:13], s[14:15]
	s_and_b64 s[10:11], s[10:11], s[12:13]
	s_xor_b64 s[12:13], s[10:11], -1
                                        ; implicit-def: $vgpr48
	s_and_saveexec_b64 s[14:15], s[12:13]
	s_xor_b64 s[12:13], exec, s[14:15]
; %bb.67:                               ;   in Loop: Header=BB45_2 Depth=1
	ds_read_u8 v48, v44 offset:1
                                        ; implicit-def: $vgpr50
; %bb.68:                               ;   in Loop: Header=BB45_2 Depth=1
	s_or_saveexec_b64 s[12:13], s[12:13]
	v_mov_b32_e32 v49, v47
	s_xor_b64 exec, exec, s[12:13]
	s_cbranch_execz .LBB45_70
; %bb.69:                               ;   in Loop: Header=BB45_2 Depth=1
	ds_read_u8 v49, v50 offset:97
	s_waitcnt lgkmcnt(1)
	v_mov_b32_e32 v48, v46
.LBB45_70:                              ;   in Loop: Header=BB45_2 Depth=1
	s_or_b64 exec, exec, s[12:13]
	v_add_u32_e32 v51, 1, v44
	v_add_u32_e32 v50, 1, v45
	v_cndmask_b32_e64 v54, v51, v44, s[10:11]
	v_cndmask_b32_e64 v50, v45, v50, s[10:11]
	v_cmp_ge_i32_e64 s[14:15], v54, v37
	s_waitcnt lgkmcnt(0)
	v_cmp_lt_i16_sdwa s[16:17], sext(v49), sext(v48) src0_sel:BYTE_0 src1_sel:BYTE_0
	v_cmp_gt_i32_e64 s[12:13], s26, v50
	s_or_b64 s[14:15], s[14:15], s[16:17]
	s_and_b64 s[12:13], s[12:13], s[14:15]
	s_xor_b64 s[14:15], s[12:13], -1
                                        ; implicit-def: $vgpr53
                                        ; implicit-def: $vgpr51
	s_and_saveexec_b64 s[16:17], s[14:15]
	s_xor_b64 s[14:15], exec, s[16:17]
; %bb.71:                               ;   in Loop: Header=BB45_2 Depth=1
	ds_read_u8 v53, v54 offset:1
	v_add_u32_e32 v51, 1, v54
; %bb.72:                               ;   in Loop: Header=BB45_2 Depth=1
	s_or_saveexec_b64 s[14:15], s[14:15]
	v_mov_b32_e32 v52, v54
	v_mov_b32_e32 v55, v49
	s_xor_b64 exec, exec, s[14:15]
	s_cbranch_execz .LBB45_1
; %bb.73:                               ;   in Loop: Header=BB45_2 Depth=1
	ds_read_u8 v55, v50 offset:1
	s_waitcnt lgkmcnt(1)
	v_add_u32_e32 v53, 1, v50
	v_mov_b32_e32 v52, v50
	v_mov_b32_e32 v51, v54
	v_mov_b32_e32 v50, v53
	v_mov_b32_e32 v53, v48
	s_branch .LBB45_1
.LBB45_74:
	s_add_u32 s0, s22, s24
	s_addc_u32 s1, s23, 0
	v_mov_b32_e32 v1, s1
	v_add_co_u32_e32 v0, vcc, s0, v0
	s_waitcnt lgkmcnt(2)
	v_add_u16_e32 v2, v46, v42
	v_addc_co_u32_e32 v1, vcc, 0, v1, vcc
	s_waitcnt lgkmcnt(1)
	v_add_u16_e32 v3, v47, v43
	s_waitcnt lgkmcnt(0)
	v_add_u16_e32 v4, v45, v41
	global_store_byte v[0:1], v2, off
	global_store_byte v[0:1], v3, off offset:64
	global_store_byte v[0:1], v4, off offset:128
	s_endpgm
	.section	.rodata,"a",@progbits
	.p2align	6, 0x0
	.amdhsa_kernel _Z17sort_pairs_kernelIaLj64ELj3EN10test_utils4lessELj10EEvPKT_PS2_T2_
		.amdhsa_group_segment_fixed_size 193
		.amdhsa_private_segment_fixed_size 0
		.amdhsa_kernarg_size 20
		.amdhsa_user_sgpr_count 6
		.amdhsa_user_sgpr_private_segment_buffer 1
		.amdhsa_user_sgpr_dispatch_ptr 0
		.amdhsa_user_sgpr_queue_ptr 0
		.amdhsa_user_sgpr_kernarg_segment_ptr 1
		.amdhsa_user_sgpr_dispatch_id 0
		.amdhsa_user_sgpr_flat_scratch_init 0
		.amdhsa_user_sgpr_private_segment_size 0
		.amdhsa_uses_dynamic_stack 0
		.amdhsa_system_sgpr_private_segment_wavefront_offset 0
		.amdhsa_system_sgpr_workgroup_id_x 1
		.amdhsa_system_sgpr_workgroup_id_y 0
		.amdhsa_system_sgpr_workgroup_id_z 0
		.amdhsa_system_sgpr_workgroup_info 0
		.amdhsa_system_vgpr_workitem_id 0
		.amdhsa_next_free_vgpr 56
		.amdhsa_next_free_sgpr 36
		.amdhsa_reserve_vcc 1
		.amdhsa_reserve_flat_scratch 0
		.amdhsa_float_round_mode_32 0
		.amdhsa_float_round_mode_16_64 0
		.amdhsa_float_denorm_mode_32 3
		.amdhsa_float_denorm_mode_16_64 3
		.amdhsa_dx10_clamp 1
		.amdhsa_ieee_mode 1
		.amdhsa_fp16_overflow 0
		.amdhsa_exception_fp_ieee_invalid_op 0
		.amdhsa_exception_fp_denorm_src 0
		.amdhsa_exception_fp_ieee_div_zero 0
		.amdhsa_exception_fp_ieee_overflow 0
		.amdhsa_exception_fp_ieee_underflow 0
		.amdhsa_exception_fp_ieee_inexact 0
		.amdhsa_exception_int_div_zero 0
	.end_amdhsa_kernel
	.section	.text._Z17sort_pairs_kernelIaLj64ELj3EN10test_utils4lessELj10EEvPKT_PS2_T2_,"axG",@progbits,_Z17sort_pairs_kernelIaLj64ELj3EN10test_utils4lessELj10EEvPKT_PS2_T2_,comdat
.Lfunc_end45:
	.size	_Z17sort_pairs_kernelIaLj64ELj3EN10test_utils4lessELj10EEvPKT_PS2_T2_, .Lfunc_end45-_Z17sort_pairs_kernelIaLj64ELj3EN10test_utils4lessELj10EEvPKT_PS2_T2_
                                        ; -- End function
	.set _Z17sort_pairs_kernelIaLj64ELj3EN10test_utils4lessELj10EEvPKT_PS2_T2_.num_vgpr, 56
	.set _Z17sort_pairs_kernelIaLj64ELj3EN10test_utils4lessELj10EEvPKT_PS2_T2_.num_agpr, 0
	.set _Z17sort_pairs_kernelIaLj64ELj3EN10test_utils4lessELj10EEvPKT_PS2_T2_.numbered_sgpr, 36
	.set _Z17sort_pairs_kernelIaLj64ELj3EN10test_utils4lessELj10EEvPKT_PS2_T2_.num_named_barrier, 0
	.set _Z17sort_pairs_kernelIaLj64ELj3EN10test_utils4lessELj10EEvPKT_PS2_T2_.private_seg_size, 0
	.set _Z17sort_pairs_kernelIaLj64ELj3EN10test_utils4lessELj10EEvPKT_PS2_T2_.uses_vcc, 1
	.set _Z17sort_pairs_kernelIaLj64ELj3EN10test_utils4lessELj10EEvPKT_PS2_T2_.uses_flat_scratch, 0
	.set _Z17sort_pairs_kernelIaLj64ELj3EN10test_utils4lessELj10EEvPKT_PS2_T2_.has_dyn_sized_stack, 0
	.set _Z17sort_pairs_kernelIaLj64ELj3EN10test_utils4lessELj10EEvPKT_PS2_T2_.has_recursion, 0
	.set _Z17sort_pairs_kernelIaLj64ELj3EN10test_utils4lessELj10EEvPKT_PS2_T2_.has_indirect_call, 0
	.section	.AMDGPU.csdata,"",@progbits
; Kernel info:
; codeLenInByte = 4456
; TotalNumSgprs: 40
; NumVgprs: 56
; ScratchSize: 0
; MemoryBound: 0
; FloatMode: 240
; IeeeMode: 1
; LDSByteSize: 193 bytes/workgroup (compile time only)
; SGPRBlocks: 4
; VGPRBlocks: 13
; NumSGPRsForWavesPerEU: 40
; NumVGPRsForWavesPerEU: 56
; Occupancy: 4
; WaveLimiterHint : 0
; COMPUTE_PGM_RSRC2:SCRATCH_EN: 0
; COMPUTE_PGM_RSRC2:USER_SGPR: 6
; COMPUTE_PGM_RSRC2:TRAP_HANDLER: 0
; COMPUTE_PGM_RSRC2:TGID_X_EN: 1
; COMPUTE_PGM_RSRC2:TGID_Y_EN: 0
; COMPUTE_PGM_RSRC2:TGID_Z_EN: 0
; COMPUTE_PGM_RSRC2:TIDIG_COMP_CNT: 0
	.section	.text._Z16sort_keys_kernelIaLj64ELj4EN10test_utils4lessELj10EEvPKT_PS2_T2_,"axG",@progbits,_Z16sort_keys_kernelIaLj64ELj4EN10test_utils4lessELj10EEvPKT_PS2_T2_,comdat
	.protected	_Z16sort_keys_kernelIaLj64ELj4EN10test_utils4lessELj10EEvPKT_PS2_T2_ ; -- Begin function _Z16sort_keys_kernelIaLj64ELj4EN10test_utils4lessELj10EEvPKT_PS2_T2_
	.globl	_Z16sort_keys_kernelIaLj64ELj4EN10test_utils4lessELj10EEvPKT_PS2_T2_
	.p2align	8
	.type	_Z16sort_keys_kernelIaLj64ELj4EN10test_utils4lessELj10EEvPKT_PS2_T2_,@function
_Z16sort_keys_kernelIaLj64ELj4EN10test_utils4lessELj10EEvPKT_PS2_T2_: ; @_Z16sort_keys_kernelIaLj64ELj4EN10test_utils4lessELj10EEvPKT_PS2_T2_
; %bb.0:
	s_load_dwordx4 s[16:19], s[4:5], 0x0
	s_lshl_b32 s20, s6, 8
	v_lshlrev_b32_e32 v2, 2, v0
	v_and_b32_e32 v3, 0xf8, v2
	v_and_b32_e32 v6, 0xc0, v2
	s_waitcnt lgkmcnt(0)
	s_add_u32 s0, s16, s20
	s_addc_u32 s1, s17, 0
	global_load_ubyte v35, v0, s[0:1] offset:64
	global_load_ubyte v36, v0, s[0:1] offset:128
	;; [unrolled: 1-line block ×3, first 2 shown]
	global_load_ubyte v38, v0, s[0:1]
	v_or_b32_e32 v10, 4, v3
	v_add_u32_e32 v11, 8, v3
	v_and_b32_e32 v25, 4, v2
	v_and_b32_e32 v4, 0xf0, v2
	;; [unrolled: 1-line block ×4, first 2 shown]
	v_or_b32_e32 v16, 32, v6
	v_add_u32_e32 v17, 64, v6
	v_sub_u32_e32 v24, v11, v10
	v_and_b32_e32 v33, 60, v2
	v_or_b32_e32 v12, 8, v4
	v_add_u32_e32 v13, 16, v4
	v_or_b32_e32 v14, 16, v5
	v_add_u32_e32 v15, 32, v5
	;; [unrolled: 2-line block ×3, first 2 shown]
	v_sub_u32_e32 v39, v17, v16
	v_sub_u32_e32 v30, v10, v3
	v_sub_u32_e32 v43, v25, v24
	v_cmp_ge_i32_e64 s[0:1], v25, v24
	v_and_b32_e32 v26, 12, v2
	v_and_b32_e32 v27, 28, v2
	v_and_b32_e32 v34, 0x7c, v2
	v_sub_u32_e32 v28, v13, v12
	v_sub_u32_e32 v29, v15, v14
	;; [unrolled: 1-line block ×3, first 2 shown]
	v_add_u32_e32 v20, v10, v25
	v_sub_u32_e32 v41, v16, v6
	v_min_i32_e32 v25, v25, v30
	v_sub_u32_e32 v46, v33, v39
	v_cndmask_b32_e64 v30, 0, v43, s[0:1]
	v_cmp_ge_i32_e64 s[0:1], v33, v39
	s_mov_b32 s10, 0xc0c0004
	v_mov_b32_e32 v1, 0x80
	v_sub_u32_e32 v31, v12, v4
	v_sub_u32_e32 v32, v14, v5
	v_add_u32_e32 v23, v16, v33
	v_sub_u32_e32 v42, v18, v7
	v_sub_u32_e32 v44, v26, v28
	v_cmp_ge_i32_e64 s[2:3], v26, v28
	v_sub_u32_e32 v45, v27, v29
	v_cmp_ge_i32_e64 s[4:5], v27, v29
	v_sub_u32_e32 v47, v34, v40
	v_min_i32_e32 v28, v33, v41
	v_cndmask_b32_e64 v33, 0, v46, s[0:1]
	v_cmp_ge_i32_e64 s[0:1], v34, v40
	v_sub_u32_e64 v8, v2, v1 clamp
	v_min_i32_e32 v9, 0x80, v2
	v_add_u32_e32 v21, v12, v26
	v_add_u32_e32 v22, v14, v27
	;; [unrolled: 1-line block ×3, first 2 shown]
	v_min_i32_e32 v26, v26, v31
	v_min_i32_e32 v27, v27, v32
	;; [unrolled: 1-line block ×3, first 2 shown]
	v_cndmask_b32_e64 v31, 0, v44, s[2:3]
	v_cndmask_b32_e64 v32, 0, v45, s[4:5]
	;; [unrolled: 1-line block ×3, first 2 shown]
	s_mov_b32 s21, 0
	s_mov_b32 s22, 0x7060405
	;; [unrolled: 1-line block ×6, first 2 shown]
	s_movk_i32 s27, 0x100
	v_cmp_lt_i32_e32 vcc, v8, v9
	v_cmp_lt_i32_e64 s[0:1], v30, v25
	v_cmp_lt_i32_e64 s[2:3], v31, v26
	;; [unrolled: 1-line block ×5, first 2 shown]
	s_waitcnt vmcnt(1)
	v_perm_b32 v36, v36, v37, s10
	s_waitcnt vmcnt(0)
	v_perm_b32 v35, v38, v35, s10
	v_lshl_or_b32 v40, v36, 16, v35
	v_add_u32_e32 v35, 0x80, v2
	s_branch .LBB46_2
.LBB46_1:                               ;   in Loop: Header=BB46_2 Depth=1
	s_or_b64 exec, exec, s[16:17]
	v_cndmask_b32_e64 v36, v36, v37, s[10:11]
	v_cndmask_b32_e64 v37, v38, v39, s[12:13]
	;; [unrolled: 1-line block ×3, first 2 shown]
	v_cmp_ge_i32_e64 s[12:13], v44, v1
	s_waitcnt lgkmcnt(0)
	v_cmp_lt_i16_sdwa s[14:15], sext(v46), sext(v43) src0_sel:BYTE_0 src1_sel:BYTE_0
	v_cmp_gt_i32_e64 s[10:11], s27, v42
	s_or_b64 s[12:13], s[12:13], s[14:15]
	s_and_b64 s[10:11], s[10:11], s[12:13]
	v_cndmask_b32_e64 v39, v43, v46, s[10:11]
	v_lshlrev_b16_e32 v40, 8, v37
	v_lshlrev_b16_e32 v41, 8, v39
	v_or_b32_sdwa v40, v36, v40 dst_sel:DWORD dst_unused:UNUSED_PAD src0_sel:BYTE_0 src1_sel:DWORD
	v_or_b32_sdwa v41, v38, v41 dst_sel:WORD_1 dst_unused:UNUSED_PAD src0_sel:BYTE_0 src1_sel:DWORD
	s_add_i32 s21, s21, 1
	s_cmp_eq_u32 s21, 10
	v_or_b32_sdwa v40, v40, v41 dst_sel:DWORD dst_unused:UNUSED_PAD src0_sel:WORD_0 src1_sel:DWORD
	s_cbranch_scc1 .LBB46_98
.LBB46_2:                               ; =>This Loop Header: Depth=1
                                        ;     Child Loop BB46_4 Depth 2
                                        ;     Child Loop BB46_20 Depth 2
	;; [unrolled: 1-line block ×6, first 2 shown]
	v_lshrrev_b32_e32 v37, 8, v40
	v_perm_b32 v36, v40, v40, s22
	v_cmp_lt_i16_sdwa s[10:11], sext(v37), sext(v40) src0_sel:BYTE_0 src1_sel:BYTE_0
	v_cndmask_b32_e64 v36, v40, v36, s[10:11]
	v_lshrrev_b32_e32 v38, 16, v36
	v_perm_b32 v39, 0, v38, s23
	v_min_i16_sdwa v41, sext(v37), sext(v40) dst_sel:DWORD dst_unused:UNUSED_PAD src0_sel:BYTE_0 src1_sel:BYTE_0
	v_max_i16_sdwa v37, sext(v37), sext(v40) dst_sel:DWORD dst_unused:UNUSED_PAD src0_sel:BYTE_0 src1_sel:BYTE_0
	v_lshrrev_b32_e32 v40, 24, v36
	v_lshlrev_b32_e32 v39, 16, v39
	v_and_or_b32 v39, v36, s24, v39
	v_cmp_lt_i16_sdwa s[10:11], sext(v40), sext(v38) src0_sel:BYTE_0 src1_sel:BYTE_0
	v_cndmask_b32_e64 v36, v36, v39, s[10:11]
	v_max_i16_sdwa v39, sext(v40), sext(v38) dst_sel:DWORD dst_unused:UNUSED_PAD src0_sel:BYTE_0 src1_sel:BYTE_0
	v_min_i16_sdwa v38, sext(v40), sext(v38) dst_sel:DWORD dst_unused:UNUSED_PAD src0_sel:BYTE_0 src1_sel:BYTE_0
	v_lshlrev_b16_e32 v40, 8, v38
	v_or_b32_sdwa v40, v36, v40 dst_sel:DWORD dst_unused:UNUSED_PAD src0_sel:BYTE_0 src1_sel:DWORD
	v_and_b32_e32 v40, 0xffff, v40
	v_perm_b32 v42, v37, v36, s25
	v_lshl_or_b32 v40, v42, 16, v40
	v_cmp_lt_i16_e64 s[10:11], v38, v37
	v_cndmask_b32_e64 v36, v36, v40, s[10:11]
	v_min_i16_e32 v40, v38, v37
	v_lshlrev_b16_e32 v42, 8, v41
	v_or_b32_sdwa v42, v40, v42 dst_sel:DWORD dst_unused:UNUSED_PAD src0_sel:BYTE_0 src1_sel:DWORD
	v_and_b32_e32 v42, 0xffff, v42
	v_max_i16_e32 v43, v38, v37
	v_cmp_lt_i16_e64 s[10:11], v38, v41
	v_and_or_b32 v42, v36, s26, v42
	v_cndmask_b32_e64 v38, v40, v41, s[10:11]
	v_lshlrev_b16_e32 v40, 8, v43
	v_cndmask_b32_e64 v36, v36, v42, s[10:11]
	v_or_b32_sdwa v40, v39, v40 dst_sel:WORD_1 dst_unused:UNUSED_PAD src0_sel:BYTE_0 src1_sel:DWORD
	v_cmp_gt_i16_e64 s[10:11], v37, v39
	v_and_or_b32 v40, v36, s24, v40
	v_cndmask_b32_e64 v37, v43, v39, s[10:11]
	v_cndmask_b32_e64 v36, v36, v40, s[10:11]
	v_lshlrev_b16_e32 v39, 8, v37
	v_or_b32_sdwa v39, v36, v39 dst_sel:DWORD dst_unused:UNUSED_PAD src0_sel:BYTE_0 src1_sel:DWORD
	v_and_b32_e32 v39, 0xffff, v39
	v_perm_b32 v40, v38, v36, s25
	v_lshl_or_b32 v39, v40, 16, v39
	v_cmp_lt_i16_e64 s[10:11], v37, v38
	v_cndmask_b32_e64 v36, v36, v39, s[10:11]
	; wave barrier
	ds_write_b32 v2, v36
	v_mov_b32_e32 v36, v30
	s_waitcnt lgkmcnt(0)
	; wave barrier
	s_and_saveexec_b64 s[12:13], s[0:1]
	s_cbranch_execz .LBB46_6
; %bb.3:                                ;   in Loop: Header=BB46_2 Depth=1
	s_mov_b64 s[14:15], 0
	v_mov_b32_e32 v36, v30
	v_mov_b32_e32 v37, v25
.LBB46_4:                               ;   Parent Loop BB46_2 Depth=1
                                        ; =>  This Inner Loop Header: Depth=2
	v_sub_u32_e32 v38, v37, v36
	v_lshrrev_b32_e32 v38, 1, v38
	v_add_u32_e32 v38, v38, v36
	v_add_u32_e32 v39, v3, v38
	v_xad_u32 v40, v38, -1, v20
	ds_read_i8 v39, v39
	ds_read_i8 v40, v40
	v_add_u32_e32 v41, 1, v38
	s_waitcnt lgkmcnt(0)
	v_cmp_lt_i16_e64 s[10:11], v40, v39
	v_cndmask_b32_e64 v37, v37, v38, s[10:11]
	v_cndmask_b32_e64 v36, v41, v36, s[10:11]
	v_cmp_ge_i32_e64 s[10:11], v36, v37
	s_or_b64 s[14:15], s[10:11], s[14:15]
	s_andn2_b64 exec, exec, s[14:15]
	s_cbranch_execnz .LBB46_4
; %bb.5:                                ;   in Loop: Header=BB46_2 Depth=1
	s_or_b64 exec, exec, s[14:15]
.LBB46_6:                               ;   in Loop: Header=BB46_2 Depth=1
	s_or_b64 exec, exec, s[12:13]
	v_add_u32_e32 v40, v36, v3
	v_sub_u32_e32 v41, v20, v36
	ds_read_u8 v36, v40
	ds_read_u8 v37, v41
	v_cmp_le_i32_e64 s[12:13], v10, v40
	v_cmp_gt_i32_e64 s[10:11], v11, v41
                                        ; implicit-def: $vgpr38
	s_waitcnt lgkmcnt(1)
	v_bfe_i32 v36, v36, 0, 8
	s_waitcnt lgkmcnt(0)
	v_bfe_i32 v37, v37, 0, 8
	v_cmp_lt_i16_e64 s[14:15], v37, v36
	s_or_b64 s[12:13], s[12:13], s[14:15]
	s_and_b64 s[10:11], s[10:11], s[12:13]
	s_xor_b64 s[12:13], s[10:11], -1
	s_and_saveexec_b64 s[14:15], s[12:13]
	s_xor_b64 s[12:13], exec, s[14:15]
; %bb.7:                                ;   in Loop: Header=BB46_2 Depth=1
	ds_read_u8 v38, v40 offset:1
; %bb.8:                                ;   in Loop: Header=BB46_2 Depth=1
	s_or_saveexec_b64 s[12:13], s[12:13]
	v_mov_b32_e32 v39, v37
	s_xor_b64 exec, exec, s[12:13]
	s_cbranch_execz .LBB46_10
; %bb.9:                                ;   in Loop: Header=BB46_2 Depth=1
	ds_read_u8 v39, v41 offset:1
	s_waitcnt lgkmcnt(1)
	v_mov_b32_e32 v38, v36
.LBB46_10:                              ;   in Loop: Header=BB46_2 Depth=1
	s_or_b64 exec, exec, s[12:13]
	v_add_u32_e32 v43, 1, v40
	v_add_u32_e32 v42, 1, v41
	v_cndmask_b32_e64 v43, v43, v40, s[10:11]
	v_cndmask_b32_e64 v42, v41, v42, s[10:11]
	v_cmp_ge_i32_e64 s[14:15], v43, v10
	s_waitcnt lgkmcnt(0)
	v_cmp_lt_i16_sdwa s[16:17], sext(v39), sext(v38) src0_sel:BYTE_0 src1_sel:BYTE_0
	v_cmp_lt_i32_e64 s[12:13], v42, v11
	s_or_b64 s[14:15], s[14:15], s[16:17]
	s_and_b64 s[12:13], s[12:13], s[14:15]
	s_xor_b64 s[14:15], s[12:13], -1
                                        ; implicit-def: $vgpr40
	s_and_saveexec_b64 s[16:17], s[14:15]
	s_xor_b64 s[14:15], exec, s[16:17]
; %bb.11:                               ;   in Loop: Header=BB46_2 Depth=1
	ds_read_u8 v40, v43 offset:1
; %bb.12:                               ;   in Loop: Header=BB46_2 Depth=1
	s_or_saveexec_b64 s[14:15], s[14:15]
	v_mov_b32_e32 v41, v39
	s_xor_b64 exec, exec, s[14:15]
	s_cbranch_execz .LBB46_14
; %bb.13:                               ;   in Loop: Header=BB46_2 Depth=1
	ds_read_u8 v41, v42 offset:1
	s_waitcnt lgkmcnt(1)
	v_mov_b32_e32 v40, v38
.LBB46_14:                              ;   in Loop: Header=BB46_2 Depth=1
	s_or_b64 exec, exec, s[14:15]
	v_add_u32_e32 v45, 1, v43
	v_add_u32_e32 v44, 1, v42
	v_cndmask_b32_e64 v43, v45, v43, s[12:13]
	v_cndmask_b32_e64 v42, v42, v44, s[12:13]
	v_cmp_ge_i32_e64 s[16:17], v43, v10
	s_waitcnt lgkmcnt(0)
	v_cmp_lt_i16_sdwa s[28:29], sext(v41), sext(v40) src0_sel:BYTE_0 src1_sel:BYTE_0
	v_cmp_lt_i32_e64 s[14:15], v42, v11
	s_or_b64 s[16:17], s[16:17], s[28:29]
	s_and_b64 s[14:15], s[14:15], s[16:17]
	s_xor_b64 s[16:17], s[14:15], -1
                                        ; implicit-def: $vgpr44
	s_and_saveexec_b64 s[28:29], s[16:17]
	s_xor_b64 s[16:17], exec, s[28:29]
; %bb.15:                               ;   in Loop: Header=BB46_2 Depth=1
	ds_read_u8 v44, v43 offset:1
; %bb.16:                               ;   in Loop: Header=BB46_2 Depth=1
	s_or_saveexec_b64 s[16:17], s[16:17]
	v_mov_b32_e32 v45, v41
	s_xor_b64 exec, exec, s[16:17]
	s_cbranch_execz .LBB46_18
; %bb.17:                               ;   in Loop: Header=BB46_2 Depth=1
	ds_read_u8 v45, v42 offset:1
	s_waitcnt lgkmcnt(1)
	v_mov_b32_e32 v44, v40
.LBB46_18:                              ;   in Loop: Header=BB46_2 Depth=1
	s_or_b64 exec, exec, s[16:17]
	v_cndmask_b32_e64 v40, v40, v41, s[14:15]
	v_add_u32_e32 v41, 1, v42
	v_add_u32_e32 v46, 1, v43
	v_cndmask_b32_e64 v41, v42, v41, s[14:15]
	v_cndmask_b32_e64 v42, v46, v43, s[14:15]
	;; [unrolled: 1-line block ×3, first 2 shown]
	v_cmp_ge_i32_e64 s[12:13], v42, v10
	s_waitcnt lgkmcnt(0)
	v_cmp_lt_i16_sdwa s[14:15], sext(v45), sext(v44) src0_sel:BYTE_0 src1_sel:BYTE_0
	v_cndmask_b32_e64 v36, v36, v37, s[10:11]
	v_cmp_lt_i32_e64 s[10:11], v41, v11
	s_or_b64 s[12:13], s[12:13], s[14:15]
	s_and_b64 s[10:11], s[10:11], s[12:13]
	v_cndmask_b32_e64 v37, v44, v45, s[10:11]
	; wave barrier
	ds_write_b8 v2, v36
	ds_write_b8 v2, v38 offset:1
	ds_write_b8 v2, v40 offset:2
	;; [unrolled: 1-line block ×3, first 2 shown]
	v_mov_b32_e32 v36, v31
	s_waitcnt lgkmcnt(0)
	; wave barrier
	s_and_saveexec_b64 s[12:13], s[2:3]
	s_cbranch_execz .LBB46_22
; %bb.19:                               ;   in Loop: Header=BB46_2 Depth=1
	s_mov_b64 s[14:15], 0
	v_mov_b32_e32 v36, v31
	v_mov_b32_e32 v37, v26
.LBB46_20:                              ;   Parent Loop BB46_2 Depth=1
                                        ; =>  This Inner Loop Header: Depth=2
	v_sub_u32_e32 v38, v37, v36
	v_lshrrev_b32_e32 v38, 1, v38
	v_add_u32_e32 v38, v38, v36
	v_add_u32_e32 v39, v4, v38
	v_xad_u32 v40, v38, -1, v21
	ds_read_i8 v39, v39
	ds_read_i8 v40, v40
	v_add_u32_e32 v41, 1, v38
	s_waitcnt lgkmcnt(0)
	v_cmp_lt_i16_e64 s[10:11], v40, v39
	v_cndmask_b32_e64 v37, v37, v38, s[10:11]
	v_cndmask_b32_e64 v36, v41, v36, s[10:11]
	v_cmp_ge_i32_e64 s[10:11], v36, v37
	s_or_b64 s[14:15], s[10:11], s[14:15]
	s_andn2_b64 exec, exec, s[14:15]
	s_cbranch_execnz .LBB46_20
; %bb.21:                               ;   in Loop: Header=BB46_2 Depth=1
	s_or_b64 exec, exec, s[14:15]
.LBB46_22:                              ;   in Loop: Header=BB46_2 Depth=1
	s_or_b64 exec, exec, s[12:13]
	v_add_u32_e32 v40, v36, v4
	v_sub_u32_e32 v41, v21, v36
	ds_read_u8 v36, v40
	ds_read_u8 v37, v41
	v_cmp_le_i32_e64 s[12:13], v12, v40
	v_cmp_gt_i32_e64 s[10:11], v13, v41
                                        ; implicit-def: $vgpr38
	s_waitcnt lgkmcnt(1)
	v_bfe_i32 v36, v36, 0, 8
	s_waitcnt lgkmcnt(0)
	v_bfe_i32 v37, v37, 0, 8
	v_cmp_lt_i16_e64 s[14:15], v37, v36
	s_or_b64 s[12:13], s[12:13], s[14:15]
	s_and_b64 s[10:11], s[10:11], s[12:13]
	s_xor_b64 s[12:13], s[10:11], -1
	s_and_saveexec_b64 s[14:15], s[12:13]
	s_xor_b64 s[12:13], exec, s[14:15]
; %bb.23:                               ;   in Loop: Header=BB46_2 Depth=1
	ds_read_u8 v38, v40 offset:1
; %bb.24:                               ;   in Loop: Header=BB46_2 Depth=1
	s_or_saveexec_b64 s[12:13], s[12:13]
	v_mov_b32_e32 v39, v37
	s_xor_b64 exec, exec, s[12:13]
	s_cbranch_execz .LBB46_26
; %bb.25:                               ;   in Loop: Header=BB46_2 Depth=1
	ds_read_u8 v39, v41 offset:1
	s_waitcnt lgkmcnt(1)
	v_mov_b32_e32 v38, v36
.LBB46_26:                              ;   in Loop: Header=BB46_2 Depth=1
	s_or_b64 exec, exec, s[12:13]
	v_add_u32_e32 v43, 1, v40
	v_add_u32_e32 v42, 1, v41
	v_cndmask_b32_e64 v43, v43, v40, s[10:11]
	v_cndmask_b32_e64 v42, v41, v42, s[10:11]
	v_cmp_ge_i32_e64 s[14:15], v43, v12
	s_waitcnt lgkmcnt(0)
	v_cmp_lt_i16_sdwa s[16:17], sext(v39), sext(v38) src0_sel:BYTE_0 src1_sel:BYTE_0
	v_cmp_lt_i32_e64 s[12:13], v42, v13
	s_or_b64 s[14:15], s[14:15], s[16:17]
	s_and_b64 s[12:13], s[12:13], s[14:15]
	s_xor_b64 s[14:15], s[12:13], -1
                                        ; implicit-def: $vgpr40
	s_and_saveexec_b64 s[16:17], s[14:15]
	s_xor_b64 s[14:15], exec, s[16:17]
; %bb.27:                               ;   in Loop: Header=BB46_2 Depth=1
	ds_read_u8 v40, v43 offset:1
; %bb.28:                               ;   in Loop: Header=BB46_2 Depth=1
	s_or_saveexec_b64 s[14:15], s[14:15]
	v_mov_b32_e32 v41, v39
	s_xor_b64 exec, exec, s[14:15]
	s_cbranch_execz .LBB46_30
; %bb.29:                               ;   in Loop: Header=BB46_2 Depth=1
	ds_read_u8 v41, v42 offset:1
	s_waitcnt lgkmcnt(1)
	v_mov_b32_e32 v40, v38
.LBB46_30:                              ;   in Loop: Header=BB46_2 Depth=1
	s_or_b64 exec, exec, s[14:15]
	v_add_u32_e32 v45, 1, v43
	v_add_u32_e32 v44, 1, v42
	v_cndmask_b32_e64 v43, v45, v43, s[12:13]
	v_cndmask_b32_e64 v42, v42, v44, s[12:13]
	v_cmp_ge_i32_e64 s[16:17], v43, v12
	s_waitcnt lgkmcnt(0)
	v_cmp_lt_i16_sdwa s[28:29], sext(v41), sext(v40) src0_sel:BYTE_0 src1_sel:BYTE_0
	v_cmp_lt_i32_e64 s[14:15], v42, v13
	s_or_b64 s[16:17], s[16:17], s[28:29]
	s_and_b64 s[14:15], s[14:15], s[16:17]
	s_xor_b64 s[16:17], s[14:15], -1
                                        ; implicit-def: $vgpr44
	s_and_saveexec_b64 s[28:29], s[16:17]
	s_xor_b64 s[16:17], exec, s[28:29]
; %bb.31:                               ;   in Loop: Header=BB46_2 Depth=1
	ds_read_u8 v44, v43 offset:1
; %bb.32:                               ;   in Loop: Header=BB46_2 Depth=1
	s_or_saveexec_b64 s[16:17], s[16:17]
	v_mov_b32_e32 v45, v41
	s_xor_b64 exec, exec, s[16:17]
	s_cbranch_execz .LBB46_34
; %bb.33:                               ;   in Loop: Header=BB46_2 Depth=1
	ds_read_u8 v45, v42 offset:1
	s_waitcnt lgkmcnt(1)
	v_mov_b32_e32 v44, v40
.LBB46_34:                              ;   in Loop: Header=BB46_2 Depth=1
	s_or_b64 exec, exec, s[16:17]
	v_cndmask_b32_e64 v40, v40, v41, s[14:15]
	v_add_u32_e32 v41, 1, v42
	v_add_u32_e32 v46, 1, v43
	v_cndmask_b32_e64 v41, v42, v41, s[14:15]
	v_cndmask_b32_e64 v42, v46, v43, s[14:15]
	;; [unrolled: 1-line block ×3, first 2 shown]
	v_cmp_ge_i32_e64 s[12:13], v42, v12
	s_waitcnt lgkmcnt(0)
	v_cmp_lt_i16_sdwa s[14:15], sext(v45), sext(v44) src0_sel:BYTE_0 src1_sel:BYTE_0
	v_cndmask_b32_e64 v36, v36, v37, s[10:11]
	v_cmp_lt_i32_e64 s[10:11], v41, v13
	s_or_b64 s[12:13], s[12:13], s[14:15]
	s_and_b64 s[10:11], s[10:11], s[12:13]
	v_cndmask_b32_e64 v37, v44, v45, s[10:11]
	; wave barrier
	ds_write_b8 v2, v36
	ds_write_b8 v2, v38 offset:1
	ds_write_b8 v2, v40 offset:2
	;; [unrolled: 1-line block ×3, first 2 shown]
	v_mov_b32_e32 v36, v32
	s_waitcnt lgkmcnt(0)
	; wave barrier
	s_and_saveexec_b64 s[12:13], s[4:5]
	s_cbranch_execz .LBB46_38
; %bb.35:                               ;   in Loop: Header=BB46_2 Depth=1
	s_mov_b64 s[14:15], 0
	v_mov_b32_e32 v36, v32
	v_mov_b32_e32 v37, v27
.LBB46_36:                              ;   Parent Loop BB46_2 Depth=1
                                        ; =>  This Inner Loop Header: Depth=2
	v_sub_u32_e32 v38, v37, v36
	v_lshrrev_b32_e32 v38, 1, v38
	v_add_u32_e32 v38, v38, v36
	v_add_u32_e32 v39, v5, v38
	v_xad_u32 v40, v38, -1, v22
	ds_read_i8 v39, v39
	ds_read_i8 v40, v40
	v_add_u32_e32 v41, 1, v38
	s_waitcnt lgkmcnt(0)
	v_cmp_lt_i16_e64 s[10:11], v40, v39
	v_cndmask_b32_e64 v37, v37, v38, s[10:11]
	v_cndmask_b32_e64 v36, v41, v36, s[10:11]
	v_cmp_ge_i32_e64 s[10:11], v36, v37
	s_or_b64 s[14:15], s[10:11], s[14:15]
	s_andn2_b64 exec, exec, s[14:15]
	s_cbranch_execnz .LBB46_36
; %bb.37:                               ;   in Loop: Header=BB46_2 Depth=1
	s_or_b64 exec, exec, s[14:15]
.LBB46_38:                              ;   in Loop: Header=BB46_2 Depth=1
	s_or_b64 exec, exec, s[12:13]
	v_add_u32_e32 v40, v36, v5
	v_sub_u32_e32 v41, v22, v36
	ds_read_u8 v36, v40
	ds_read_u8 v37, v41
	v_cmp_le_i32_e64 s[12:13], v14, v40
	v_cmp_gt_i32_e64 s[10:11], v15, v41
                                        ; implicit-def: $vgpr38
	s_waitcnt lgkmcnt(1)
	v_bfe_i32 v36, v36, 0, 8
	s_waitcnt lgkmcnt(0)
	v_bfe_i32 v37, v37, 0, 8
	v_cmp_lt_i16_e64 s[14:15], v37, v36
	s_or_b64 s[12:13], s[12:13], s[14:15]
	s_and_b64 s[10:11], s[10:11], s[12:13]
	s_xor_b64 s[12:13], s[10:11], -1
	s_and_saveexec_b64 s[14:15], s[12:13]
	s_xor_b64 s[12:13], exec, s[14:15]
; %bb.39:                               ;   in Loop: Header=BB46_2 Depth=1
	ds_read_u8 v38, v40 offset:1
; %bb.40:                               ;   in Loop: Header=BB46_2 Depth=1
	s_or_saveexec_b64 s[12:13], s[12:13]
	v_mov_b32_e32 v39, v37
	s_xor_b64 exec, exec, s[12:13]
	s_cbranch_execz .LBB46_42
; %bb.41:                               ;   in Loop: Header=BB46_2 Depth=1
	ds_read_u8 v39, v41 offset:1
	s_waitcnt lgkmcnt(1)
	v_mov_b32_e32 v38, v36
.LBB46_42:                              ;   in Loop: Header=BB46_2 Depth=1
	s_or_b64 exec, exec, s[12:13]
	v_add_u32_e32 v43, 1, v40
	v_add_u32_e32 v42, 1, v41
	v_cndmask_b32_e64 v43, v43, v40, s[10:11]
	v_cndmask_b32_e64 v42, v41, v42, s[10:11]
	v_cmp_ge_i32_e64 s[14:15], v43, v14
	s_waitcnt lgkmcnt(0)
	v_cmp_lt_i16_sdwa s[16:17], sext(v39), sext(v38) src0_sel:BYTE_0 src1_sel:BYTE_0
	v_cmp_lt_i32_e64 s[12:13], v42, v15
	s_or_b64 s[14:15], s[14:15], s[16:17]
	s_and_b64 s[12:13], s[12:13], s[14:15]
	s_xor_b64 s[14:15], s[12:13], -1
                                        ; implicit-def: $vgpr40
	s_and_saveexec_b64 s[16:17], s[14:15]
	s_xor_b64 s[14:15], exec, s[16:17]
; %bb.43:                               ;   in Loop: Header=BB46_2 Depth=1
	ds_read_u8 v40, v43 offset:1
; %bb.44:                               ;   in Loop: Header=BB46_2 Depth=1
	s_or_saveexec_b64 s[14:15], s[14:15]
	v_mov_b32_e32 v41, v39
	s_xor_b64 exec, exec, s[14:15]
	s_cbranch_execz .LBB46_46
; %bb.45:                               ;   in Loop: Header=BB46_2 Depth=1
	ds_read_u8 v41, v42 offset:1
	s_waitcnt lgkmcnt(1)
	v_mov_b32_e32 v40, v38
.LBB46_46:                              ;   in Loop: Header=BB46_2 Depth=1
	s_or_b64 exec, exec, s[14:15]
	v_add_u32_e32 v45, 1, v43
	v_add_u32_e32 v44, 1, v42
	v_cndmask_b32_e64 v43, v45, v43, s[12:13]
	v_cndmask_b32_e64 v42, v42, v44, s[12:13]
	v_cmp_ge_i32_e64 s[16:17], v43, v14
	s_waitcnt lgkmcnt(0)
	v_cmp_lt_i16_sdwa s[28:29], sext(v41), sext(v40) src0_sel:BYTE_0 src1_sel:BYTE_0
	v_cmp_lt_i32_e64 s[14:15], v42, v15
	s_or_b64 s[16:17], s[16:17], s[28:29]
	s_and_b64 s[14:15], s[14:15], s[16:17]
	s_xor_b64 s[16:17], s[14:15], -1
                                        ; implicit-def: $vgpr44
	s_and_saveexec_b64 s[28:29], s[16:17]
	s_xor_b64 s[16:17], exec, s[28:29]
; %bb.47:                               ;   in Loop: Header=BB46_2 Depth=1
	ds_read_u8 v44, v43 offset:1
; %bb.48:                               ;   in Loop: Header=BB46_2 Depth=1
	s_or_saveexec_b64 s[16:17], s[16:17]
	v_mov_b32_e32 v45, v41
	s_xor_b64 exec, exec, s[16:17]
	s_cbranch_execz .LBB46_50
; %bb.49:                               ;   in Loop: Header=BB46_2 Depth=1
	ds_read_u8 v45, v42 offset:1
	s_waitcnt lgkmcnt(1)
	v_mov_b32_e32 v44, v40
.LBB46_50:                              ;   in Loop: Header=BB46_2 Depth=1
	s_or_b64 exec, exec, s[16:17]
	v_cndmask_b32_e64 v40, v40, v41, s[14:15]
	v_add_u32_e32 v41, 1, v42
	v_add_u32_e32 v46, 1, v43
	v_cndmask_b32_e64 v41, v42, v41, s[14:15]
	v_cndmask_b32_e64 v42, v46, v43, s[14:15]
	;; [unrolled: 1-line block ×3, first 2 shown]
	v_cmp_ge_i32_e64 s[12:13], v42, v14
	s_waitcnt lgkmcnt(0)
	v_cmp_lt_i16_sdwa s[14:15], sext(v45), sext(v44) src0_sel:BYTE_0 src1_sel:BYTE_0
	v_cndmask_b32_e64 v36, v36, v37, s[10:11]
	v_cmp_lt_i32_e64 s[10:11], v41, v15
	s_or_b64 s[12:13], s[12:13], s[14:15]
	s_and_b64 s[10:11], s[10:11], s[12:13]
	v_cndmask_b32_e64 v37, v44, v45, s[10:11]
	; wave barrier
	ds_write_b8 v2, v36
	ds_write_b8 v2, v38 offset:1
	ds_write_b8 v2, v40 offset:2
	;; [unrolled: 1-line block ×3, first 2 shown]
	v_mov_b32_e32 v36, v33
	s_waitcnt lgkmcnt(0)
	; wave barrier
	s_and_saveexec_b64 s[12:13], s[6:7]
	s_cbranch_execz .LBB46_54
; %bb.51:                               ;   in Loop: Header=BB46_2 Depth=1
	s_mov_b64 s[14:15], 0
	v_mov_b32_e32 v36, v33
	v_mov_b32_e32 v37, v28
.LBB46_52:                              ;   Parent Loop BB46_2 Depth=1
                                        ; =>  This Inner Loop Header: Depth=2
	v_sub_u32_e32 v38, v37, v36
	v_lshrrev_b32_e32 v38, 1, v38
	v_add_u32_e32 v38, v38, v36
	v_add_u32_e32 v39, v6, v38
	v_xad_u32 v40, v38, -1, v23
	ds_read_i8 v39, v39
	ds_read_i8 v40, v40
	v_add_u32_e32 v41, 1, v38
	s_waitcnt lgkmcnt(0)
	v_cmp_lt_i16_e64 s[10:11], v40, v39
	v_cndmask_b32_e64 v37, v37, v38, s[10:11]
	v_cndmask_b32_e64 v36, v41, v36, s[10:11]
	v_cmp_ge_i32_e64 s[10:11], v36, v37
	s_or_b64 s[14:15], s[10:11], s[14:15]
	s_andn2_b64 exec, exec, s[14:15]
	s_cbranch_execnz .LBB46_52
; %bb.53:                               ;   in Loop: Header=BB46_2 Depth=1
	s_or_b64 exec, exec, s[14:15]
.LBB46_54:                              ;   in Loop: Header=BB46_2 Depth=1
	s_or_b64 exec, exec, s[12:13]
	v_add_u32_e32 v40, v36, v6
	v_sub_u32_e32 v41, v23, v36
	ds_read_u8 v36, v40
	ds_read_u8 v37, v41
	v_cmp_le_i32_e64 s[12:13], v16, v40
	v_cmp_gt_i32_e64 s[10:11], v17, v41
                                        ; implicit-def: $vgpr38
	s_waitcnt lgkmcnt(1)
	v_bfe_i32 v36, v36, 0, 8
	s_waitcnt lgkmcnt(0)
	v_bfe_i32 v37, v37, 0, 8
	v_cmp_lt_i16_e64 s[14:15], v37, v36
	s_or_b64 s[12:13], s[12:13], s[14:15]
	s_and_b64 s[10:11], s[10:11], s[12:13]
	s_xor_b64 s[12:13], s[10:11], -1
	s_and_saveexec_b64 s[14:15], s[12:13]
	s_xor_b64 s[12:13], exec, s[14:15]
; %bb.55:                               ;   in Loop: Header=BB46_2 Depth=1
	ds_read_u8 v38, v40 offset:1
; %bb.56:                               ;   in Loop: Header=BB46_2 Depth=1
	s_or_saveexec_b64 s[12:13], s[12:13]
	v_mov_b32_e32 v39, v37
	s_xor_b64 exec, exec, s[12:13]
	s_cbranch_execz .LBB46_58
; %bb.57:                               ;   in Loop: Header=BB46_2 Depth=1
	ds_read_u8 v39, v41 offset:1
	s_waitcnt lgkmcnt(1)
	v_mov_b32_e32 v38, v36
.LBB46_58:                              ;   in Loop: Header=BB46_2 Depth=1
	s_or_b64 exec, exec, s[12:13]
	v_add_u32_e32 v43, 1, v40
	v_add_u32_e32 v42, 1, v41
	v_cndmask_b32_e64 v43, v43, v40, s[10:11]
	v_cndmask_b32_e64 v42, v41, v42, s[10:11]
	v_cmp_ge_i32_e64 s[14:15], v43, v16
	s_waitcnt lgkmcnt(0)
	v_cmp_lt_i16_sdwa s[16:17], sext(v39), sext(v38) src0_sel:BYTE_0 src1_sel:BYTE_0
	v_cmp_lt_i32_e64 s[12:13], v42, v17
	s_or_b64 s[14:15], s[14:15], s[16:17]
	s_and_b64 s[12:13], s[12:13], s[14:15]
	s_xor_b64 s[14:15], s[12:13], -1
                                        ; implicit-def: $vgpr40
	s_and_saveexec_b64 s[16:17], s[14:15]
	s_xor_b64 s[14:15], exec, s[16:17]
; %bb.59:                               ;   in Loop: Header=BB46_2 Depth=1
	ds_read_u8 v40, v43 offset:1
; %bb.60:                               ;   in Loop: Header=BB46_2 Depth=1
	s_or_saveexec_b64 s[14:15], s[14:15]
	v_mov_b32_e32 v41, v39
	s_xor_b64 exec, exec, s[14:15]
	s_cbranch_execz .LBB46_62
; %bb.61:                               ;   in Loop: Header=BB46_2 Depth=1
	ds_read_u8 v41, v42 offset:1
	s_waitcnt lgkmcnt(1)
	v_mov_b32_e32 v40, v38
.LBB46_62:                              ;   in Loop: Header=BB46_2 Depth=1
	s_or_b64 exec, exec, s[14:15]
	v_add_u32_e32 v45, 1, v43
	v_add_u32_e32 v44, 1, v42
	v_cndmask_b32_e64 v43, v45, v43, s[12:13]
	v_cndmask_b32_e64 v42, v42, v44, s[12:13]
	v_cmp_ge_i32_e64 s[16:17], v43, v16
	s_waitcnt lgkmcnt(0)
	v_cmp_lt_i16_sdwa s[28:29], sext(v41), sext(v40) src0_sel:BYTE_0 src1_sel:BYTE_0
	v_cmp_lt_i32_e64 s[14:15], v42, v17
	s_or_b64 s[16:17], s[16:17], s[28:29]
	s_and_b64 s[14:15], s[14:15], s[16:17]
	s_xor_b64 s[16:17], s[14:15], -1
                                        ; implicit-def: $vgpr44
	s_and_saveexec_b64 s[28:29], s[16:17]
	s_xor_b64 s[16:17], exec, s[28:29]
; %bb.63:                               ;   in Loop: Header=BB46_2 Depth=1
	ds_read_u8 v44, v43 offset:1
; %bb.64:                               ;   in Loop: Header=BB46_2 Depth=1
	s_or_saveexec_b64 s[16:17], s[16:17]
	v_mov_b32_e32 v45, v41
	s_xor_b64 exec, exec, s[16:17]
	s_cbranch_execz .LBB46_66
; %bb.65:                               ;   in Loop: Header=BB46_2 Depth=1
	ds_read_u8 v45, v42 offset:1
	s_waitcnt lgkmcnt(1)
	v_mov_b32_e32 v44, v40
.LBB46_66:                              ;   in Loop: Header=BB46_2 Depth=1
	s_or_b64 exec, exec, s[16:17]
	v_cndmask_b32_e64 v40, v40, v41, s[14:15]
	v_add_u32_e32 v41, 1, v42
	v_add_u32_e32 v46, 1, v43
	v_cndmask_b32_e64 v41, v42, v41, s[14:15]
	v_cndmask_b32_e64 v42, v46, v43, s[14:15]
	;; [unrolled: 1-line block ×3, first 2 shown]
	v_cmp_ge_i32_e64 s[12:13], v42, v16
	s_waitcnt lgkmcnt(0)
	v_cmp_lt_i16_sdwa s[14:15], sext(v45), sext(v44) src0_sel:BYTE_0 src1_sel:BYTE_0
	v_cndmask_b32_e64 v36, v36, v37, s[10:11]
	v_cmp_lt_i32_e64 s[10:11], v41, v17
	s_or_b64 s[12:13], s[12:13], s[14:15]
	s_and_b64 s[10:11], s[10:11], s[12:13]
	v_cndmask_b32_e64 v37, v44, v45, s[10:11]
	; wave barrier
	ds_write_b8 v2, v36
	ds_write_b8 v2, v38 offset:1
	ds_write_b8 v2, v40 offset:2
	;; [unrolled: 1-line block ×3, first 2 shown]
	v_mov_b32_e32 v36, v34
	s_waitcnt lgkmcnt(0)
	; wave barrier
	s_and_saveexec_b64 s[12:13], s[8:9]
	s_cbranch_execz .LBB46_70
; %bb.67:                               ;   in Loop: Header=BB46_2 Depth=1
	s_mov_b64 s[14:15], 0
	v_mov_b32_e32 v36, v34
	v_mov_b32_e32 v37, v29
.LBB46_68:                              ;   Parent Loop BB46_2 Depth=1
                                        ; =>  This Inner Loop Header: Depth=2
	v_sub_u32_e32 v38, v37, v36
	v_lshrrev_b32_e32 v38, 1, v38
	v_add_u32_e32 v38, v38, v36
	v_add_u32_e32 v39, v7, v38
	v_xad_u32 v40, v38, -1, v24
	ds_read_i8 v39, v39
	ds_read_i8 v40, v40
	v_add_u32_e32 v41, 1, v38
	s_waitcnt lgkmcnt(0)
	v_cmp_lt_i16_e64 s[10:11], v40, v39
	v_cndmask_b32_e64 v37, v37, v38, s[10:11]
	v_cndmask_b32_e64 v36, v41, v36, s[10:11]
	v_cmp_ge_i32_e64 s[10:11], v36, v37
	s_or_b64 s[14:15], s[10:11], s[14:15]
	s_andn2_b64 exec, exec, s[14:15]
	s_cbranch_execnz .LBB46_68
; %bb.69:                               ;   in Loop: Header=BB46_2 Depth=1
	s_or_b64 exec, exec, s[14:15]
.LBB46_70:                              ;   in Loop: Header=BB46_2 Depth=1
	s_or_b64 exec, exec, s[12:13]
	v_add_u32_e32 v40, v36, v7
	v_sub_u32_e32 v41, v24, v36
	ds_read_u8 v36, v40
	ds_read_u8 v37, v41
	v_cmp_le_i32_e64 s[12:13], v18, v40
	v_cmp_gt_i32_e64 s[10:11], v19, v41
                                        ; implicit-def: $vgpr38
	s_waitcnt lgkmcnt(1)
	v_bfe_i32 v36, v36, 0, 8
	s_waitcnt lgkmcnt(0)
	v_bfe_i32 v37, v37, 0, 8
	v_cmp_lt_i16_e64 s[14:15], v37, v36
	s_or_b64 s[12:13], s[12:13], s[14:15]
	s_and_b64 s[10:11], s[10:11], s[12:13]
	s_xor_b64 s[12:13], s[10:11], -1
	s_and_saveexec_b64 s[14:15], s[12:13]
	s_xor_b64 s[12:13], exec, s[14:15]
; %bb.71:                               ;   in Loop: Header=BB46_2 Depth=1
	ds_read_u8 v38, v40 offset:1
; %bb.72:                               ;   in Loop: Header=BB46_2 Depth=1
	s_or_saveexec_b64 s[12:13], s[12:13]
	v_mov_b32_e32 v39, v37
	s_xor_b64 exec, exec, s[12:13]
	s_cbranch_execz .LBB46_74
; %bb.73:                               ;   in Loop: Header=BB46_2 Depth=1
	ds_read_u8 v39, v41 offset:1
	s_waitcnt lgkmcnt(1)
	v_mov_b32_e32 v38, v36
.LBB46_74:                              ;   in Loop: Header=BB46_2 Depth=1
	s_or_b64 exec, exec, s[12:13]
	v_add_u32_e32 v43, 1, v40
	v_add_u32_e32 v42, 1, v41
	v_cndmask_b32_e64 v43, v43, v40, s[10:11]
	v_cndmask_b32_e64 v42, v41, v42, s[10:11]
	v_cmp_ge_i32_e64 s[14:15], v43, v18
	s_waitcnt lgkmcnt(0)
	v_cmp_lt_i16_sdwa s[16:17], sext(v39), sext(v38) src0_sel:BYTE_0 src1_sel:BYTE_0
	v_cmp_lt_i32_e64 s[12:13], v42, v19
	s_or_b64 s[14:15], s[14:15], s[16:17]
	s_and_b64 s[12:13], s[12:13], s[14:15]
	s_xor_b64 s[14:15], s[12:13], -1
                                        ; implicit-def: $vgpr40
	s_and_saveexec_b64 s[16:17], s[14:15]
	s_xor_b64 s[14:15], exec, s[16:17]
; %bb.75:                               ;   in Loop: Header=BB46_2 Depth=1
	ds_read_u8 v40, v43 offset:1
; %bb.76:                               ;   in Loop: Header=BB46_2 Depth=1
	s_or_saveexec_b64 s[14:15], s[14:15]
	v_mov_b32_e32 v41, v39
	s_xor_b64 exec, exec, s[14:15]
	s_cbranch_execz .LBB46_78
; %bb.77:                               ;   in Loop: Header=BB46_2 Depth=1
	ds_read_u8 v41, v42 offset:1
	s_waitcnt lgkmcnt(1)
	v_mov_b32_e32 v40, v38
.LBB46_78:                              ;   in Loop: Header=BB46_2 Depth=1
	s_or_b64 exec, exec, s[14:15]
	v_add_u32_e32 v45, 1, v43
	v_add_u32_e32 v44, 1, v42
	v_cndmask_b32_e64 v43, v45, v43, s[12:13]
	v_cndmask_b32_e64 v42, v42, v44, s[12:13]
	v_cmp_ge_i32_e64 s[16:17], v43, v18
	s_waitcnt lgkmcnt(0)
	v_cmp_lt_i16_sdwa s[28:29], sext(v41), sext(v40) src0_sel:BYTE_0 src1_sel:BYTE_0
	v_cmp_lt_i32_e64 s[14:15], v42, v19
	s_or_b64 s[16:17], s[16:17], s[28:29]
	s_and_b64 s[14:15], s[14:15], s[16:17]
	s_xor_b64 s[16:17], s[14:15], -1
                                        ; implicit-def: $vgpr44
	s_and_saveexec_b64 s[28:29], s[16:17]
	s_xor_b64 s[16:17], exec, s[28:29]
; %bb.79:                               ;   in Loop: Header=BB46_2 Depth=1
	ds_read_u8 v44, v43 offset:1
; %bb.80:                               ;   in Loop: Header=BB46_2 Depth=1
	s_or_saveexec_b64 s[16:17], s[16:17]
	v_mov_b32_e32 v45, v41
	s_xor_b64 exec, exec, s[16:17]
	s_cbranch_execz .LBB46_82
; %bb.81:                               ;   in Loop: Header=BB46_2 Depth=1
	ds_read_u8 v45, v42 offset:1
	s_waitcnt lgkmcnt(1)
	v_mov_b32_e32 v44, v40
.LBB46_82:                              ;   in Loop: Header=BB46_2 Depth=1
	s_or_b64 exec, exec, s[16:17]
	v_cndmask_b32_e64 v40, v40, v41, s[14:15]
	v_add_u32_e32 v41, 1, v42
	v_add_u32_e32 v46, 1, v43
	v_cndmask_b32_e64 v41, v42, v41, s[14:15]
	v_cndmask_b32_e64 v42, v46, v43, s[14:15]
	;; [unrolled: 1-line block ×3, first 2 shown]
	v_cmp_ge_i32_e64 s[12:13], v42, v18
	s_waitcnt lgkmcnt(0)
	v_cmp_lt_i16_sdwa s[14:15], sext(v45), sext(v44) src0_sel:BYTE_0 src1_sel:BYTE_0
	v_cndmask_b32_e64 v36, v36, v37, s[10:11]
	v_cmp_lt_i32_e64 s[10:11], v41, v19
	s_or_b64 s[12:13], s[12:13], s[14:15]
	s_and_b64 s[10:11], s[10:11], s[12:13]
	v_cndmask_b32_e64 v37, v44, v45, s[10:11]
	; wave barrier
	ds_write_b8 v2, v36
	ds_write_b8 v2, v38 offset:1
	ds_write_b8 v2, v40 offset:2
	;; [unrolled: 1-line block ×3, first 2 shown]
	v_mov_b32_e32 v40, v8
	s_waitcnt lgkmcnt(0)
	; wave barrier
	s_and_saveexec_b64 s[12:13], vcc
	s_cbranch_execz .LBB46_86
; %bb.83:                               ;   in Loop: Header=BB46_2 Depth=1
	s_mov_b64 s[14:15], 0
	v_mov_b32_e32 v40, v8
	v_mov_b32_e32 v36, v9
.LBB46_84:                              ;   Parent Loop BB46_2 Depth=1
                                        ; =>  This Inner Loop Header: Depth=2
	v_sub_u32_e32 v37, v36, v40
	v_lshrrev_b32_e32 v37, 1, v37
	v_add_u32_e32 v37, v37, v40
	v_xad_u32 v38, v37, -1, v35
	ds_read_i8 v39, v37
	ds_read_i8 v38, v38
	v_add_u32_e32 v41, 1, v37
	s_waitcnt lgkmcnt(0)
	v_cmp_lt_i16_e64 s[10:11], v38, v39
	v_cndmask_b32_e64 v36, v36, v37, s[10:11]
	v_cndmask_b32_e64 v40, v41, v40, s[10:11]
	v_cmp_ge_i32_e64 s[10:11], v40, v36
	s_or_b64 s[14:15], s[10:11], s[14:15]
	s_andn2_b64 exec, exec, s[14:15]
	s_cbranch_execnz .LBB46_84
; %bb.85:                               ;   in Loop: Header=BB46_2 Depth=1
	s_or_b64 exec, exec, s[14:15]
.LBB46_86:                              ;   in Loop: Header=BB46_2 Depth=1
	s_or_b64 exec, exec, s[12:13]
	v_sub_u32_e32 v41, v35, v40
	ds_read_u8 v36, v40
	ds_read_u8 v37, v41
	v_cmp_le_i32_e64 s[12:13], v1, v40
	v_cmp_gt_i32_e64 s[10:11], s27, v41
                                        ; implicit-def: $vgpr38
	s_waitcnt lgkmcnt(1)
	v_bfe_i32 v36, v36, 0, 8
	s_waitcnt lgkmcnt(0)
	v_bfe_i32 v37, v37, 0, 8
	v_cmp_lt_i16_e64 s[14:15], v37, v36
	s_or_b64 s[12:13], s[12:13], s[14:15]
	s_and_b64 s[10:11], s[10:11], s[12:13]
	s_xor_b64 s[12:13], s[10:11], -1
	s_and_saveexec_b64 s[14:15], s[12:13]
	s_xor_b64 s[12:13], exec, s[14:15]
; %bb.87:                               ;   in Loop: Header=BB46_2 Depth=1
	ds_read_u8 v38, v40 offset:1
; %bb.88:                               ;   in Loop: Header=BB46_2 Depth=1
	s_or_saveexec_b64 s[12:13], s[12:13]
	v_mov_b32_e32 v39, v37
	s_xor_b64 exec, exec, s[12:13]
	s_cbranch_execz .LBB46_90
; %bb.89:                               ;   in Loop: Header=BB46_2 Depth=1
	ds_read_u8 v39, v41 offset:1
	s_waitcnt lgkmcnt(1)
	v_mov_b32_e32 v38, v36
.LBB46_90:                              ;   in Loop: Header=BB46_2 Depth=1
	s_or_b64 exec, exec, s[12:13]
	v_add_u32_e32 v43, 1, v40
	v_add_u32_e32 v42, 1, v41
	v_cndmask_b32_e64 v43, v43, v40, s[10:11]
	v_cndmask_b32_e64 v42, v41, v42, s[10:11]
	v_cmp_ge_i32_e64 s[14:15], v43, v1
	s_waitcnt lgkmcnt(0)
	v_cmp_lt_i16_sdwa s[16:17], sext(v39), sext(v38) src0_sel:BYTE_0 src1_sel:BYTE_0
	v_cmp_gt_i32_e64 s[12:13], s27, v42
	s_or_b64 s[14:15], s[14:15], s[16:17]
	s_and_b64 s[12:13], s[12:13], s[14:15]
	s_xor_b64 s[14:15], s[12:13], -1
                                        ; implicit-def: $vgpr40
	s_and_saveexec_b64 s[16:17], s[14:15]
	s_xor_b64 s[14:15], exec, s[16:17]
; %bb.91:                               ;   in Loop: Header=BB46_2 Depth=1
	ds_read_u8 v40, v43 offset:1
; %bb.92:                               ;   in Loop: Header=BB46_2 Depth=1
	s_or_saveexec_b64 s[14:15], s[14:15]
	v_mov_b32_e32 v41, v39
	s_xor_b64 exec, exec, s[14:15]
	s_cbranch_execz .LBB46_94
; %bb.93:                               ;   in Loop: Header=BB46_2 Depth=1
	ds_read_u8 v41, v42 offset:1
	s_waitcnt lgkmcnt(1)
	v_mov_b32_e32 v40, v38
.LBB46_94:                              ;   in Loop: Header=BB46_2 Depth=1
	s_or_b64 exec, exec, s[14:15]
	v_add_u32_e32 v45, 1, v43
	v_add_u32_e32 v44, 1, v42
	v_cndmask_b32_e64 v45, v45, v43, s[12:13]
	v_cndmask_b32_e64 v42, v42, v44, s[12:13]
	v_cmp_ge_i32_e64 s[16:17], v45, v1
	s_waitcnt lgkmcnt(0)
	v_cmp_lt_i16_sdwa s[28:29], sext(v41), sext(v40) src0_sel:BYTE_0 src1_sel:BYTE_0
	v_cmp_gt_i32_e64 s[14:15], s27, v42
	s_or_b64 s[16:17], s[16:17], s[28:29]
	s_and_b64 s[14:15], s[14:15], s[16:17]
	s_xor_b64 s[16:17], s[14:15], -1
                                        ; implicit-def: $vgpr43
                                        ; implicit-def: $vgpr44
	s_and_saveexec_b64 s[28:29], s[16:17]
	s_xor_b64 s[16:17], exec, s[28:29]
; %bb.95:                               ;   in Loop: Header=BB46_2 Depth=1
	ds_read_u8 v43, v45 offset:1
	v_add_u32_e32 v44, 1, v45
                                        ; implicit-def: $vgpr45
; %bb.96:                               ;   in Loop: Header=BB46_2 Depth=1
	s_or_saveexec_b64 s[16:17], s[16:17]
	v_mov_b32_e32 v46, v41
	s_xor_b64 exec, exec, s[16:17]
	s_cbranch_execz .LBB46_1
; %bb.97:                               ;   in Loop: Header=BB46_2 Depth=1
	ds_read_u8 v46, v42 offset:1
	v_add_u32_e32 v42, 1, v42
	v_mov_b32_e32 v44, v45
	s_waitcnt lgkmcnt(1)
	v_mov_b32_e32 v43, v40
	s_branch .LBB46_1
.LBB46_98:
	s_add_u32 s0, s18, s20
	s_addc_u32 s1, s19, 0
	v_mov_b32_e32 v1, s1
	v_add_co_u32_e32 v0, vcc, s0, v0
	v_addc_co_u32_e32 v1, vcc, 0, v1, vcc
	global_store_byte v[0:1], v36, off
	global_store_byte v[0:1], v37, off offset:64
	global_store_byte v[0:1], v38, off offset:128
	;; [unrolled: 1-line block ×3, first 2 shown]
	s_endpgm
	.section	.rodata,"a",@progbits
	.p2align	6, 0x0
	.amdhsa_kernel _Z16sort_keys_kernelIaLj64ELj4EN10test_utils4lessELj10EEvPKT_PS2_T2_
		.amdhsa_group_segment_fixed_size 257
		.amdhsa_private_segment_fixed_size 0
		.amdhsa_kernarg_size 20
		.amdhsa_user_sgpr_count 6
		.amdhsa_user_sgpr_private_segment_buffer 1
		.amdhsa_user_sgpr_dispatch_ptr 0
		.amdhsa_user_sgpr_queue_ptr 0
		.amdhsa_user_sgpr_kernarg_segment_ptr 1
		.amdhsa_user_sgpr_dispatch_id 0
		.amdhsa_user_sgpr_flat_scratch_init 0
		.amdhsa_user_sgpr_private_segment_size 0
		.amdhsa_uses_dynamic_stack 0
		.amdhsa_system_sgpr_private_segment_wavefront_offset 0
		.amdhsa_system_sgpr_workgroup_id_x 1
		.amdhsa_system_sgpr_workgroup_id_y 0
		.amdhsa_system_sgpr_workgroup_id_z 0
		.amdhsa_system_sgpr_workgroup_info 0
		.amdhsa_system_vgpr_workitem_id 0
		.amdhsa_next_free_vgpr 48
		.amdhsa_next_free_sgpr 30
		.amdhsa_reserve_vcc 1
		.amdhsa_reserve_flat_scratch 0
		.amdhsa_float_round_mode_32 0
		.amdhsa_float_round_mode_16_64 0
		.amdhsa_float_denorm_mode_32 3
		.amdhsa_float_denorm_mode_16_64 3
		.amdhsa_dx10_clamp 1
		.amdhsa_ieee_mode 1
		.amdhsa_fp16_overflow 0
		.amdhsa_exception_fp_ieee_invalid_op 0
		.amdhsa_exception_fp_denorm_src 0
		.amdhsa_exception_fp_ieee_div_zero 0
		.amdhsa_exception_fp_ieee_overflow 0
		.amdhsa_exception_fp_ieee_underflow 0
		.amdhsa_exception_fp_ieee_inexact 0
		.amdhsa_exception_int_div_zero 0
	.end_amdhsa_kernel
	.section	.text._Z16sort_keys_kernelIaLj64ELj4EN10test_utils4lessELj10EEvPKT_PS2_T2_,"axG",@progbits,_Z16sort_keys_kernelIaLj64ELj4EN10test_utils4lessELj10EEvPKT_PS2_T2_,comdat
.Lfunc_end46:
	.size	_Z16sort_keys_kernelIaLj64ELj4EN10test_utils4lessELj10EEvPKT_PS2_T2_, .Lfunc_end46-_Z16sort_keys_kernelIaLj64ELj4EN10test_utils4lessELj10EEvPKT_PS2_T2_
                                        ; -- End function
	.set _Z16sort_keys_kernelIaLj64ELj4EN10test_utils4lessELj10EEvPKT_PS2_T2_.num_vgpr, 48
	.set _Z16sort_keys_kernelIaLj64ELj4EN10test_utils4lessELj10EEvPKT_PS2_T2_.num_agpr, 0
	.set _Z16sort_keys_kernelIaLj64ELj4EN10test_utils4lessELj10EEvPKT_PS2_T2_.numbered_sgpr, 30
	.set _Z16sort_keys_kernelIaLj64ELj4EN10test_utils4lessELj10EEvPKT_PS2_T2_.num_named_barrier, 0
	.set _Z16sort_keys_kernelIaLj64ELj4EN10test_utils4lessELj10EEvPKT_PS2_T2_.private_seg_size, 0
	.set _Z16sort_keys_kernelIaLj64ELj4EN10test_utils4lessELj10EEvPKT_PS2_T2_.uses_vcc, 1
	.set _Z16sort_keys_kernelIaLj64ELj4EN10test_utils4lessELj10EEvPKT_PS2_T2_.uses_flat_scratch, 0
	.set _Z16sort_keys_kernelIaLj64ELj4EN10test_utils4lessELj10EEvPKT_PS2_T2_.has_dyn_sized_stack, 0
	.set _Z16sort_keys_kernelIaLj64ELj4EN10test_utils4lessELj10EEvPKT_PS2_T2_.has_recursion, 0
	.set _Z16sort_keys_kernelIaLj64ELj4EN10test_utils4lessELj10EEvPKT_PS2_T2_.has_indirect_call, 0
	.section	.AMDGPU.csdata,"",@progbits
; Kernel info:
; codeLenInByte = 4608
; TotalNumSgprs: 34
; NumVgprs: 48
; ScratchSize: 0
; MemoryBound: 0
; FloatMode: 240
; IeeeMode: 1
; LDSByteSize: 257 bytes/workgroup (compile time only)
; SGPRBlocks: 4
; VGPRBlocks: 11
; NumSGPRsForWavesPerEU: 34
; NumVGPRsForWavesPerEU: 48
; Occupancy: 5
; WaveLimiterHint : 0
; COMPUTE_PGM_RSRC2:SCRATCH_EN: 0
; COMPUTE_PGM_RSRC2:USER_SGPR: 6
; COMPUTE_PGM_RSRC2:TRAP_HANDLER: 0
; COMPUTE_PGM_RSRC2:TGID_X_EN: 1
; COMPUTE_PGM_RSRC2:TGID_Y_EN: 0
; COMPUTE_PGM_RSRC2:TGID_Z_EN: 0
; COMPUTE_PGM_RSRC2:TIDIG_COMP_CNT: 0
	.section	.text._Z17sort_pairs_kernelIaLj64ELj4EN10test_utils4lessELj10EEvPKT_PS2_T2_,"axG",@progbits,_Z17sort_pairs_kernelIaLj64ELj4EN10test_utils4lessELj10EEvPKT_PS2_T2_,comdat
	.protected	_Z17sort_pairs_kernelIaLj64ELj4EN10test_utils4lessELj10EEvPKT_PS2_T2_ ; -- Begin function _Z17sort_pairs_kernelIaLj64ELj4EN10test_utils4lessELj10EEvPKT_PS2_T2_
	.globl	_Z17sort_pairs_kernelIaLj64ELj4EN10test_utils4lessELj10EEvPKT_PS2_T2_
	.p2align	8
	.type	_Z17sort_pairs_kernelIaLj64ELj4EN10test_utils4lessELj10EEvPKT_PS2_T2_,@function
_Z17sort_pairs_kernelIaLj64ELj4EN10test_utils4lessELj10EEvPKT_PS2_T2_: ; @_Z17sort_pairs_kernelIaLj64ELj4EN10test_utils4lessELj10EEvPKT_PS2_T2_
; %bb.0:
	s_load_dwordx4 s[28:31], s[4:5], 0x0
	s_lshl_b32 s33, s6, 8
	v_lshlrev_b32_e32 v2, 2, v0
	v_and_b32_e32 v3, 0xf8, v2
	v_and_b32_e32 v4, 0xf0, v2
	s_waitcnt lgkmcnt(0)
	s_add_u32 s0, s28, s33
	s_addc_u32 s1, s29, 0
	global_load_ubyte v41, v0, s[0:1]
	global_load_ubyte v42, v0, s[0:1] offset:64
	global_load_ubyte v43, v0, s[0:1] offset:128
	;; [unrolled: 1-line block ×3, first 2 shown]
	v_or_b32_e32 v10, 4, v3
	v_add_u32_e32 v11, 8, v3
	v_and_b32_e32 v30, 4, v2
	v_and_b32_e32 v5, 0xe0, v2
	v_or_b32_e32 v12, 8, v4
	v_add_u32_e32 v13, 16, v4
	v_sub_u32_e32 v35, v11, v10
	v_and_b32_e32 v31, 12, v2
	v_and_b32_e32 v6, 0xc0, v2
	v_or_b32_e32 v14, 16, v5
	v_add_u32_e32 v15, 32, v5
	v_sub_u32_e32 v36, v13, v12
	v_sub_u32_e32 v25, v10, v3
	v_sub_u32_e32 v44, v30, v35
	v_cmp_ge_i32_e64 s[0:1], v30, v35
	v_and_b32_e32 v32, 28, v2
	v_and_b32_e32 v7, 0x80, v2
	v_or_b32_e32 v16, 32, v6
	v_add_u32_e32 v17, 64, v6
	v_sub_u32_e32 v37, v15, v14
	v_add_u32_e32 v20, v10, v30
	v_sub_u32_e32 v26, v12, v4
	v_sub_u32_e32 v45, v31, v36
	v_min_i32_e32 v25, v30, v25
	v_cndmask_b32_e64 v30, 0, v44, s[0:1]
	v_cmp_ge_i32_e64 s[0:1], v31, v36
	v_and_b32_e32 v33, 60, v2
	v_or_b32_e32 v18, 64, v7
	v_add_u32_e32 v19, 0x80, v7
	v_sub_u32_e32 v38, v17, v16
	v_add_u32_e32 v21, v12, v31
	v_sub_u32_e32 v27, v14, v5
	v_sub_u32_e32 v46, v32, v37
	v_min_i32_e32 v26, v31, v26
	v_cndmask_b32_e64 v31, 0, v45, s[0:1]
	v_cmp_ge_i32_e64 s[0:1], v32, v37
	v_and_b32_e32 v34, 0x7c, v2
	v_sub_u32_e32 v39, v19, v18
	v_add_u32_e32 v22, v14, v32
	v_sub_u32_e32 v28, v16, v6
	v_sub_u32_e32 v47, v33, v38
	v_min_i32_e32 v27, v32, v27
	v_cndmask_b32_e64 v32, 0, v46, s[0:1]
	v_cmp_ge_i32_e64 s[0:1], v33, v38
	v_mov_b32_e32 v1, 0x80
	v_add_u32_e32 v23, v16, v33
	v_sub_u32_e32 v29, v18, v7
	v_sub_u32_e32 v48, v34, v39
	v_min_i32_e32 v28, v33, v28
	v_cndmask_b32_e64 v33, 0, v47, s[0:1]
	v_cmp_ge_i32_e64 s[0:1], v34, v39
	v_sub_u32_e64 v8, v2, v1 clamp
	v_min_i32_e32 v9, 0x80, v2
	v_add_u32_e32 v24, v18, v34
	v_min_i32_e32 v29, v34, v29
	v_cndmask_b32_e64 v34, 0, v48, s[0:1]
	s_mov_b32 s34, 0
	s_mov_b32 s35, 0xc0c0004
	;; [unrolled: 1-line block ×4, first 2 shown]
	s_movk_i32 s38, 0xff00
	s_mov_b32 s39, 0xffff0000
	s_mov_b32 s40, 0x7050604
	s_movk_i32 s41, 0x100
	v_cmp_lt_i32_e32 vcc, v8, v9
	v_cmp_lt_i32_e64 s[0:1], v30, v25
	v_cmp_lt_i32_e64 s[2:3], v31, v26
	;; [unrolled: 1-line block ×5, first 2 shown]
	v_add_u32_e32 v35, 0x80, v2
	s_waitcnt vmcnt(3)
	v_add_u16_e32 v36, 1, v41
	s_waitcnt vmcnt(2)
	v_add_u16_e32 v37, 1, v42
	;; [unrolled: 2-line block ×4, first 2 shown]
	s_branch .LBB47_2
.LBB47_1:                               ;   in Loop: Header=BB47_2 Depth=1
	s_or_b64 exec, exec, s[16:17]
	v_cmp_ge_i32_e64 s[16:17], v52, v1
	s_waitcnt lgkmcnt(0)
	v_cmp_lt_i16_sdwa s[18:19], sext(v55), sext(v53) src0_sel:BYTE_0 src1_sel:BYTE_0
	v_cndmask_b32_e64 v41, v41, v45, s[10:11]
	v_cndmask_b32_e64 v43, v40, v43, s[10:11]
	v_cmp_gt_i32_e64 s[10:11], s41, v50
	s_or_b64 s[16:17], s[16:17], s[18:19]
	s_and_b64 s[10:11], s[10:11], s[16:17]
	v_cndmask_b32_e64 v45, v49, v48, s[12:13]
	v_cndmask_b32_e64 v48, v52, v50, s[10:11]
	; wave barrier
	ds_write_b8 v2, v36
	ds_write_b8 v2, v38 offset:1
	ds_write_b8 v2, v39 offset:2
	ds_write_b8 v2, v37 offset:3
	s_waitcnt lgkmcnt(0)
	; wave barrier
	ds_read_u8 v36, v43
	ds_read_u8 v38, v51
	;; [unrolled: 1-line block ×4, first 2 shown]
	s_add_i32 s34, s34, 1
	v_cndmask_b32_e64 v40, v53, v55, s[10:11]
	v_cndmask_b32_e64 v42, v42, v44, s[12:13]
	s_cmp_eq_u32 s34, 10
	v_cndmask_b32_e64 v43, v46, v47, s[14:15]
	s_cbranch_scc1 .LBB47_98
.LBB47_2:                               ; =>This Loop Header: Depth=1
                                        ;     Child Loop BB47_4 Depth 2
                                        ;     Child Loop BB47_20 Depth 2
	;; [unrolled: 1-line block ×6, first 2 shown]
	v_perm_b32 v40, v43, v40, s35
	v_lshlrev_b32_e32 v40, 16, v40
	v_perm_b32 v43, v42, v41, s35
	v_perm_b32 v44, v41, v42, s35
	v_or_b32_e32 v43, v43, v40
	v_or_b32_e32 v40, v44, v40
	v_cmp_lt_i16_sdwa s[10:11], sext(v42), sext(v41) src0_sel:BYTE_0 src1_sel:BYTE_0
	v_cndmask_b32_e64 v40, v40, v43, s[10:11]
	v_lshrrev_b32_e32 v41, 16, v40
	v_perm_b32 v42, 0, v41, s36
	v_lshrrev_b32_e32 v43, 24, v40
	v_lshlrev_b32_e32 v42, 16, v42
	v_and_or_b32 v42, v40, s37, v42
	v_cmp_lt_i16_sdwa s[12:13], sext(v43), sext(v41) src0_sel:BYTE_0 src1_sel:BYTE_0
	v_cndmask_b32_e64 v40, v40, v42, s[12:13]
	v_min_i16_sdwa v41, sext(v43), sext(v41) dst_sel:DWORD dst_unused:UNUSED_PAD src0_sel:BYTE_0 src1_sel:BYTE_0
	v_and_b32_sdwa v42, v40, s38 dst_sel:DWORD dst_unused:UNUSED_PAD src0_sel:WORD_1 src1_sel:DWORD
	v_lshlrev_b16_e32 v44, 8, v41
	v_or_b32_sdwa v42, v40, v42 dst_sel:WORD_1 dst_unused:UNUSED_PAD src0_sel:BYTE_1 src1_sel:DWORD
	v_lshrrev_b32_e32 v43, 8, v40
	v_or_b32_sdwa v44, v40, v44 dst_sel:DWORD dst_unused:UNUSED_PAD src0_sel:BYTE_0 src1_sel:DWORD
	v_or_b32_sdwa v42, v44, v42 dst_sel:DWORD dst_unused:UNUSED_PAD src0_sel:WORD_0 src1_sel:DWORD
	v_cmp_lt_i16_sdwa s[14:15], v41, sext(v43) src0_sel:DWORD src1_sel:BYTE_0
	v_cndmask_b32_e64 v40, v40, v42, s[14:15]
	v_lshlrev_b16_e32 v42, 8, v40
	v_min_i16_sdwa v41, v41, sext(v43) dst_sel:DWORD dst_unused:UNUSED_PAD src0_sel:DWORD src1_sel:BYTE_0
	v_or_b32_sdwa v42, v41, v42 dst_sel:DWORD dst_unused:UNUSED_PAD src0_sel:BYTE_0 src1_sel:DWORD
	v_and_b32_e32 v42, 0xffff, v42
	v_and_or_b32 v42, v40, s39, v42
	v_cmp_lt_i16_sdwa s[16:17], v41, sext(v40) src0_sel:DWORD src1_sel:BYTE_0
	v_cndmask_b32_e64 v40, v40, v42, s[16:17]
	v_lshrrev_b32_e32 v41, 16, v40
	v_perm_b32 v42, 0, v41, s36
	v_lshrrev_b32_e32 v43, 24, v40
	v_lshlrev_b32_e32 v42, 16, v42
	v_and_or_b32 v42, v40, s37, v42
	v_cmp_lt_i16_sdwa s[18:19], sext(v43), sext(v41) src0_sel:BYTE_0 src1_sel:BYTE_0
	v_cndmask_b32_e64 v40, v40, v42, s[18:19]
	v_min_i16_sdwa v41, sext(v43), sext(v41) dst_sel:DWORD dst_unused:UNUSED_PAD src0_sel:BYTE_0 src1_sel:BYTE_0
	v_and_b32_sdwa v42, v40, s38 dst_sel:DWORD dst_unused:UNUSED_PAD src0_sel:WORD_1 src1_sel:DWORD
	v_lshlrev_b16_e32 v44, 8, v41
	v_or_b32_sdwa v42, v40, v42 dst_sel:WORD_1 dst_unused:UNUSED_PAD src0_sel:BYTE_1 src1_sel:DWORD
	v_lshrrev_b32_e32 v43, 8, v40
	v_or_b32_sdwa v44, v40, v44 dst_sel:DWORD dst_unused:UNUSED_PAD src0_sel:BYTE_0 src1_sel:DWORD
	v_or_b32_sdwa v42, v44, v42 dst_sel:DWORD dst_unused:UNUSED_PAD src0_sel:WORD_0 src1_sel:DWORD
	v_cmp_lt_i16_sdwa s[20:21], v41, sext(v43) src0_sel:DWORD src1_sel:BYTE_0
	v_cndmask_b32_e64 v40, v40, v42, s[20:21]
	v_mov_b32_e32 v41, v30
	; wave barrier
	ds_write_b32 v2, v40
	s_waitcnt lgkmcnt(0)
	; wave barrier
	s_and_saveexec_b64 s[24:25], s[0:1]
	s_cbranch_execz .LBB47_6
; %bb.3:                                ;   in Loop: Header=BB47_2 Depth=1
	s_mov_b64 s[26:27], 0
	v_mov_b32_e32 v41, v30
	v_mov_b32_e32 v40, v25
.LBB47_4:                               ;   Parent Loop BB47_2 Depth=1
                                        ; =>  This Inner Loop Header: Depth=2
	v_sub_u32_e32 v42, v40, v41
	v_lshrrev_b32_e32 v42, 1, v42
	v_add_u32_e32 v42, v42, v41
	v_add_u32_e32 v43, v3, v42
	v_xad_u32 v44, v42, -1, v20
	ds_read_i8 v43, v43
	ds_read_i8 v44, v44
	v_add_u32_e32 v45, 1, v42
	s_waitcnt lgkmcnt(0)
	v_cmp_lt_i16_e64 s[22:23], v44, v43
	v_cndmask_b32_e64 v40, v40, v42, s[22:23]
	v_cndmask_b32_e64 v41, v45, v41, s[22:23]
	v_cmp_ge_i32_e64 s[22:23], v41, v40
	s_or_b64 s[26:27], s[22:23], s[26:27]
	s_andn2_b64 exec, exec, s[26:27]
	s_cbranch_execnz .LBB47_4
; %bb.5:                                ;   in Loop: Header=BB47_2 Depth=1
	s_or_b64 exec, exec, s[26:27]
.LBB47_6:                               ;   in Loop: Header=BB47_2 Depth=1
	s_or_b64 exec, exec, s[24:25]
	v_add_u32_e32 v40, v41, v3
	v_sub_u32_e32 v41, v20, v41
	ds_read_u8 v42, v40
	ds_read_u8 v43, v41
	v_cmp_le_i32_e64 s[24:25], v10, v40
	v_cmp_gt_i32_e64 s[22:23], v11, v41
                                        ; implicit-def: $vgpr44
	s_waitcnt lgkmcnt(1)
	v_bfe_i32 v42, v42, 0, 8
	s_waitcnt lgkmcnt(0)
	v_bfe_i32 v43, v43, 0, 8
	v_cmp_lt_i16_e64 s[26:27], v43, v42
	s_or_b64 s[24:25], s[24:25], s[26:27]
	s_and_b64 s[22:23], s[22:23], s[24:25]
	s_xor_b64 s[24:25], s[22:23], -1
	s_and_saveexec_b64 s[26:27], s[24:25]
	s_xor_b64 s[24:25], exec, s[26:27]
; %bb.7:                                ;   in Loop: Header=BB47_2 Depth=1
	ds_read_u8 v44, v40 offset:1
; %bb.8:                                ;   in Loop: Header=BB47_2 Depth=1
	s_or_saveexec_b64 s[24:25], s[24:25]
	v_mov_b32_e32 v45, v43
	s_xor_b64 exec, exec, s[24:25]
	s_cbranch_execz .LBB47_10
; %bb.9:                                ;   in Loop: Header=BB47_2 Depth=1
	ds_read_u8 v45, v41 offset:1
	s_waitcnt lgkmcnt(1)
	v_mov_b32_e32 v44, v42
.LBB47_10:                              ;   in Loop: Header=BB47_2 Depth=1
	s_or_b64 exec, exec, s[24:25]
	v_add_u32_e32 v47, 1, v40
	v_add_u32_e32 v46, 1, v41
	v_cndmask_b32_e64 v47, v47, v40, s[22:23]
	v_cndmask_b32_e64 v46, v41, v46, s[22:23]
	v_cmp_ge_i32_e64 s[26:27], v47, v10
	s_waitcnt lgkmcnt(0)
	v_cmp_lt_i16_sdwa s[28:29], sext(v45), sext(v44) src0_sel:BYTE_0 src1_sel:BYTE_0
	v_cmp_lt_i32_e64 s[24:25], v46, v11
	s_or_b64 s[26:27], s[26:27], s[28:29]
	s_and_b64 s[24:25], s[24:25], s[26:27]
	s_xor_b64 s[26:27], s[24:25], -1
                                        ; implicit-def: $vgpr48
	s_and_saveexec_b64 s[28:29], s[26:27]
	s_xor_b64 s[26:27], exec, s[28:29]
; %bb.11:                               ;   in Loop: Header=BB47_2 Depth=1
	ds_read_u8 v48, v47 offset:1
; %bb.12:                               ;   in Loop: Header=BB47_2 Depth=1
	s_or_saveexec_b64 s[26:27], s[26:27]
	v_mov_b32_e32 v50, v45
	s_xor_b64 exec, exec, s[26:27]
	s_cbranch_execz .LBB47_14
; %bb.13:                               ;   in Loop: Header=BB47_2 Depth=1
	ds_read_u8 v50, v46 offset:1
	s_waitcnt lgkmcnt(1)
	v_mov_b32_e32 v48, v44
.LBB47_14:                              ;   in Loop: Header=BB47_2 Depth=1
	s_or_b64 exec, exec, s[26:27]
	v_add_u32_e32 v51, 1, v47
	v_add_u32_e32 v49, 1, v46
	v_cndmask_b32_e64 v53, v51, v47, s[24:25]
	v_cndmask_b32_e64 v52, v46, v49, s[24:25]
	v_cmp_ge_i32_e64 s[28:29], v53, v10
	s_waitcnt lgkmcnt(0)
	v_cmp_lt_i16_sdwa s[42:43], sext(v50), sext(v48) src0_sel:BYTE_0 src1_sel:BYTE_0
	v_cmp_lt_i32_e64 s[26:27], v52, v11
	s_or_b64 s[28:29], s[28:29], s[42:43]
	s_and_b64 s[26:27], s[26:27], s[28:29]
	s_xor_b64 s[28:29], s[26:27], -1
                                        ; implicit-def: $vgpr49
	s_and_saveexec_b64 s[42:43], s[28:29]
	s_xor_b64 s[28:29], exec, s[42:43]
; %bb.15:                               ;   in Loop: Header=BB47_2 Depth=1
	ds_read_u8 v49, v53 offset:1
; %bb.16:                               ;   in Loop: Header=BB47_2 Depth=1
	s_or_saveexec_b64 s[28:29], s[28:29]
	v_mov_b32_e32 v51, v50
	s_xor_b64 exec, exec, s[28:29]
	s_cbranch_execz .LBB47_18
; %bb.17:                               ;   in Loop: Header=BB47_2 Depth=1
	ds_read_u8 v51, v52 offset:1
	s_waitcnt lgkmcnt(1)
	v_mov_b32_e32 v49, v48
.LBB47_18:                              ;   in Loop: Header=BB47_2 Depth=1
	s_or_b64 exec, exec, s[28:29]
	v_perm_b32 v38, v38, v39, s35
	v_perm_b32 v39, v37, v36, s35
	;; [unrolled: 1-line block ×3, first 2 shown]
	v_cndmask_b32_e64 v36, v36, v39, s[10:11]
	v_perm_b32 v37, 0, v38, s36
	v_lshl_or_b32 v36, v38, 16, v36
	v_lshlrev_b32_e32 v37, 16, v37
	v_and_or_b32 v37, v36, s37, v37
	v_cndmask_b32_e64 v36, v36, v37, s[12:13]
	v_perm_b32 v37, v36, v36, s40
	v_cndmask_b32_e64 v36, v36, v37, s[14:15]
	v_perm_b32 v37, 0, v36, s36
	v_and_or_b32 v37, v36, s39, v37
	v_cndmask_b32_e64 v36, v36, v37, s[16:17]
	v_lshrrev_b32_e32 v37, 16, v36
	v_add_u32_e32 v54, 1, v53
	v_perm_b32 v37, 0, v37, s36
	v_cndmask_b32_e64 v48, v48, v50, s[26:27]
	v_add_u32_e32 v50, 1, v52
	v_cndmask_b32_e64 v54, v54, v53, s[26:27]
	v_lshlrev_b32_e32 v37, 16, v37
	v_cndmask_b32_e64 v50, v52, v50, s[26:27]
	v_and_or_b32 v37, v36, s37, v37
	v_cmp_ge_i32_e64 s[12:13], v54, v10
	s_waitcnt lgkmcnt(0)
	v_cmp_lt_i16_sdwa s[14:15], sext(v51), sext(v49) src0_sel:BYTE_0 src1_sel:BYTE_0
	v_cndmask_b32_e64 v36, v36, v37, s[18:19]
	v_cmp_lt_i32_e64 s[10:11], v50, v11
	s_or_b64 s[12:13], s[12:13], s[14:15]
	v_perm_b32 v37, v36, v36, s40
	s_and_b64 s[10:11], s[10:11], s[12:13]
	v_cndmask_b32_e64 v40, v40, v41, s[22:23]
	v_cndmask_b32_e64 v36, v36, v37, s[20:21]
	;; [unrolled: 1-line block ×6, first 2 shown]
	; wave barrier
	ds_write_b32 v2, v36
	s_waitcnt lgkmcnt(0)
	; wave barrier
	ds_read_u8 v36, v40
	ds_read_u8 v37, v37
	;; [unrolled: 1-line block ×4, first 2 shown]
	v_cndmask_b32_e64 v42, v42, v43, s[22:23]
	v_cndmask_b32_e64 v41, v49, v51, s[10:11]
	s_waitcnt lgkmcnt(0)
	; wave barrier
	ds_write_b8 v2, v42
	ds_write_b8 v2, v44 offset:1
	ds_write_b8 v2, v48 offset:2
	;; [unrolled: 1-line block ×3, first 2 shown]
	v_mov_b32_e32 v41, v31
	s_waitcnt lgkmcnt(0)
	; wave barrier
	s_and_saveexec_b64 s[12:13], s[2:3]
	s_cbranch_execz .LBB47_22
; %bb.19:                               ;   in Loop: Header=BB47_2 Depth=1
	s_mov_b64 s[14:15], 0
	v_mov_b32_e32 v41, v31
	v_mov_b32_e32 v40, v26
.LBB47_20:                              ;   Parent Loop BB47_2 Depth=1
                                        ; =>  This Inner Loop Header: Depth=2
	v_sub_u32_e32 v42, v40, v41
	v_lshrrev_b32_e32 v42, 1, v42
	v_add_u32_e32 v42, v42, v41
	v_add_u32_e32 v43, v4, v42
	v_xad_u32 v44, v42, -1, v21
	ds_read_i8 v43, v43
	ds_read_i8 v44, v44
	v_add_u32_e32 v45, 1, v42
	s_waitcnt lgkmcnt(0)
	v_cmp_lt_i16_e64 s[10:11], v44, v43
	v_cndmask_b32_e64 v40, v40, v42, s[10:11]
	v_cndmask_b32_e64 v41, v45, v41, s[10:11]
	v_cmp_ge_i32_e64 s[10:11], v41, v40
	s_or_b64 s[14:15], s[10:11], s[14:15]
	s_andn2_b64 exec, exec, s[14:15]
	s_cbranch_execnz .LBB47_20
; %bb.21:                               ;   in Loop: Header=BB47_2 Depth=1
	s_or_b64 exec, exec, s[14:15]
.LBB47_22:                              ;   in Loop: Header=BB47_2 Depth=1
	s_or_b64 exec, exec, s[12:13]
	v_add_u32_e32 v40, v41, v4
	v_sub_u32_e32 v41, v21, v41
	ds_read_u8 v42, v40
	ds_read_u8 v43, v41
	v_cmp_le_i32_e64 s[12:13], v12, v40
	v_cmp_gt_i32_e64 s[10:11], v13, v41
                                        ; implicit-def: $vgpr44
	s_waitcnt lgkmcnt(1)
	v_bfe_i32 v42, v42, 0, 8
	s_waitcnt lgkmcnt(0)
	v_bfe_i32 v43, v43, 0, 8
	v_cmp_lt_i16_e64 s[14:15], v43, v42
	s_or_b64 s[12:13], s[12:13], s[14:15]
	s_and_b64 s[10:11], s[10:11], s[12:13]
	s_xor_b64 s[12:13], s[10:11], -1
	s_and_saveexec_b64 s[14:15], s[12:13]
	s_xor_b64 s[12:13], exec, s[14:15]
; %bb.23:                               ;   in Loop: Header=BB47_2 Depth=1
	ds_read_u8 v44, v40 offset:1
; %bb.24:                               ;   in Loop: Header=BB47_2 Depth=1
	s_or_saveexec_b64 s[12:13], s[12:13]
	v_mov_b32_e32 v45, v43
	s_xor_b64 exec, exec, s[12:13]
	s_cbranch_execz .LBB47_26
; %bb.25:                               ;   in Loop: Header=BB47_2 Depth=1
	ds_read_u8 v45, v41 offset:1
	s_waitcnt lgkmcnt(1)
	v_mov_b32_e32 v44, v42
.LBB47_26:                              ;   in Loop: Header=BB47_2 Depth=1
	s_or_b64 exec, exec, s[12:13]
	v_add_u32_e32 v47, 1, v40
	v_add_u32_e32 v46, 1, v41
	v_cndmask_b32_e64 v47, v47, v40, s[10:11]
	v_cndmask_b32_e64 v46, v41, v46, s[10:11]
	v_cmp_ge_i32_e64 s[14:15], v47, v12
	s_waitcnt lgkmcnt(0)
	v_cmp_lt_i16_sdwa s[16:17], sext(v45), sext(v44) src0_sel:BYTE_0 src1_sel:BYTE_0
	v_cmp_lt_i32_e64 s[12:13], v46, v13
	s_or_b64 s[14:15], s[14:15], s[16:17]
	s_and_b64 s[12:13], s[12:13], s[14:15]
	s_xor_b64 s[14:15], s[12:13], -1
                                        ; implicit-def: $vgpr48
	s_and_saveexec_b64 s[16:17], s[14:15]
	s_xor_b64 s[14:15], exec, s[16:17]
; %bb.27:                               ;   in Loop: Header=BB47_2 Depth=1
	ds_read_u8 v48, v47 offset:1
; %bb.28:                               ;   in Loop: Header=BB47_2 Depth=1
	s_or_saveexec_b64 s[14:15], s[14:15]
	v_mov_b32_e32 v49, v45
	s_xor_b64 exec, exec, s[14:15]
	s_cbranch_execz .LBB47_30
; %bb.29:                               ;   in Loop: Header=BB47_2 Depth=1
	ds_read_u8 v49, v46 offset:1
	s_waitcnt lgkmcnt(1)
	v_mov_b32_e32 v48, v44
.LBB47_30:                              ;   in Loop: Header=BB47_2 Depth=1
	s_or_b64 exec, exec, s[14:15]
	v_add_u32_e32 v51, 1, v47
	v_add_u32_e32 v50, 1, v46
	v_cndmask_b32_e64 v51, v51, v47, s[12:13]
	v_cndmask_b32_e64 v50, v46, v50, s[12:13]
	v_cmp_ge_i32_e64 s[16:17], v51, v12
	s_waitcnt lgkmcnt(0)
	v_cmp_lt_i16_sdwa s[18:19], sext(v49), sext(v48) src0_sel:BYTE_0 src1_sel:BYTE_0
	v_cmp_lt_i32_e64 s[14:15], v50, v13
	s_or_b64 s[16:17], s[16:17], s[18:19]
	s_and_b64 s[14:15], s[14:15], s[16:17]
	s_xor_b64 s[16:17], s[14:15], -1
                                        ; implicit-def: $vgpr52
	s_and_saveexec_b64 s[18:19], s[16:17]
	s_xor_b64 s[16:17], exec, s[18:19]
; %bb.31:                               ;   in Loop: Header=BB47_2 Depth=1
	ds_read_u8 v52, v51 offset:1
; %bb.32:                               ;   in Loop: Header=BB47_2 Depth=1
	s_or_saveexec_b64 s[16:17], s[16:17]
	v_mov_b32_e32 v53, v49
	s_xor_b64 exec, exec, s[16:17]
	s_cbranch_execz .LBB47_34
; %bb.33:                               ;   in Loop: Header=BB47_2 Depth=1
	ds_read_u8 v53, v50 offset:1
	s_waitcnt lgkmcnt(1)
	v_mov_b32_e32 v52, v48
.LBB47_34:                              ;   in Loop: Header=BB47_2 Depth=1
	s_or_b64 exec, exec, s[16:17]
	v_add_u32_e32 v54, 1, v51
	v_cndmask_b32_e64 v48, v48, v49, s[14:15]
	v_add_u32_e32 v49, 1, v50
	v_cndmask_b32_e64 v54, v54, v51, s[14:15]
	v_cndmask_b32_e64 v49, v50, v49, s[14:15]
	;; [unrolled: 1-line block ×5, first 2 shown]
	v_cmp_ge_i32_e64 s[12:13], v54, v12
	s_waitcnt lgkmcnt(0)
	v_cmp_lt_i16_sdwa s[14:15], sext(v53), sext(v52) src0_sel:BYTE_0 src1_sel:BYTE_0
	v_cndmask_b32_e64 v42, v42, v43, s[10:11]
	v_cndmask_b32_e64 v40, v40, v41, s[10:11]
	v_cmp_lt_i32_e64 s[10:11], v49, v13
	s_or_b64 s[12:13], s[12:13], s[14:15]
	s_and_b64 s[10:11], s[10:11], s[12:13]
	v_cndmask_b32_e64 v43, v54, v49, s[10:11]
	; wave barrier
	ds_write_b8 v2, v36
	ds_write_b8 v2, v38 offset:1
	ds_write_b8 v2, v39 offset:2
	;; [unrolled: 1-line block ×3, first 2 shown]
	s_waitcnt lgkmcnt(0)
	; wave barrier
	ds_read_u8 v36, v40
	ds_read_u8 v37, v43
	;; [unrolled: 1-line block ×4, first 2 shown]
	v_cndmask_b32_e64 v41, v52, v53, s[10:11]
	s_waitcnt lgkmcnt(0)
	; wave barrier
	ds_write_b8 v2, v42
	ds_write_b8 v2, v44 offset:1
	ds_write_b8 v2, v48 offset:2
	;; [unrolled: 1-line block ×3, first 2 shown]
	v_mov_b32_e32 v41, v32
	s_waitcnt lgkmcnt(0)
	; wave barrier
	s_and_saveexec_b64 s[12:13], s[4:5]
	s_cbranch_execz .LBB47_38
; %bb.35:                               ;   in Loop: Header=BB47_2 Depth=1
	s_mov_b64 s[14:15], 0
	v_mov_b32_e32 v41, v32
	v_mov_b32_e32 v40, v27
.LBB47_36:                              ;   Parent Loop BB47_2 Depth=1
                                        ; =>  This Inner Loop Header: Depth=2
	v_sub_u32_e32 v42, v40, v41
	v_lshrrev_b32_e32 v42, 1, v42
	v_add_u32_e32 v42, v42, v41
	v_add_u32_e32 v43, v5, v42
	v_xad_u32 v44, v42, -1, v22
	ds_read_i8 v43, v43
	ds_read_i8 v44, v44
	v_add_u32_e32 v45, 1, v42
	s_waitcnt lgkmcnt(0)
	v_cmp_lt_i16_e64 s[10:11], v44, v43
	v_cndmask_b32_e64 v40, v40, v42, s[10:11]
	v_cndmask_b32_e64 v41, v45, v41, s[10:11]
	v_cmp_ge_i32_e64 s[10:11], v41, v40
	s_or_b64 s[14:15], s[10:11], s[14:15]
	s_andn2_b64 exec, exec, s[14:15]
	s_cbranch_execnz .LBB47_36
; %bb.37:                               ;   in Loop: Header=BB47_2 Depth=1
	s_or_b64 exec, exec, s[14:15]
.LBB47_38:                              ;   in Loop: Header=BB47_2 Depth=1
	s_or_b64 exec, exec, s[12:13]
	v_add_u32_e32 v40, v41, v5
	v_sub_u32_e32 v41, v22, v41
	ds_read_u8 v42, v40
	ds_read_u8 v43, v41
	v_cmp_le_i32_e64 s[12:13], v14, v40
	v_cmp_gt_i32_e64 s[10:11], v15, v41
                                        ; implicit-def: $vgpr44
	s_waitcnt lgkmcnt(1)
	v_bfe_i32 v42, v42, 0, 8
	s_waitcnt lgkmcnt(0)
	v_bfe_i32 v43, v43, 0, 8
	v_cmp_lt_i16_e64 s[14:15], v43, v42
	s_or_b64 s[12:13], s[12:13], s[14:15]
	s_and_b64 s[10:11], s[10:11], s[12:13]
	s_xor_b64 s[12:13], s[10:11], -1
	s_and_saveexec_b64 s[14:15], s[12:13]
	s_xor_b64 s[12:13], exec, s[14:15]
; %bb.39:                               ;   in Loop: Header=BB47_2 Depth=1
	ds_read_u8 v44, v40 offset:1
; %bb.40:                               ;   in Loop: Header=BB47_2 Depth=1
	s_or_saveexec_b64 s[12:13], s[12:13]
	v_mov_b32_e32 v45, v43
	s_xor_b64 exec, exec, s[12:13]
	s_cbranch_execz .LBB47_42
; %bb.41:                               ;   in Loop: Header=BB47_2 Depth=1
	ds_read_u8 v45, v41 offset:1
	s_waitcnt lgkmcnt(1)
	v_mov_b32_e32 v44, v42
.LBB47_42:                              ;   in Loop: Header=BB47_2 Depth=1
	s_or_b64 exec, exec, s[12:13]
	v_add_u32_e32 v47, 1, v40
	v_add_u32_e32 v46, 1, v41
	v_cndmask_b32_e64 v47, v47, v40, s[10:11]
	v_cndmask_b32_e64 v46, v41, v46, s[10:11]
	v_cmp_ge_i32_e64 s[14:15], v47, v14
	s_waitcnt lgkmcnt(0)
	v_cmp_lt_i16_sdwa s[16:17], sext(v45), sext(v44) src0_sel:BYTE_0 src1_sel:BYTE_0
	v_cmp_lt_i32_e64 s[12:13], v46, v15
	s_or_b64 s[14:15], s[14:15], s[16:17]
	s_and_b64 s[12:13], s[12:13], s[14:15]
	s_xor_b64 s[14:15], s[12:13], -1
                                        ; implicit-def: $vgpr48
	s_and_saveexec_b64 s[16:17], s[14:15]
	s_xor_b64 s[14:15], exec, s[16:17]
; %bb.43:                               ;   in Loop: Header=BB47_2 Depth=1
	ds_read_u8 v48, v47 offset:1
; %bb.44:                               ;   in Loop: Header=BB47_2 Depth=1
	s_or_saveexec_b64 s[14:15], s[14:15]
	v_mov_b32_e32 v49, v45
	s_xor_b64 exec, exec, s[14:15]
	s_cbranch_execz .LBB47_46
; %bb.45:                               ;   in Loop: Header=BB47_2 Depth=1
	ds_read_u8 v49, v46 offset:1
	s_waitcnt lgkmcnt(1)
	v_mov_b32_e32 v48, v44
.LBB47_46:                              ;   in Loop: Header=BB47_2 Depth=1
	s_or_b64 exec, exec, s[14:15]
	v_add_u32_e32 v51, 1, v47
	v_add_u32_e32 v50, 1, v46
	v_cndmask_b32_e64 v51, v51, v47, s[12:13]
	v_cndmask_b32_e64 v50, v46, v50, s[12:13]
	v_cmp_ge_i32_e64 s[16:17], v51, v14
	s_waitcnt lgkmcnt(0)
	v_cmp_lt_i16_sdwa s[18:19], sext(v49), sext(v48) src0_sel:BYTE_0 src1_sel:BYTE_0
	v_cmp_lt_i32_e64 s[14:15], v50, v15
	s_or_b64 s[16:17], s[16:17], s[18:19]
	s_and_b64 s[14:15], s[14:15], s[16:17]
	s_xor_b64 s[16:17], s[14:15], -1
                                        ; implicit-def: $vgpr52
	s_and_saveexec_b64 s[18:19], s[16:17]
	s_xor_b64 s[16:17], exec, s[18:19]
; %bb.47:                               ;   in Loop: Header=BB47_2 Depth=1
	ds_read_u8 v52, v51 offset:1
; %bb.48:                               ;   in Loop: Header=BB47_2 Depth=1
	s_or_saveexec_b64 s[16:17], s[16:17]
	v_mov_b32_e32 v53, v49
	s_xor_b64 exec, exec, s[16:17]
	s_cbranch_execz .LBB47_50
; %bb.49:                               ;   in Loop: Header=BB47_2 Depth=1
	ds_read_u8 v53, v50 offset:1
	s_waitcnt lgkmcnt(1)
	v_mov_b32_e32 v52, v48
.LBB47_50:                              ;   in Loop: Header=BB47_2 Depth=1
	s_or_b64 exec, exec, s[16:17]
	v_add_u32_e32 v54, 1, v51
	v_cndmask_b32_e64 v48, v48, v49, s[14:15]
	v_add_u32_e32 v49, 1, v50
	v_cndmask_b32_e64 v54, v54, v51, s[14:15]
	v_cndmask_b32_e64 v49, v50, v49, s[14:15]
	;; [unrolled: 1-line block ×5, first 2 shown]
	v_cmp_ge_i32_e64 s[12:13], v54, v14
	s_waitcnt lgkmcnt(0)
	v_cmp_lt_i16_sdwa s[14:15], sext(v53), sext(v52) src0_sel:BYTE_0 src1_sel:BYTE_0
	v_cndmask_b32_e64 v42, v42, v43, s[10:11]
	v_cndmask_b32_e64 v40, v40, v41, s[10:11]
	v_cmp_lt_i32_e64 s[10:11], v49, v15
	s_or_b64 s[12:13], s[12:13], s[14:15]
	s_and_b64 s[10:11], s[10:11], s[12:13]
	v_cndmask_b32_e64 v43, v54, v49, s[10:11]
	; wave barrier
	ds_write_b8 v2, v36
	ds_write_b8 v2, v38 offset:1
	ds_write_b8 v2, v39 offset:2
	;; [unrolled: 1-line block ×3, first 2 shown]
	s_waitcnt lgkmcnt(0)
	; wave barrier
	ds_read_u8 v36, v40
	ds_read_u8 v37, v43
	ds_read_u8 v38, v45
	ds_read_u8 v39, v50
	v_cndmask_b32_e64 v41, v52, v53, s[10:11]
	s_waitcnt lgkmcnt(0)
	; wave barrier
	ds_write_b8 v2, v42
	ds_write_b8 v2, v44 offset:1
	ds_write_b8 v2, v48 offset:2
	;; [unrolled: 1-line block ×3, first 2 shown]
	v_mov_b32_e32 v41, v33
	s_waitcnt lgkmcnt(0)
	; wave barrier
	s_and_saveexec_b64 s[12:13], s[6:7]
	s_cbranch_execz .LBB47_54
; %bb.51:                               ;   in Loop: Header=BB47_2 Depth=1
	s_mov_b64 s[14:15], 0
	v_mov_b32_e32 v41, v33
	v_mov_b32_e32 v40, v28
.LBB47_52:                              ;   Parent Loop BB47_2 Depth=1
                                        ; =>  This Inner Loop Header: Depth=2
	v_sub_u32_e32 v42, v40, v41
	v_lshrrev_b32_e32 v42, 1, v42
	v_add_u32_e32 v42, v42, v41
	v_add_u32_e32 v43, v6, v42
	v_xad_u32 v44, v42, -1, v23
	ds_read_i8 v43, v43
	ds_read_i8 v44, v44
	v_add_u32_e32 v45, 1, v42
	s_waitcnt lgkmcnt(0)
	v_cmp_lt_i16_e64 s[10:11], v44, v43
	v_cndmask_b32_e64 v40, v40, v42, s[10:11]
	v_cndmask_b32_e64 v41, v45, v41, s[10:11]
	v_cmp_ge_i32_e64 s[10:11], v41, v40
	s_or_b64 s[14:15], s[10:11], s[14:15]
	s_andn2_b64 exec, exec, s[14:15]
	s_cbranch_execnz .LBB47_52
; %bb.53:                               ;   in Loop: Header=BB47_2 Depth=1
	s_or_b64 exec, exec, s[14:15]
.LBB47_54:                              ;   in Loop: Header=BB47_2 Depth=1
	s_or_b64 exec, exec, s[12:13]
	v_add_u32_e32 v40, v41, v6
	v_sub_u32_e32 v41, v23, v41
	ds_read_u8 v42, v40
	ds_read_u8 v43, v41
	v_cmp_le_i32_e64 s[12:13], v16, v40
	v_cmp_gt_i32_e64 s[10:11], v17, v41
                                        ; implicit-def: $vgpr44
	s_waitcnt lgkmcnt(1)
	v_bfe_i32 v42, v42, 0, 8
	s_waitcnt lgkmcnt(0)
	v_bfe_i32 v43, v43, 0, 8
	v_cmp_lt_i16_e64 s[14:15], v43, v42
	s_or_b64 s[12:13], s[12:13], s[14:15]
	s_and_b64 s[10:11], s[10:11], s[12:13]
	s_xor_b64 s[12:13], s[10:11], -1
	s_and_saveexec_b64 s[14:15], s[12:13]
	s_xor_b64 s[12:13], exec, s[14:15]
; %bb.55:                               ;   in Loop: Header=BB47_2 Depth=1
	ds_read_u8 v44, v40 offset:1
; %bb.56:                               ;   in Loop: Header=BB47_2 Depth=1
	s_or_saveexec_b64 s[12:13], s[12:13]
	v_mov_b32_e32 v45, v43
	s_xor_b64 exec, exec, s[12:13]
	s_cbranch_execz .LBB47_58
; %bb.57:                               ;   in Loop: Header=BB47_2 Depth=1
	ds_read_u8 v45, v41 offset:1
	s_waitcnt lgkmcnt(1)
	v_mov_b32_e32 v44, v42
.LBB47_58:                              ;   in Loop: Header=BB47_2 Depth=1
	s_or_b64 exec, exec, s[12:13]
	v_add_u32_e32 v47, 1, v40
	v_add_u32_e32 v46, 1, v41
	v_cndmask_b32_e64 v47, v47, v40, s[10:11]
	v_cndmask_b32_e64 v46, v41, v46, s[10:11]
	v_cmp_ge_i32_e64 s[14:15], v47, v16
	s_waitcnt lgkmcnt(0)
	v_cmp_lt_i16_sdwa s[16:17], sext(v45), sext(v44) src0_sel:BYTE_0 src1_sel:BYTE_0
	v_cmp_lt_i32_e64 s[12:13], v46, v17
	s_or_b64 s[14:15], s[14:15], s[16:17]
	s_and_b64 s[12:13], s[12:13], s[14:15]
	s_xor_b64 s[14:15], s[12:13], -1
                                        ; implicit-def: $vgpr48
	s_and_saveexec_b64 s[16:17], s[14:15]
	s_xor_b64 s[14:15], exec, s[16:17]
; %bb.59:                               ;   in Loop: Header=BB47_2 Depth=1
	ds_read_u8 v48, v47 offset:1
; %bb.60:                               ;   in Loop: Header=BB47_2 Depth=1
	s_or_saveexec_b64 s[14:15], s[14:15]
	v_mov_b32_e32 v49, v45
	s_xor_b64 exec, exec, s[14:15]
	s_cbranch_execz .LBB47_62
; %bb.61:                               ;   in Loop: Header=BB47_2 Depth=1
	ds_read_u8 v49, v46 offset:1
	s_waitcnt lgkmcnt(1)
	v_mov_b32_e32 v48, v44
.LBB47_62:                              ;   in Loop: Header=BB47_2 Depth=1
	s_or_b64 exec, exec, s[14:15]
	v_add_u32_e32 v51, 1, v47
	v_add_u32_e32 v50, 1, v46
	v_cndmask_b32_e64 v51, v51, v47, s[12:13]
	v_cndmask_b32_e64 v50, v46, v50, s[12:13]
	v_cmp_ge_i32_e64 s[16:17], v51, v16
	s_waitcnt lgkmcnt(0)
	v_cmp_lt_i16_sdwa s[18:19], sext(v49), sext(v48) src0_sel:BYTE_0 src1_sel:BYTE_0
	v_cmp_lt_i32_e64 s[14:15], v50, v17
	s_or_b64 s[16:17], s[16:17], s[18:19]
	s_and_b64 s[14:15], s[14:15], s[16:17]
	s_xor_b64 s[16:17], s[14:15], -1
                                        ; implicit-def: $vgpr52
	s_and_saveexec_b64 s[18:19], s[16:17]
	s_xor_b64 s[16:17], exec, s[18:19]
; %bb.63:                               ;   in Loop: Header=BB47_2 Depth=1
	ds_read_u8 v52, v51 offset:1
; %bb.64:                               ;   in Loop: Header=BB47_2 Depth=1
	s_or_saveexec_b64 s[16:17], s[16:17]
	v_mov_b32_e32 v53, v49
	s_xor_b64 exec, exec, s[16:17]
	s_cbranch_execz .LBB47_66
; %bb.65:                               ;   in Loop: Header=BB47_2 Depth=1
	ds_read_u8 v53, v50 offset:1
	s_waitcnt lgkmcnt(1)
	v_mov_b32_e32 v52, v48
.LBB47_66:                              ;   in Loop: Header=BB47_2 Depth=1
	s_or_b64 exec, exec, s[16:17]
	v_add_u32_e32 v54, 1, v51
	v_cndmask_b32_e64 v48, v48, v49, s[14:15]
	v_add_u32_e32 v49, 1, v50
	v_cndmask_b32_e64 v54, v54, v51, s[14:15]
	v_cndmask_b32_e64 v49, v50, v49, s[14:15]
	;; [unrolled: 1-line block ×5, first 2 shown]
	v_cmp_ge_i32_e64 s[12:13], v54, v16
	s_waitcnt lgkmcnt(0)
	v_cmp_lt_i16_sdwa s[14:15], sext(v53), sext(v52) src0_sel:BYTE_0 src1_sel:BYTE_0
	v_cndmask_b32_e64 v42, v42, v43, s[10:11]
	v_cndmask_b32_e64 v40, v40, v41, s[10:11]
	v_cmp_lt_i32_e64 s[10:11], v49, v17
	s_or_b64 s[12:13], s[12:13], s[14:15]
	s_and_b64 s[10:11], s[10:11], s[12:13]
	v_cndmask_b32_e64 v43, v54, v49, s[10:11]
	; wave barrier
	ds_write_b8 v2, v36
	ds_write_b8 v2, v38 offset:1
	ds_write_b8 v2, v39 offset:2
	;; [unrolled: 1-line block ×3, first 2 shown]
	s_waitcnt lgkmcnt(0)
	; wave barrier
	ds_read_u8 v36, v40
	ds_read_u8 v37, v43
	;; [unrolled: 1-line block ×4, first 2 shown]
	v_cndmask_b32_e64 v41, v52, v53, s[10:11]
	s_waitcnt lgkmcnt(0)
	; wave barrier
	ds_write_b8 v2, v42
	ds_write_b8 v2, v44 offset:1
	ds_write_b8 v2, v48 offset:2
	;; [unrolled: 1-line block ×3, first 2 shown]
	v_mov_b32_e32 v41, v34
	s_waitcnt lgkmcnt(0)
	; wave barrier
	s_and_saveexec_b64 s[12:13], s[8:9]
	s_cbranch_execz .LBB47_70
; %bb.67:                               ;   in Loop: Header=BB47_2 Depth=1
	s_mov_b64 s[14:15], 0
	v_mov_b32_e32 v41, v34
	v_mov_b32_e32 v40, v29
.LBB47_68:                              ;   Parent Loop BB47_2 Depth=1
                                        ; =>  This Inner Loop Header: Depth=2
	v_sub_u32_e32 v42, v40, v41
	v_lshrrev_b32_e32 v42, 1, v42
	v_add_u32_e32 v42, v42, v41
	v_add_u32_e32 v43, v7, v42
	v_xad_u32 v44, v42, -1, v24
	ds_read_i8 v43, v43
	ds_read_i8 v44, v44
	v_add_u32_e32 v45, 1, v42
	s_waitcnt lgkmcnt(0)
	v_cmp_lt_i16_e64 s[10:11], v44, v43
	v_cndmask_b32_e64 v40, v40, v42, s[10:11]
	v_cndmask_b32_e64 v41, v45, v41, s[10:11]
	v_cmp_ge_i32_e64 s[10:11], v41, v40
	s_or_b64 s[14:15], s[10:11], s[14:15]
	s_andn2_b64 exec, exec, s[14:15]
	s_cbranch_execnz .LBB47_68
; %bb.69:                               ;   in Loop: Header=BB47_2 Depth=1
	s_or_b64 exec, exec, s[14:15]
.LBB47_70:                              ;   in Loop: Header=BB47_2 Depth=1
	s_or_b64 exec, exec, s[12:13]
	v_add_u32_e32 v40, v41, v7
	v_sub_u32_e32 v41, v24, v41
	ds_read_u8 v42, v40
	ds_read_u8 v43, v41
	v_cmp_le_i32_e64 s[12:13], v18, v40
	v_cmp_gt_i32_e64 s[10:11], v19, v41
                                        ; implicit-def: $vgpr44
	s_waitcnt lgkmcnt(1)
	v_bfe_i32 v42, v42, 0, 8
	s_waitcnt lgkmcnt(0)
	v_bfe_i32 v43, v43, 0, 8
	v_cmp_lt_i16_e64 s[14:15], v43, v42
	s_or_b64 s[12:13], s[12:13], s[14:15]
	s_and_b64 s[10:11], s[10:11], s[12:13]
	s_xor_b64 s[12:13], s[10:11], -1
	s_and_saveexec_b64 s[14:15], s[12:13]
	s_xor_b64 s[12:13], exec, s[14:15]
; %bb.71:                               ;   in Loop: Header=BB47_2 Depth=1
	ds_read_u8 v44, v40 offset:1
; %bb.72:                               ;   in Loop: Header=BB47_2 Depth=1
	s_or_saveexec_b64 s[12:13], s[12:13]
	v_mov_b32_e32 v45, v43
	s_xor_b64 exec, exec, s[12:13]
	s_cbranch_execz .LBB47_74
; %bb.73:                               ;   in Loop: Header=BB47_2 Depth=1
	ds_read_u8 v45, v41 offset:1
	s_waitcnt lgkmcnt(1)
	v_mov_b32_e32 v44, v42
.LBB47_74:                              ;   in Loop: Header=BB47_2 Depth=1
	s_or_b64 exec, exec, s[12:13]
	v_add_u32_e32 v47, 1, v40
	v_add_u32_e32 v46, 1, v41
	v_cndmask_b32_e64 v47, v47, v40, s[10:11]
	v_cndmask_b32_e64 v46, v41, v46, s[10:11]
	v_cmp_ge_i32_e64 s[14:15], v47, v18
	s_waitcnt lgkmcnt(0)
	v_cmp_lt_i16_sdwa s[16:17], sext(v45), sext(v44) src0_sel:BYTE_0 src1_sel:BYTE_0
	v_cmp_lt_i32_e64 s[12:13], v46, v19
	s_or_b64 s[14:15], s[14:15], s[16:17]
	s_and_b64 s[12:13], s[12:13], s[14:15]
	s_xor_b64 s[14:15], s[12:13], -1
                                        ; implicit-def: $vgpr48
	s_and_saveexec_b64 s[16:17], s[14:15]
	s_xor_b64 s[14:15], exec, s[16:17]
; %bb.75:                               ;   in Loop: Header=BB47_2 Depth=1
	ds_read_u8 v48, v47 offset:1
; %bb.76:                               ;   in Loop: Header=BB47_2 Depth=1
	s_or_saveexec_b64 s[14:15], s[14:15]
	v_mov_b32_e32 v49, v45
	s_xor_b64 exec, exec, s[14:15]
	s_cbranch_execz .LBB47_78
; %bb.77:                               ;   in Loop: Header=BB47_2 Depth=1
	ds_read_u8 v49, v46 offset:1
	s_waitcnt lgkmcnt(1)
	v_mov_b32_e32 v48, v44
.LBB47_78:                              ;   in Loop: Header=BB47_2 Depth=1
	s_or_b64 exec, exec, s[14:15]
	v_add_u32_e32 v51, 1, v47
	v_add_u32_e32 v50, 1, v46
	v_cndmask_b32_e64 v51, v51, v47, s[12:13]
	v_cndmask_b32_e64 v50, v46, v50, s[12:13]
	v_cmp_ge_i32_e64 s[16:17], v51, v18
	s_waitcnt lgkmcnt(0)
	v_cmp_lt_i16_sdwa s[18:19], sext(v49), sext(v48) src0_sel:BYTE_0 src1_sel:BYTE_0
	v_cmp_lt_i32_e64 s[14:15], v50, v19
	s_or_b64 s[16:17], s[16:17], s[18:19]
	s_and_b64 s[14:15], s[14:15], s[16:17]
	s_xor_b64 s[16:17], s[14:15], -1
                                        ; implicit-def: $vgpr52
	s_and_saveexec_b64 s[18:19], s[16:17]
	s_xor_b64 s[16:17], exec, s[18:19]
; %bb.79:                               ;   in Loop: Header=BB47_2 Depth=1
	ds_read_u8 v52, v51 offset:1
; %bb.80:                               ;   in Loop: Header=BB47_2 Depth=1
	s_or_saveexec_b64 s[16:17], s[16:17]
	v_mov_b32_e32 v53, v49
	s_xor_b64 exec, exec, s[16:17]
	s_cbranch_execz .LBB47_82
; %bb.81:                               ;   in Loop: Header=BB47_2 Depth=1
	ds_read_u8 v53, v50 offset:1
	s_waitcnt lgkmcnt(1)
	v_mov_b32_e32 v52, v48
.LBB47_82:                              ;   in Loop: Header=BB47_2 Depth=1
	s_or_b64 exec, exec, s[16:17]
	v_add_u32_e32 v54, 1, v51
	v_cndmask_b32_e64 v48, v48, v49, s[14:15]
	v_add_u32_e32 v49, 1, v50
	v_cndmask_b32_e64 v54, v54, v51, s[14:15]
	v_cndmask_b32_e64 v49, v50, v49, s[14:15]
	;; [unrolled: 1-line block ×5, first 2 shown]
	v_cmp_ge_i32_e64 s[12:13], v54, v18
	s_waitcnt lgkmcnt(0)
	v_cmp_lt_i16_sdwa s[14:15], sext(v53), sext(v52) src0_sel:BYTE_0 src1_sel:BYTE_0
	v_cndmask_b32_e64 v42, v42, v43, s[10:11]
	v_cndmask_b32_e64 v40, v40, v41, s[10:11]
	v_cmp_lt_i32_e64 s[10:11], v49, v19
	s_or_b64 s[12:13], s[12:13], s[14:15]
	s_and_b64 s[10:11], s[10:11], s[12:13]
	v_cndmask_b32_e64 v43, v54, v49, s[10:11]
	; wave barrier
	ds_write_b8 v2, v36
	ds_write_b8 v2, v38 offset:1
	ds_write_b8 v2, v39 offset:2
	;; [unrolled: 1-line block ×3, first 2 shown]
	s_waitcnt lgkmcnt(0)
	; wave barrier
	ds_read_u8 v36, v40
	ds_read_u8 v37, v43
	;; [unrolled: 1-line block ×4, first 2 shown]
	v_mov_b32_e32 v40, v8
	v_cndmask_b32_e64 v41, v52, v53, s[10:11]
	s_waitcnt lgkmcnt(0)
	; wave barrier
	ds_write_b8 v2, v42
	ds_write_b8 v2, v44 offset:1
	ds_write_b8 v2, v48 offset:2
	;; [unrolled: 1-line block ×3, first 2 shown]
	s_waitcnt lgkmcnt(0)
	; wave barrier
	s_and_saveexec_b64 s[12:13], vcc
	s_cbranch_execz .LBB47_86
; %bb.83:                               ;   in Loop: Header=BB47_2 Depth=1
	s_mov_b64 s[14:15], 0
	v_mov_b32_e32 v40, v8
	v_mov_b32_e32 v41, v9
.LBB47_84:                              ;   Parent Loop BB47_2 Depth=1
                                        ; =>  This Inner Loop Header: Depth=2
	v_sub_u32_e32 v42, v41, v40
	v_lshrrev_b32_e32 v42, 1, v42
	v_add_u32_e32 v42, v42, v40
	v_xad_u32 v43, v42, -1, v35
	ds_read_i8 v44, v42
	ds_read_i8 v43, v43
	v_add_u32_e32 v45, 1, v42
	s_waitcnt lgkmcnt(0)
	v_cmp_lt_i16_e64 s[10:11], v43, v44
	v_cndmask_b32_e64 v41, v41, v42, s[10:11]
	v_cndmask_b32_e64 v40, v45, v40, s[10:11]
	v_cmp_ge_i32_e64 s[10:11], v40, v41
	s_or_b64 s[14:15], s[10:11], s[14:15]
	s_andn2_b64 exec, exec, s[14:15]
	s_cbranch_execnz .LBB47_84
; %bb.85:                               ;   in Loop: Header=BB47_2 Depth=1
	s_or_b64 exec, exec, s[14:15]
.LBB47_86:                              ;   in Loop: Header=BB47_2 Depth=1
	s_or_b64 exec, exec, s[12:13]
	v_sub_u32_e32 v43, v35, v40
	ds_read_u8 v41, v40
	ds_read_u8 v42, v43
	v_cmp_le_i32_e64 s[12:13], v1, v40
	v_cmp_gt_i32_e64 s[10:11], s41, v43
	s_waitcnt lgkmcnt(1)
	v_bfe_i32 v41, v41, 0, 8
	s_waitcnt lgkmcnt(0)
	v_bfe_i32 v45, v42, 0, 8
	v_cmp_lt_i16_e64 s[14:15], v45, v41
	s_or_b64 s[12:13], s[12:13], s[14:15]
	s_and_b64 s[10:11], s[10:11], s[12:13]
	s_xor_b64 s[12:13], s[10:11], -1
                                        ; implicit-def: $vgpr42
	s_and_saveexec_b64 s[14:15], s[12:13]
	s_xor_b64 s[12:13], exec, s[14:15]
; %bb.87:                               ;   in Loop: Header=BB47_2 Depth=1
	ds_read_u8 v42, v40 offset:1
; %bb.88:                               ;   in Loop: Header=BB47_2 Depth=1
	s_or_saveexec_b64 s[12:13], s[12:13]
	v_mov_b32_e32 v44, v45
	s_xor_b64 exec, exec, s[12:13]
	s_cbranch_execz .LBB47_90
; %bb.89:                               ;   in Loop: Header=BB47_2 Depth=1
	ds_read_u8 v44, v43 offset:1
	s_waitcnt lgkmcnt(1)
	v_mov_b32_e32 v42, v41
.LBB47_90:                              ;   in Loop: Header=BB47_2 Depth=1
	s_or_b64 exec, exec, s[12:13]
	v_add_u32_e32 v47, 1, v40
	v_add_u32_e32 v46, 1, v43
	v_cndmask_b32_e64 v49, v47, v40, s[10:11]
	v_cndmask_b32_e64 v48, v43, v46, s[10:11]
	v_cmp_ge_i32_e64 s[14:15], v49, v1
	s_waitcnt lgkmcnt(0)
	v_cmp_lt_i16_sdwa s[16:17], sext(v44), sext(v42) src0_sel:BYTE_0 src1_sel:BYTE_0
	v_cmp_gt_i32_e64 s[12:13], s41, v48
	s_or_b64 s[14:15], s[14:15], s[16:17]
	s_and_b64 s[12:13], s[12:13], s[14:15]
	s_xor_b64 s[14:15], s[12:13], -1
                                        ; implicit-def: $vgpr46
	s_and_saveexec_b64 s[16:17], s[14:15]
	s_xor_b64 s[14:15], exec, s[16:17]
; %bb.91:                               ;   in Loop: Header=BB47_2 Depth=1
	ds_read_u8 v46, v49 offset:1
; %bb.92:                               ;   in Loop: Header=BB47_2 Depth=1
	s_or_saveexec_b64 s[14:15], s[14:15]
	v_mov_b32_e32 v47, v44
	s_xor_b64 exec, exec, s[14:15]
	s_cbranch_execz .LBB47_94
; %bb.93:                               ;   in Loop: Header=BB47_2 Depth=1
	ds_read_u8 v47, v48 offset:1
	s_waitcnt lgkmcnt(1)
	v_mov_b32_e32 v46, v42
.LBB47_94:                              ;   in Loop: Header=BB47_2 Depth=1
	s_or_b64 exec, exec, s[14:15]
	v_add_u32_e32 v51, 1, v49
	v_add_u32_e32 v50, 1, v48
	v_cndmask_b32_e64 v54, v51, v49, s[12:13]
	v_cndmask_b32_e64 v50, v48, v50, s[12:13]
	v_cmp_ge_i32_e64 s[16:17], v54, v1
	s_waitcnt lgkmcnt(0)
	v_cmp_lt_i16_sdwa s[18:19], sext(v47), sext(v46) src0_sel:BYTE_0 src1_sel:BYTE_0
	v_cmp_gt_i32_e64 s[14:15], s41, v50
	s_or_b64 s[16:17], s[16:17], s[18:19]
	s_and_b64 s[14:15], s[14:15], s[16:17]
	s_xor_b64 s[16:17], s[14:15], -1
                                        ; implicit-def: $vgpr53
                                        ; implicit-def: $vgpr52
	s_and_saveexec_b64 s[18:19], s[16:17]
	s_xor_b64 s[16:17], exec, s[18:19]
; %bb.95:                               ;   in Loop: Header=BB47_2 Depth=1
	ds_read_u8 v53, v54 offset:1
	v_add_u32_e32 v52, 1, v54
; %bb.96:                               ;   in Loop: Header=BB47_2 Depth=1
	s_or_saveexec_b64 s[16:17], s[16:17]
	v_mov_b32_e32 v51, v54
	v_mov_b32_e32 v55, v47
	s_xor_b64 exec, exec, s[16:17]
	s_cbranch_execz .LBB47_1
; %bb.97:                               ;   in Loop: Header=BB47_2 Depth=1
	ds_read_u8 v55, v50 offset:1
	s_waitcnt lgkmcnt(1)
	v_add_u32_e32 v53, 1, v50
	v_mov_b32_e32 v51, v50
	v_mov_b32_e32 v52, v54
	v_mov_b32_e32 v50, v53
	v_mov_b32_e32 v53, v46
	s_branch .LBB47_1
.LBB47_98:
	s_add_u32 s0, s30, s33
	s_addc_u32 s1, s31, 0
	v_mov_b32_e32 v1, s1
	v_add_co_u32_e32 v0, vcc, s0, v0
	s_waitcnt lgkmcnt(3)
	v_add_u16_e32 v2, v41, v36
	v_addc_co_u32_e32 v1, vcc, 0, v1, vcc
	s_waitcnt lgkmcnt(0)
	v_add_u16_e32 v3, v42, v37
	v_add_u16_e32 v4, v43, v38
	;; [unrolled: 1-line block ×3, first 2 shown]
	global_store_byte v[0:1], v2, off
	global_store_byte v[0:1], v3, off offset:64
	global_store_byte v[0:1], v4, off offset:128
	;; [unrolled: 1-line block ×3, first 2 shown]
	s_endpgm
	.section	.rodata,"a",@progbits
	.p2align	6, 0x0
	.amdhsa_kernel _Z17sort_pairs_kernelIaLj64ELj4EN10test_utils4lessELj10EEvPKT_PS2_T2_
		.amdhsa_group_segment_fixed_size 257
		.amdhsa_private_segment_fixed_size 0
		.amdhsa_kernarg_size 20
		.amdhsa_user_sgpr_count 6
		.amdhsa_user_sgpr_private_segment_buffer 1
		.amdhsa_user_sgpr_dispatch_ptr 0
		.amdhsa_user_sgpr_queue_ptr 0
		.amdhsa_user_sgpr_kernarg_segment_ptr 1
		.amdhsa_user_sgpr_dispatch_id 0
		.amdhsa_user_sgpr_flat_scratch_init 0
		.amdhsa_user_sgpr_private_segment_size 0
		.amdhsa_uses_dynamic_stack 0
		.amdhsa_system_sgpr_private_segment_wavefront_offset 0
		.amdhsa_system_sgpr_workgroup_id_x 1
		.amdhsa_system_sgpr_workgroup_id_y 0
		.amdhsa_system_sgpr_workgroup_id_z 0
		.amdhsa_system_sgpr_workgroup_info 0
		.amdhsa_system_vgpr_workitem_id 0
		.amdhsa_next_free_vgpr 56
		.amdhsa_next_free_sgpr 44
		.amdhsa_reserve_vcc 1
		.amdhsa_reserve_flat_scratch 0
		.amdhsa_float_round_mode_32 0
		.amdhsa_float_round_mode_16_64 0
		.amdhsa_float_denorm_mode_32 3
		.amdhsa_float_denorm_mode_16_64 3
		.amdhsa_dx10_clamp 1
		.amdhsa_ieee_mode 1
		.amdhsa_fp16_overflow 0
		.amdhsa_exception_fp_ieee_invalid_op 0
		.amdhsa_exception_fp_denorm_src 0
		.amdhsa_exception_fp_ieee_div_zero 0
		.amdhsa_exception_fp_ieee_overflow 0
		.amdhsa_exception_fp_ieee_underflow 0
		.amdhsa_exception_fp_ieee_inexact 0
		.amdhsa_exception_int_div_zero 0
	.end_amdhsa_kernel
	.section	.text._Z17sort_pairs_kernelIaLj64ELj4EN10test_utils4lessELj10EEvPKT_PS2_T2_,"axG",@progbits,_Z17sort_pairs_kernelIaLj64ELj4EN10test_utils4lessELj10EEvPKT_PS2_T2_,comdat
.Lfunc_end47:
	.size	_Z17sort_pairs_kernelIaLj64ELj4EN10test_utils4lessELj10EEvPKT_PS2_T2_, .Lfunc_end47-_Z17sort_pairs_kernelIaLj64ELj4EN10test_utils4lessELj10EEvPKT_PS2_T2_
                                        ; -- End function
	.set _Z17sort_pairs_kernelIaLj64ELj4EN10test_utils4lessELj10EEvPKT_PS2_T2_.num_vgpr, 56
	.set _Z17sort_pairs_kernelIaLj64ELj4EN10test_utils4lessELj10EEvPKT_PS2_T2_.num_agpr, 0
	.set _Z17sort_pairs_kernelIaLj64ELj4EN10test_utils4lessELj10EEvPKT_PS2_T2_.numbered_sgpr, 44
	.set _Z17sort_pairs_kernelIaLj64ELj4EN10test_utils4lessELj10EEvPKT_PS2_T2_.num_named_barrier, 0
	.set _Z17sort_pairs_kernelIaLj64ELj4EN10test_utils4lessELj10EEvPKT_PS2_T2_.private_seg_size, 0
	.set _Z17sort_pairs_kernelIaLj64ELj4EN10test_utils4lessELj10EEvPKT_PS2_T2_.uses_vcc, 1
	.set _Z17sort_pairs_kernelIaLj64ELj4EN10test_utils4lessELj10EEvPKT_PS2_T2_.uses_flat_scratch, 0
	.set _Z17sort_pairs_kernelIaLj64ELj4EN10test_utils4lessELj10EEvPKT_PS2_T2_.has_dyn_sized_stack, 0
	.set _Z17sort_pairs_kernelIaLj64ELj4EN10test_utils4lessELj10EEvPKT_PS2_T2_.has_recursion, 0
	.set _Z17sort_pairs_kernelIaLj64ELj4EN10test_utils4lessELj10EEvPKT_PS2_T2_.has_indirect_call, 0
	.section	.AMDGPU.csdata,"",@progbits
; Kernel info:
; codeLenInByte = 5360
; TotalNumSgprs: 48
; NumVgprs: 56
; ScratchSize: 0
; MemoryBound: 0
; FloatMode: 240
; IeeeMode: 1
; LDSByteSize: 257 bytes/workgroup (compile time only)
; SGPRBlocks: 5
; VGPRBlocks: 13
; NumSGPRsForWavesPerEU: 48
; NumVGPRsForWavesPerEU: 56
; Occupancy: 4
; WaveLimiterHint : 0
; COMPUTE_PGM_RSRC2:SCRATCH_EN: 0
; COMPUTE_PGM_RSRC2:USER_SGPR: 6
; COMPUTE_PGM_RSRC2:TRAP_HANDLER: 0
; COMPUTE_PGM_RSRC2:TGID_X_EN: 1
; COMPUTE_PGM_RSRC2:TGID_Y_EN: 0
; COMPUTE_PGM_RSRC2:TGID_Z_EN: 0
; COMPUTE_PGM_RSRC2:TIDIG_COMP_CNT: 0
	.section	.text._Z16sort_keys_kernelIaLj64ELj8EN10test_utils4lessELj10EEvPKT_PS2_T2_,"axG",@progbits,_Z16sort_keys_kernelIaLj64ELj8EN10test_utils4lessELj10EEvPKT_PS2_T2_,comdat
	.protected	_Z16sort_keys_kernelIaLj64ELj8EN10test_utils4lessELj10EEvPKT_PS2_T2_ ; -- Begin function _Z16sort_keys_kernelIaLj64ELj8EN10test_utils4lessELj10EEvPKT_PS2_T2_
	.globl	_Z16sort_keys_kernelIaLj64ELj8EN10test_utils4lessELj10EEvPKT_PS2_T2_
	.p2align	8
	.type	_Z16sort_keys_kernelIaLj64ELj8EN10test_utils4lessELj10EEvPKT_PS2_T2_,@function
_Z16sort_keys_kernelIaLj64ELj8EN10test_utils4lessELj10EEvPKT_PS2_T2_: ; @_Z16sort_keys_kernelIaLj64ELj8EN10test_utils4lessELj10EEvPKT_PS2_T2_
; %bb.0:
	s_load_dwordx4 s[24:27], s[4:5], 0x0
	s_lshl_b32 s28, s6, 9
	v_lshlrev_b32_e32 v2, 3, v0
	v_and_b32_e32 v3, 0x1f0, v2
	v_and_b32_e32 v4, 0x1e0, v2
	s_waitcnt lgkmcnt(0)
	s_add_u32 s0, s24, s28
	s_addc_u32 s1, s25, 0
	global_load_ubyte v35, v0, s[0:1] offset:64
	global_load_ubyte v36, v0, s[0:1] offset:128
	;; [unrolled: 1-line block ×5, first 2 shown]
	global_load_ubyte v40, v0, s[0:1]
	global_load_ubyte v41, v0, s[0:1] offset:256
	global_load_ubyte v42, v0, s[0:1] offset:384
	v_or_b32_e32 v10, 8, v3
	v_add_u32_e32 v11, 16, v3
	v_and_b32_e32 v30, 8, v2
	v_and_b32_e32 v5, 0x1c0, v2
	v_or_b32_e32 v12, 16, v4
	v_add_u32_e32 v13, 32, v4
	v_sub_u32_e32 v43, v11, v10
	v_and_b32_e32 v31, 24, v2
	v_and_b32_e32 v6, 0x180, v2
	v_or_b32_e32 v14, 32, v5
	v_add_u32_e32 v15, 64, v5
	v_sub_u32_e32 v44, v13, v12
	v_sub_u32_e32 v25, v10, v3
	;; [unrolled: 1-line block ×3, first 2 shown]
	v_cmp_ge_i32_e32 vcc, v30, v43
	v_and_b32_e32 v32, 56, v2
	v_and_b32_e32 v7, 0x100, v2
	v_or_b32_e32 v16, 64, v6
	v_add_u32_e32 v17, 0x80, v6
	v_sub_u32_e32 v45, v15, v14
	v_add_u32_e32 v20, v10, v30
	v_sub_u32_e32 v26, v12, v4
	v_sub_u32_e32 v49, v31, v44
	v_min_i32_e32 v25, v30, v25
	v_cndmask_b32_e32 v30, 0, v48, vcc
	v_cmp_ge_i32_e32 vcc, v31, v44
	v_and_b32_e32 v33, 0x78, v2
	v_or_b32_e32 v18, 0x80, v7
	v_add_u32_e32 v19, 0x100, v7
	v_sub_u32_e32 v46, v17, v16
	v_add_u32_e32 v21, v12, v31
	v_sub_u32_e32 v27, v14, v5
	v_sub_u32_e32 v50, v32, v45
	v_min_i32_e32 v26, v31, v26
	v_cndmask_b32_e32 v31, 0, v49, vcc
	v_cmp_ge_i32_e32 vcc, v32, v45
	v_and_b32_e32 v34, 0xf8, v2
	v_sub_u32_e32 v47, v19, v18
	v_add_u32_e32 v22, v14, v32
	v_sub_u32_e32 v28, v16, v6
	v_sub_u32_e32 v51, v33, v46
	v_min_i32_e32 v27, v32, v27
	v_cndmask_b32_e32 v32, 0, v50, vcc
	v_cmp_ge_i32_e32 vcc, v33, v46
	s_mov_b32 s12, 0xc0c0004
	v_mov_b32_e32 v1, 0x100
	v_add_u32_e32 v23, v16, v33
	v_sub_u32_e32 v29, v18, v7
	v_sub_u32_e32 v52, v34, v47
	v_min_i32_e32 v28, v33, v28
	v_cndmask_b32_e32 v33, 0, v51, vcc
	v_cmp_ge_i32_e32 vcc, v34, v47
	v_sub_u32_e64 v8, v2, v1 clamp
	v_min_i32_e32 v9, 0x100, v2
	v_add_u32_e32 v24, v18, v34
	v_min_i32_e32 v29, v34, v29
	v_cndmask_b32_e32 v34, 0, v52, vcc
	s_mov_b32 s29, 0
	s_mov_b32 s30, 0x7060405
	;; [unrolled: 1-line block ×3, first 2 shown]
	v_cmp_lt_i32_e64 s[0:1], v8, v9
	v_cmp_lt_i32_e64 s[2:3], v30, v25
	;; [unrolled: 1-line block ×6, first 2 shown]
	s_mov_b32 s33, 0xffff
	s_mov_b32 s34, 0x6070504
	s_movk_i32 s35, 0xff
	s_mov_b32 s36, 0xc0c0304
	s_mov_b32 s37, 0x3020104
	s_movk_i32 s38, 0xff00
	s_mov_b32 s39, 0xffff0000
	s_movk_i32 s40, 0x200
	s_waitcnt vmcnt(3)
	v_perm_b32 v36, v36, v39, s12
	s_waitcnt vmcnt(2)
	v_perm_b32 v35, v40, v35, s12
	;; [unrolled: 2-line block ×4, first 2 shown]
	v_lshl_or_b32 v44, v36, 16, v35
	v_lshl_or_b32 v36, v37, 16, v38
	v_add_u32_e32 v35, 0x100, v2
	s_branch .LBB48_2
.LBB48_1:                               ;   in Loop: Header=BB48_2 Depth=1
	s_or_b64 exec, exec, s[24:25]
	v_cndmask_b32_e64 v38, v38, v39, s[12:13]
	v_cndmask_b32_e64 v39, v40, v41, s[14:15]
	v_cmp_ge_i32_e64 s[12:13], v52, v1
	s_waitcnt lgkmcnt(0)
	v_cmp_lt_i16_sdwa s[14:15], sext(v54), sext(v51) src0_sel:BYTE_0 src1_sel:BYTE_0
	v_cndmask_b32_e32 v37, v36, v37, vcc
	v_cndmask_b32_e64 v40, v42, v43, s[16:17]
	v_cmp_gt_i32_e32 vcc, s40, v50
	s_or_b64 s[12:13], s[12:13], s[14:15]
	v_cndmask_b32_e64 v41, v44, v45, s[18:19]
	s_and_b64 vcc, vcc, s[12:13]
	v_lshlrev_b16_e32 v36, 8, v38
	v_lshlrev_b16_e32 v44, 8, v40
	v_cndmask_b32_e64 v42, v46, v47, s[20:21]
	v_cndmask_b32_e32 v45, v51, v54, vcc
	v_or_b32_sdwa v36, v37, v36 dst_sel:DWORD dst_unused:UNUSED_PAD src0_sel:BYTE_0 src1_sel:DWORD
	v_or_b32_sdwa v44, v39, v44 dst_sel:WORD_1 dst_unused:UNUSED_PAD src0_sel:BYTE_0 src1_sel:DWORD
	v_cndmask_b32_e64 v43, v48, v49, s[22:23]
	v_or_b32_sdwa v44, v36, v44 dst_sel:DWORD dst_unused:UNUSED_PAD src0_sel:WORD_0 src1_sel:DWORD
	v_lshlrev_b16_e32 v36, 8, v42
	v_lshlrev_b16_e32 v46, 8, v45
	s_add_i32 s29, s29, 1
	v_or_b32_sdwa v36, v41, v36 dst_sel:DWORD dst_unused:UNUSED_PAD src0_sel:BYTE_0 src1_sel:DWORD
	v_or_b32_sdwa v46, v43, v46 dst_sel:WORD_1 dst_unused:UNUSED_PAD src0_sel:BYTE_0 src1_sel:DWORD
	s_cmp_eq_u32 s29, 10
	v_or_b32_sdwa v36, v36, v46 dst_sel:DWORD dst_unused:UNUSED_PAD src0_sel:WORD_0 src1_sel:DWORD
	s_cbranch_scc1 .LBB48_194
.LBB48_2:                               ; =>This Loop Header: Depth=1
                                        ;     Child Loop BB48_4 Depth 2
                                        ;     Child Loop BB48_36 Depth 2
	;; [unrolled: 1-line block ×6, first 2 shown]
	v_lshrrev_b32_e32 v38, 8, v44
	v_perm_b32 v37, v44, v44, s30
	v_cmp_lt_i16_sdwa vcc, sext(v38), sext(v44) src0_sel:BYTE_0 src1_sel:BYTE_0
	v_cndmask_b32_e32 v37, v44, v37, vcc
	v_lshrrev_b32_e32 v39, 16, v37
	v_perm_b32 v40, 0, v39, s31
	v_lshrrev_b32_e32 v42, 24, v37
	v_lshlrev_b32_e32 v40, 16, v40
	v_and_or_b32 v40, v37, s33, v40
	v_cmp_lt_i16_sdwa vcc, sext(v42), sext(v39) src0_sel:BYTE_0 src1_sel:BYTE_0
	v_max_i16_sdwa v43, sext(v42), sext(v39) dst_sel:DWORD dst_unused:UNUSED_PAD src0_sel:BYTE_0 src1_sel:BYTE_0
	v_min_i16_sdwa v39, sext(v42), sext(v39) dst_sel:DWORD dst_unused:UNUSED_PAD src0_sel:BYTE_0 src1_sel:BYTE_0
	v_lshrrev_b32_e32 v42, 8, v36
	v_cndmask_b32_e32 v37, v37, v40, vcc
	v_perm_b32 v40, v36, v36, s30
	v_cmp_lt_i16_sdwa vcc, sext(v42), sext(v36) src0_sel:BYTE_0 src1_sel:BYTE_0
	v_cndmask_b32_e32 v40, v36, v40, vcc
	v_min_i16_sdwa v41, sext(v38), sext(v44) dst_sel:DWORD dst_unused:UNUSED_PAD src0_sel:BYTE_0 src1_sel:BYTE_0
	v_max_i16_sdwa v38, sext(v38), sext(v44) dst_sel:DWORD dst_unused:UNUSED_PAD src0_sel:BYTE_0 src1_sel:BYTE_0
	v_max_i16_sdwa v44, sext(v42), sext(v36) dst_sel:DWORD dst_unused:UNUSED_PAD src0_sel:BYTE_0 src1_sel:BYTE_0
	v_min_i16_sdwa v36, sext(v42), sext(v36) dst_sel:DWORD dst_unused:UNUSED_PAD src0_sel:BYTE_0 src1_sel:BYTE_0
	v_lshrrev_b32_e32 v42, 24, v40
	v_lshrrev_b32_e32 v45, 16, v40
	v_perm_b32 v46, v40, v40, s34
	v_cmp_lt_i16_sdwa vcc, sext(v42), sext(v45) src0_sel:BYTE_0 src1_sel:BYTE_0
	v_cndmask_b32_e32 v40, v40, v46, vcc
	v_max_i16_sdwa v46, sext(v42), sext(v45) dst_sel:DWORD dst_unused:UNUSED_PAD src0_sel:BYTE_0 src1_sel:BYTE_0
	v_min_i16_sdwa v42, sext(v42), sext(v45) dst_sel:DWORD dst_unused:UNUSED_PAD src0_sel:BYTE_0 src1_sel:BYTE_0
	v_lshlrev_b16_e32 v45, 8, v39
	v_or_b32_sdwa v45, v37, v45 dst_sel:DWORD dst_unused:UNUSED_PAD src0_sel:BYTE_0 src1_sel:DWORD
	v_and_b32_e32 v45, 0xffff, v45
	v_perm_b32 v47, v38, v37, s36
	v_lshl_or_b32 v45, v47, 16, v45
	v_cmp_lt_i16_e32 vcc, v39, v38
	v_cndmask_b32_e32 v37, v37, v45, vcc
	v_and_b32_sdwa v45, v37, s35 dst_sel:DWORD dst_unused:UNUSED_PAD src0_sel:WORD_1 src1_sel:DWORD
	v_lshlrev_b16_e32 v49, 8, v36
	v_perm_b32 v47, v43, v40, s37
	v_or_b32_sdwa v45, v45, v49 dst_sel:WORD_1 dst_unused:UNUSED_PAD src0_sel:DWORD src1_sel:DWORD
	v_cmp_lt_i16_e32 vcc, v36, v43
	v_and_or_b32 v45, v37, s33, v45
	v_cndmask_b32_e32 v40, v40, v47, vcc
	v_cndmask_b32_e32 v37, v37, v45, vcc
	v_and_b32_sdwa v45, v40, s38 dst_sel:DWORD dst_unused:UNUSED_PAD src0_sel:WORD_1 src1_sel:DWORD
	v_max_i16_e32 v47, v36, v43
	v_min_i16_e32 v36, v36, v43
	v_lshlrev_b16_e32 v43, 8, v42
	v_or_b32_sdwa v45, v44, v45 dst_sel:WORD_1 dst_unused:UNUSED_PAD src0_sel:BYTE_0 src1_sel:DWORD
	v_or_b32_sdwa v43, v40, v43 dst_sel:DWORD dst_unused:UNUSED_PAD src0_sel:BYTE_0 src1_sel:DWORD
	v_max_i16_e32 v48, v39, v38
	v_min_i16_e32 v38, v39, v38
	v_or_b32_sdwa v43, v43, v45 dst_sel:DWORD dst_unused:UNUSED_PAD src0_sel:WORD_0 src1_sel:DWORD
	v_lshlrev_b16_e32 v45, 8, v41
	v_or_b32_sdwa v45, v38, v45 dst_sel:DWORD dst_unused:UNUSED_PAD src0_sel:BYTE_0 src1_sel:DWORD
	v_cmp_lt_i16_e32 vcc, v42, v44
	v_and_b32_e32 v45, 0xffff, v45
	v_cndmask_b32_e32 v40, v40, v43, vcc
	v_cmp_lt_i16_e32 vcc, v39, v41
	v_and_or_b32 v45, v37, s39, v45
	v_cndmask_b32_e32 v39, v41, v38, vcc
	v_cndmask_b32_e32 v38, v38, v41, vcc
	v_lshlrev_b16_e32 v41, 8, v48
	v_cndmask_b32_e32 v37, v37, v45, vcc
	v_or_b32_sdwa v41, v36, v41 dst_sel:WORD_1 dst_unused:UNUSED_PAD src0_sel:BYTE_0 src1_sel:DWORD
	v_and_or_b32 v41, v37, s33, v41
	v_cmp_lt_i16_e32 vcc, v36, v48
	v_max_i16_e32 v43, v42, v44
	v_min_i16_e32 v42, v42, v44
	v_cndmask_b32_e32 v37, v37, v41, vcc
	v_lshlrev_b16_e32 v41, 8, v47
	v_or_b32_sdwa v41, v42, v41 dst_sel:DWORD dst_unused:UNUSED_PAD src0_sel:BYTE_0 src1_sel:DWORD
	v_and_b32_e32 v41, 0xffff, v41
	v_and_or_b32 v41, v40, s39, v41
	v_cmp_lt_i16_e32 vcc, v42, v47
	v_max_i16_e32 v45, v36, v48
	v_min_i16_e32 v36, v36, v48
	v_cndmask_b32_e32 v40, v40, v41, vcc
	v_max_i16_e32 v41, v42, v47
	v_min_i16_e32 v42, v42, v47
	v_lshlrev_b16_e32 v47, 8, v43
	v_cmp_gt_i16_e32 vcc, v44, v46
	v_or_b32_sdwa v47, v46, v47 dst_sel:WORD_1 dst_unused:UNUSED_PAD src0_sel:BYTE_0 src1_sel:DWORD
	v_cndmask_b32_e32 v44, v46, v43, vcc
	v_cndmask_b32_e32 v43, v43, v46, vcc
	v_lshlrev_b16_e32 v46, 8, v36
	v_and_or_b32 v47, v40, s33, v47
	v_or_b32_sdwa v46, v37, v46 dst_sel:DWORD dst_unused:UNUSED_PAD src0_sel:BYTE_0 src1_sel:DWORD
	v_cndmask_b32_e32 v40, v40, v47, vcc
	v_and_b32_e32 v46, 0xffff, v46
	v_perm_b32 v47, v38, v37, s36
	v_lshl_or_b32 v46, v47, 16, v46
	v_cmp_lt_i16_e32 vcc, v36, v38
	v_cndmask_b32_e32 v37, v37, v46, vcc
	v_and_b32_sdwa v46, v37, s35 dst_sel:DWORD dst_unused:UNUSED_PAD src0_sel:WORD_1 src1_sel:DWORD
	v_max_i16_e32 v48, v36, v38
	v_min_i16_e32 v36, v36, v38
	v_lshlrev_b16_e32 v38, 8, v42
	v_or_b32_sdwa v38, v46, v38 dst_sel:WORD_1 dst_unused:UNUSED_PAD src0_sel:DWORD src1_sel:DWORD
	v_perm_b32 v47, v45, v40, s37
	v_and_or_b32 v38, v37, s33, v38
	v_cmp_lt_i16_e32 vcc, v42, v45
	v_cndmask_b32_e32 v37, v37, v38, vcc
	v_cndmask_b32_e32 v38, v40, v47, vcc
	v_and_b32_sdwa v40, v38, s38 dst_sel:DWORD dst_unused:UNUSED_PAD src0_sel:WORD_1 src1_sel:DWORD
	v_max_i16_e32 v46, v42, v45
	v_min_i16_e32 v42, v42, v45
	v_lshlrev_b16_e32 v45, 8, v43
	v_or_b32_sdwa v40, v41, v40 dst_sel:WORD_1 dst_unused:UNUSED_PAD src0_sel:BYTE_0 src1_sel:DWORD
	v_or_b32_sdwa v45, v38, v45 dst_sel:DWORD dst_unused:UNUSED_PAD src0_sel:BYTE_0 src1_sel:DWORD
	v_or_b32_sdwa v40, v45, v40 dst_sel:DWORD dst_unused:UNUSED_PAD src0_sel:WORD_0 src1_sel:DWORD
	v_lshlrev_b16_e32 v45, 8, v39
	v_or_b32_sdwa v45, v36, v45 dst_sel:DWORD dst_unused:UNUSED_PAD src0_sel:BYTE_0 src1_sel:DWORD
	v_and_b32_e32 v45, 0xffff, v45
	v_cmp_lt_i16_e32 vcc, v43, v41
	v_and_or_b32 v45, v37, s39, v45
	v_cndmask_b32_e32 v38, v38, v40, vcc
	v_max_i16_e32 v40, v43, v41
	v_min_i16_e32 v41, v43, v41
	v_cmp_lt_i16_e32 vcc, v36, v39
	v_min_i16_e32 v43, v36, v39
	v_max_i16_e32 v36, v36, v39
	v_lshlrev_b16_e32 v39, 8, v48
	v_cndmask_b32_e32 v37, v37, v45, vcc
	v_or_b32_sdwa v39, v42, v39 dst_sel:WORD_1 dst_unused:UNUSED_PAD src0_sel:BYTE_0 src1_sel:DWORD
	v_and_or_b32 v39, v37, s33, v39
	v_cmp_lt_i16_e32 vcc, v42, v48
	v_cndmask_b32_e32 v37, v37, v39, vcc
	v_lshlrev_b16_e32 v39, 8, v46
	v_or_b32_sdwa v39, v41, v39 dst_sel:DWORD dst_unused:UNUSED_PAD src0_sel:BYTE_0 src1_sel:DWORD
	v_and_b32_e32 v39, 0xffff, v39
	v_and_or_b32 v39, v38, s39, v39
	v_cmp_lt_i16_e32 vcc, v41, v46
	v_cndmask_b32_e32 v38, v38, v39, vcc
	v_max_i16_e32 v39, v41, v46
	v_min_i16_e32 v41, v41, v46
	v_lshlrev_b16_e32 v46, 8, v40
	v_or_b32_sdwa v46, v44, v46 dst_sel:WORD_1 dst_unused:UNUSED_PAD src0_sel:BYTE_0 src1_sel:DWORD
	v_max_i16_e32 v45, v42, v48
	v_min_i16_e32 v42, v42, v48
	v_and_or_b32 v46, v38, s33, v46
	v_cmp_lt_i16_e32 vcc, v44, v40
	v_cndmask_b32_e32 v38, v38, v46, vcc
	v_max_i16_e32 v46, v44, v40
	v_min_i16_e32 v40, v44, v40
	v_lshlrev_b16_e32 v44, 8, v42
	v_or_b32_sdwa v44, v37, v44 dst_sel:DWORD dst_unused:UNUSED_PAD src0_sel:BYTE_0 src1_sel:DWORD
	v_and_b32_e32 v44, 0xffff, v44
	v_perm_b32 v47, v36, v37, s36
	v_lshl_or_b32 v44, v47, 16, v44
	v_cmp_lt_i16_e32 vcc, v42, v36
	v_cndmask_b32_e32 v37, v37, v44, vcc
	v_and_b32_sdwa v44, v37, s35 dst_sel:DWORD dst_unused:UNUSED_PAD src0_sel:WORD_1 src1_sel:DWORD
	v_lshlrev_b16_e32 v49, 8, v41
	v_perm_b32 v47, v45, v38, s37
	v_or_b32_sdwa v44, v44, v49 dst_sel:WORD_1 dst_unused:UNUSED_PAD src0_sel:DWORD src1_sel:DWORD
	v_cmp_lt_i16_e32 vcc, v41, v45
	v_and_or_b32 v44, v37, s33, v44
	v_cndmask_b32_e32 v38, v38, v47, vcc
	v_cndmask_b32_e32 v37, v37, v44, vcc
	v_and_b32_sdwa v44, v38, s38 dst_sel:DWORD dst_unused:UNUSED_PAD src0_sel:WORD_1 src1_sel:DWORD
	v_max_i16_e32 v47, v41, v45
	v_min_i16_e32 v41, v41, v45
	v_lshlrev_b16_e32 v45, 8, v40
	v_or_b32_sdwa v44, v39, v44 dst_sel:WORD_1 dst_unused:UNUSED_PAD src0_sel:BYTE_0 src1_sel:DWORD
	v_or_b32_sdwa v45, v38, v45 dst_sel:DWORD dst_unused:UNUSED_PAD src0_sel:BYTE_0 src1_sel:DWORD
	v_max_i16_e32 v48, v42, v36
	v_min_i16_e32 v36, v42, v36
	v_or_b32_sdwa v44, v45, v44 dst_sel:DWORD dst_unused:UNUSED_PAD src0_sel:WORD_0 src1_sel:DWORD
	v_lshlrev_b16_e32 v45, 8, v43
	v_or_b32_sdwa v45, v36, v45 dst_sel:DWORD dst_unused:UNUSED_PAD src0_sel:BYTE_0 src1_sel:DWORD
	v_and_b32_e32 v45, 0xffff, v45
	v_cmp_lt_i16_e32 vcc, v40, v39
	v_and_or_b32 v45, v37, s39, v45
	v_cndmask_b32_e32 v38, v38, v44, vcc
	v_cmp_lt_i16_e32 vcc, v42, v43
	v_lshlrev_b16_e32 v42, 8, v48
	v_cndmask_b32_e32 v37, v37, v45, vcc
	v_or_b32_sdwa v42, v41, v42 dst_sel:WORD_1 dst_unused:UNUSED_PAD src0_sel:BYTE_0 src1_sel:DWORD
	v_cndmask_b32_e32 v36, v36, v43, vcc
	v_and_or_b32 v42, v37, s33, v42
	v_cmp_lt_i16_e32 vcc, v41, v48
	v_max_i16_e32 v44, v40, v39
	v_min_i16_e32 v40, v40, v39
	v_cndmask_b32_e32 v37, v37, v42, vcc
	v_lshlrev_b16_e32 v42, 8, v47
	v_or_b32_sdwa v42, v40, v42 dst_sel:DWORD dst_unused:UNUSED_PAD src0_sel:BYTE_0 src1_sel:DWORD
	v_and_b32_e32 v42, 0xffff, v42
	v_and_or_b32 v42, v38, s39, v42
	v_cmp_lt_i16_e32 vcc, v40, v47
	v_max_i16_e32 v43, v41, v48
	v_min_i16_e32 v41, v41, v48
	v_cndmask_b32_e32 v38, v38, v42, vcc
	v_lshlrev_b16_e32 v45, 8, v44
	v_cmp_gt_i16_e32 vcc, v39, v46
	v_or_b32_sdwa v45, v46, v45 dst_sel:WORD_1 dst_unused:UNUSED_PAD src0_sel:BYTE_0 src1_sel:DWORD
	v_cndmask_b32_e32 v39, v44, v46, vcc
	v_lshlrev_b16_e32 v44, 8, v41
	v_and_or_b32 v45, v38, s33, v45
	v_or_b32_sdwa v44, v37, v44 dst_sel:DWORD dst_unused:UNUSED_PAD src0_sel:BYTE_0 src1_sel:DWORD
	v_cndmask_b32_e32 v38, v38, v45, vcc
	v_and_b32_e32 v44, 0xffff, v44
	v_perm_b32 v45, v36, v37, s36
	v_lshl_or_b32 v44, v45, 16, v44
	v_cmp_lt_i16_e32 vcc, v41, v36
	v_max_i16_e32 v42, v40, v47
	v_min_i16_e32 v40, v40, v47
	v_cndmask_b32_e32 v36, v37, v44, vcc
	v_and_b32_sdwa v37, v36, s35 dst_sel:DWORD dst_unused:UNUSED_PAD src0_sel:WORD_1 src1_sel:DWORD
	v_lshlrev_b16_e32 v44, 8, v40
	v_or_b32_sdwa v37, v37, v44 dst_sel:WORD_1 dst_unused:UNUSED_PAD src0_sel:DWORD src1_sel:DWORD
	v_perm_b32 v41, v43, v38, s37
	v_and_or_b32 v37, v36, s33, v37
	v_cmp_lt_i16_e32 vcc, v40, v43
	v_cndmask_b32_e32 v36, v36, v37, vcc
	v_cndmask_b32_e32 v37, v38, v41, vcc
	v_and_b32_sdwa v38, v37, s38 dst_sel:DWORD dst_unused:UNUSED_PAD src0_sel:WORD_1 src1_sel:DWORD
	v_lshlrev_b16_e32 v40, 8, v39
	v_or_b32_sdwa v38, v42, v38 dst_sel:WORD_1 dst_unused:UNUSED_PAD src0_sel:BYTE_0 src1_sel:DWORD
	v_or_b32_sdwa v40, v37, v40 dst_sel:DWORD dst_unused:UNUSED_PAD src0_sel:BYTE_0 src1_sel:DWORD
	v_or_b32_sdwa v38, v40, v38 dst_sel:DWORD dst_unused:UNUSED_PAD src0_sel:WORD_0 src1_sel:DWORD
	v_cmp_lt_i16_e32 vcc, v39, v42
	v_cndmask_b32_e32 v37, v37, v38, vcc
	; wave barrier
	ds_write_b64 v2, v[36:37]
	v_mov_b32_e32 v36, v30
	s_waitcnt lgkmcnt(0)
	; wave barrier
	s_and_saveexec_b64 s[12:13], s[2:3]
	s_cbranch_execz .LBB48_6
; %bb.3:                                ;   in Loop: Header=BB48_2 Depth=1
	s_mov_b64 s[14:15], 0
	v_mov_b32_e32 v36, v30
	v_mov_b32_e32 v37, v25
.LBB48_4:                               ;   Parent Loop BB48_2 Depth=1
                                        ; =>  This Inner Loop Header: Depth=2
	v_sub_u32_e32 v38, v37, v36
	v_lshrrev_b32_e32 v38, 1, v38
	v_add_u32_e32 v38, v38, v36
	v_add_u32_e32 v39, v3, v38
	v_xad_u32 v40, v38, -1, v20
	ds_read_i8 v39, v39
	ds_read_i8 v40, v40
	v_add_u32_e32 v41, 1, v38
	s_waitcnt lgkmcnt(0)
	v_cmp_lt_i16_e32 vcc, v40, v39
	v_cndmask_b32_e32 v37, v37, v38, vcc
	v_cndmask_b32_e32 v36, v41, v36, vcc
	v_cmp_ge_i32_e32 vcc, v36, v37
	s_or_b64 s[14:15], vcc, s[14:15]
	s_andn2_b64 exec, exec, s[14:15]
	s_cbranch_execnz .LBB48_4
; %bb.5:                                ;   in Loop: Header=BB48_2 Depth=1
	s_or_b64 exec, exec, s[14:15]
.LBB48_6:                               ;   in Loop: Header=BB48_2 Depth=1
	s_or_b64 exec, exec, s[12:13]
	v_add_u32_e32 v40, v36, v3
	v_sub_u32_e32 v41, v20, v36
	ds_read_u8 v36, v40
	ds_read_u8 v37, v41
	v_cmp_le_i32_e64 s[12:13], v10, v40
	v_cmp_gt_i32_e32 vcc, v11, v41
                                        ; implicit-def: $vgpr38
	s_waitcnt lgkmcnt(1)
	v_bfe_i32 v36, v36, 0, 8
	s_waitcnt lgkmcnt(0)
	v_bfe_i32 v37, v37, 0, 8
	v_cmp_lt_i16_e64 s[14:15], v37, v36
	s_or_b64 s[12:13], s[12:13], s[14:15]
	s_and_b64 s[12:13], vcc, s[12:13]
	s_xor_b64 s[14:15], s[12:13], -1
	s_and_saveexec_b64 s[16:17], s[14:15]
	s_xor_b64 s[14:15], exec, s[16:17]
; %bb.7:                                ;   in Loop: Header=BB48_2 Depth=1
	ds_read_u8 v38, v40 offset:1
; %bb.8:                                ;   in Loop: Header=BB48_2 Depth=1
	s_or_saveexec_b64 s[14:15], s[14:15]
	v_mov_b32_e32 v39, v37
	s_xor_b64 exec, exec, s[14:15]
	s_cbranch_execz .LBB48_10
; %bb.9:                                ;   in Loop: Header=BB48_2 Depth=1
	ds_read_u8 v39, v41 offset:1
	s_waitcnt lgkmcnt(1)
	v_mov_b32_e32 v38, v36
.LBB48_10:                              ;   in Loop: Header=BB48_2 Depth=1
	s_or_b64 exec, exec, s[14:15]
	v_add_u32_e32 v43, 1, v40
	v_add_u32_e32 v42, 1, v41
	v_cndmask_b32_e64 v43, v43, v40, s[12:13]
	v_cndmask_b32_e64 v42, v41, v42, s[12:13]
	v_cmp_ge_i32_e64 s[14:15], v43, v10
	s_waitcnt lgkmcnt(0)
	v_cmp_lt_i16_sdwa s[16:17], sext(v39), sext(v38) src0_sel:BYTE_0 src1_sel:BYTE_0
	v_cmp_lt_i32_e32 vcc, v42, v11
	s_or_b64 s[14:15], s[14:15], s[16:17]
	s_and_b64 s[14:15], vcc, s[14:15]
	s_xor_b64 s[16:17], s[14:15], -1
                                        ; implicit-def: $vgpr40
	s_and_saveexec_b64 s[18:19], s[16:17]
	s_xor_b64 s[16:17], exec, s[18:19]
; %bb.11:                               ;   in Loop: Header=BB48_2 Depth=1
	ds_read_u8 v40, v43 offset:1
; %bb.12:                               ;   in Loop: Header=BB48_2 Depth=1
	s_or_saveexec_b64 s[16:17], s[16:17]
	v_mov_b32_e32 v41, v39
	s_xor_b64 exec, exec, s[16:17]
	s_cbranch_execz .LBB48_14
; %bb.13:                               ;   in Loop: Header=BB48_2 Depth=1
	ds_read_u8 v41, v42 offset:1
	s_waitcnt lgkmcnt(1)
	v_mov_b32_e32 v40, v38
.LBB48_14:                              ;   in Loop: Header=BB48_2 Depth=1
	s_or_b64 exec, exec, s[16:17]
	v_add_u32_e32 v45, 1, v43
	v_add_u32_e32 v44, 1, v42
	v_cndmask_b32_e64 v45, v45, v43, s[14:15]
	v_cndmask_b32_e64 v44, v42, v44, s[14:15]
	v_cmp_ge_i32_e64 s[16:17], v45, v10
	s_waitcnt lgkmcnt(0)
	v_cmp_lt_i16_sdwa s[18:19], sext(v41), sext(v40) src0_sel:BYTE_0 src1_sel:BYTE_0
	v_cmp_lt_i32_e32 vcc, v44, v11
	s_or_b64 s[16:17], s[16:17], s[18:19]
	s_and_b64 s[16:17], vcc, s[16:17]
	s_xor_b64 s[18:19], s[16:17], -1
                                        ; implicit-def: $vgpr42
	s_and_saveexec_b64 s[20:21], s[18:19]
	s_xor_b64 s[18:19], exec, s[20:21]
; %bb.15:                               ;   in Loop: Header=BB48_2 Depth=1
	ds_read_u8 v42, v45 offset:1
; %bb.16:                               ;   in Loop: Header=BB48_2 Depth=1
	s_or_saveexec_b64 s[18:19], s[18:19]
	v_mov_b32_e32 v43, v41
	s_xor_b64 exec, exec, s[18:19]
	s_cbranch_execz .LBB48_18
; %bb.17:                               ;   in Loop: Header=BB48_2 Depth=1
	ds_read_u8 v43, v44 offset:1
	s_waitcnt lgkmcnt(1)
	v_mov_b32_e32 v42, v40
.LBB48_18:                              ;   in Loop: Header=BB48_2 Depth=1
	s_or_b64 exec, exec, s[18:19]
	v_add_u32_e32 v47, 1, v45
	v_add_u32_e32 v46, 1, v44
	v_cndmask_b32_e64 v47, v47, v45, s[16:17]
	v_cndmask_b32_e64 v46, v44, v46, s[16:17]
	v_cmp_ge_i32_e64 s[18:19], v47, v10
	s_waitcnt lgkmcnt(0)
	v_cmp_lt_i16_sdwa s[20:21], sext(v43), sext(v42) src0_sel:BYTE_0 src1_sel:BYTE_0
	v_cmp_lt_i32_e32 vcc, v46, v11
	s_or_b64 s[18:19], s[18:19], s[20:21]
	s_and_b64 s[18:19], vcc, s[18:19]
	s_xor_b64 s[20:21], s[18:19], -1
                                        ; implicit-def: $vgpr44
	s_and_saveexec_b64 s[22:23], s[20:21]
	s_xor_b64 s[20:21], exec, s[22:23]
; %bb.19:                               ;   in Loop: Header=BB48_2 Depth=1
	ds_read_u8 v44, v47 offset:1
; %bb.20:                               ;   in Loop: Header=BB48_2 Depth=1
	s_or_saveexec_b64 s[20:21], s[20:21]
	v_mov_b32_e32 v45, v43
	s_xor_b64 exec, exec, s[20:21]
	s_cbranch_execz .LBB48_22
; %bb.21:                               ;   in Loop: Header=BB48_2 Depth=1
	ds_read_u8 v45, v46 offset:1
	s_waitcnt lgkmcnt(1)
	v_mov_b32_e32 v44, v42
.LBB48_22:                              ;   in Loop: Header=BB48_2 Depth=1
	s_or_b64 exec, exec, s[20:21]
	v_add_u32_e32 v49, 1, v47
	v_add_u32_e32 v48, 1, v46
	v_cndmask_b32_e64 v49, v49, v47, s[18:19]
	v_cndmask_b32_e64 v48, v46, v48, s[18:19]
	v_cmp_ge_i32_e64 s[20:21], v49, v10
	s_waitcnt lgkmcnt(0)
	v_cmp_lt_i16_sdwa s[22:23], sext(v45), sext(v44) src0_sel:BYTE_0 src1_sel:BYTE_0
	v_cmp_lt_i32_e32 vcc, v48, v11
	s_or_b64 s[20:21], s[20:21], s[22:23]
	s_and_b64 s[20:21], vcc, s[20:21]
	s_xor_b64 s[22:23], s[20:21], -1
                                        ; implicit-def: $vgpr46
	s_and_saveexec_b64 s[24:25], s[22:23]
	s_xor_b64 s[22:23], exec, s[24:25]
; %bb.23:                               ;   in Loop: Header=BB48_2 Depth=1
	ds_read_u8 v46, v49 offset:1
; %bb.24:                               ;   in Loop: Header=BB48_2 Depth=1
	s_or_saveexec_b64 s[22:23], s[22:23]
	v_mov_b32_e32 v47, v45
	s_xor_b64 exec, exec, s[22:23]
	s_cbranch_execz .LBB48_26
; %bb.25:                               ;   in Loop: Header=BB48_2 Depth=1
	ds_read_u8 v47, v48 offset:1
	s_waitcnt lgkmcnt(1)
	v_mov_b32_e32 v46, v44
.LBB48_26:                              ;   in Loop: Header=BB48_2 Depth=1
	s_or_b64 exec, exec, s[22:23]
	v_add_u32_e32 v51, 1, v49
	v_add_u32_e32 v50, 1, v48
	v_cndmask_b32_e64 v52, v51, v49, s[20:21]
	v_cndmask_b32_e64 v50, v48, v50, s[20:21]
	v_cmp_ge_i32_e64 s[22:23], v52, v10
	s_waitcnt lgkmcnt(0)
	v_cmp_lt_i16_sdwa s[24:25], sext(v47), sext(v46) src0_sel:BYTE_0 src1_sel:BYTE_0
	v_cmp_lt_i32_e32 vcc, v50, v11
	s_or_b64 s[22:23], s[22:23], s[24:25]
	s_and_b64 vcc, vcc, s[22:23]
	s_xor_b64 s[22:23], vcc, -1
                                        ; implicit-def: $vgpr48
	s_and_saveexec_b64 s[24:25], s[22:23]
	s_xor_b64 s[22:23], exec, s[24:25]
; %bb.27:                               ;   in Loop: Header=BB48_2 Depth=1
	ds_read_u8 v48, v52 offset:1
; %bb.28:                               ;   in Loop: Header=BB48_2 Depth=1
	s_or_saveexec_b64 s[22:23], s[22:23]
	v_mov_b32_e32 v49, v47
	s_xor_b64 exec, exec, s[22:23]
	s_cbranch_execz .LBB48_30
; %bb.29:                               ;   in Loop: Header=BB48_2 Depth=1
	ds_read_u8 v49, v50 offset:1
	s_waitcnt lgkmcnt(1)
	v_mov_b32_e32 v48, v46
.LBB48_30:                              ;   in Loop: Header=BB48_2 Depth=1
	s_or_b64 exec, exec, s[22:23]
	v_add_u32_e32 v53, 1, v52
	v_add_u32_e32 v51, 1, v50
	v_cndmask_b32_e32 v52, v53, v52, vcc
	v_cndmask_b32_e32 v51, v50, v51, vcc
	v_cmp_ge_i32_e64 s[24:25], v52, v10
	s_waitcnt lgkmcnt(0)
	v_cmp_lt_i16_sdwa s[42:43], sext(v49), sext(v48) src0_sel:BYTE_0 src1_sel:BYTE_0
	v_cmp_lt_i32_e64 s[22:23], v51, v11
	s_or_b64 s[24:25], s[24:25], s[42:43]
	s_and_b64 s[22:23], s[22:23], s[24:25]
	s_xor_b64 s[24:25], s[22:23], -1
                                        ; implicit-def: $vgpr50
	s_and_saveexec_b64 s[42:43], s[24:25]
	s_xor_b64 s[24:25], exec, s[42:43]
; %bb.31:                               ;   in Loop: Header=BB48_2 Depth=1
	ds_read_u8 v50, v52 offset:1
; %bb.32:                               ;   in Loop: Header=BB48_2 Depth=1
	s_or_saveexec_b64 s[24:25], s[24:25]
	v_mov_b32_e32 v53, v49
	s_xor_b64 exec, exec, s[24:25]
	s_cbranch_execz .LBB48_34
; %bb.33:                               ;   in Loop: Header=BB48_2 Depth=1
	ds_read_u8 v53, v51 offset:1
	s_waitcnt lgkmcnt(1)
	v_mov_b32_e32 v50, v48
.LBB48_34:                              ;   in Loop: Header=BB48_2 Depth=1
	s_or_b64 exec, exec, s[24:25]
	v_cndmask_b32_e64 v48, v48, v49, s[22:23]
	v_add_u32_e32 v49, 1, v51
	v_add_u32_e32 v54, 1, v52
	v_cndmask_b32_e64 v49, v51, v49, s[22:23]
	v_cndmask_b32_e64 v51, v54, v52, s[22:23]
	v_cndmask_b32_sdwa v46, v46, v47, vcc dst_sel:BYTE_1 dst_unused:UNUSED_PAD src0_sel:DWORD src1_sel:DWORD
	s_mov_b64 vcc, s[18:19]
	v_cndmask_b32_e64 v38, v38, v39, s[14:15]
	v_cndmask_b32_e64 v36, v36, v37, s[12:13]
	v_cmp_ge_i32_e64 s[12:13], v51, v10
	s_waitcnt lgkmcnt(0)
	v_cmp_lt_i16_sdwa s[14:15], sext(v53), sext(v50) src0_sel:BYTE_0 src1_sel:BYTE_0
	v_cndmask_b32_sdwa v42, v42, v43, vcc dst_sel:BYTE_1 dst_unused:UNUSED_PAD src0_sel:DWORD src1_sel:DWORD
	v_cmp_lt_i32_e32 vcc, v49, v11
	s_or_b64 s[12:13], s[12:13], s[14:15]
	s_and_b64 vcc, vcc, s[12:13]
	v_cndmask_b32_e64 v40, v40, v41, s[16:17]
	v_cndmask_b32_e32 v37, v50, v53, vcc
	v_lshlrev_b16_e32 v38, 8, v38
	v_cndmask_b32_e64 v44, v44, v45, s[20:21]
	v_or_b32_sdwa v36, v36, v38 dst_sel:DWORD dst_unused:UNUSED_PAD src0_sel:BYTE_0 src1_sel:DWORD
	v_or_b32_sdwa v38, v40, v42 dst_sel:WORD_1 dst_unused:UNUSED_PAD src0_sel:BYTE_0 src1_sel:DWORD
	v_lshlrev_b16_e32 v37, 8, v37
	v_or_b32_sdwa v36, v36, v38 dst_sel:DWORD dst_unused:UNUSED_PAD src0_sel:WORD_0 src1_sel:DWORD
	v_or_b32_sdwa v38, v44, v46 dst_sel:DWORD dst_unused:UNUSED_PAD src0_sel:BYTE_0 src1_sel:DWORD
	v_or_b32_sdwa v37, v48, v37 dst_sel:WORD_1 dst_unused:UNUSED_PAD src0_sel:BYTE_0 src1_sel:DWORD
	v_or_b32_sdwa v37, v38, v37 dst_sel:DWORD dst_unused:UNUSED_PAD src0_sel:WORD_0 src1_sel:DWORD
	; wave barrier
	ds_write_b64 v2, v[36:37]
	v_mov_b32_e32 v36, v31
	s_waitcnt lgkmcnt(0)
	; wave barrier
	s_and_saveexec_b64 s[12:13], s[4:5]
	s_cbranch_execz .LBB48_38
; %bb.35:                               ;   in Loop: Header=BB48_2 Depth=1
	s_mov_b64 s[14:15], 0
	v_mov_b32_e32 v36, v31
	v_mov_b32_e32 v37, v26
.LBB48_36:                              ;   Parent Loop BB48_2 Depth=1
                                        ; =>  This Inner Loop Header: Depth=2
	v_sub_u32_e32 v38, v37, v36
	v_lshrrev_b32_e32 v38, 1, v38
	v_add_u32_e32 v38, v38, v36
	v_add_u32_e32 v39, v4, v38
	v_xad_u32 v40, v38, -1, v21
	ds_read_i8 v39, v39
	ds_read_i8 v40, v40
	v_add_u32_e32 v41, 1, v38
	s_waitcnt lgkmcnt(0)
	v_cmp_lt_i16_e32 vcc, v40, v39
	v_cndmask_b32_e32 v37, v37, v38, vcc
	v_cndmask_b32_e32 v36, v41, v36, vcc
	v_cmp_ge_i32_e32 vcc, v36, v37
	s_or_b64 s[14:15], vcc, s[14:15]
	s_andn2_b64 exec, exec, s[14:15]
	s_cbranch_execnz .LBB48_36
; %bb.37:                               ;   in Loop: Header=BB48_2 Depth=1
	s_or_b64 exec, exec, s[14:15]
.LBB48_38:                              ;   in Loop: Header=BB48_2 Depth=1
	s_or_b64 exec, exec, s[12:13]
	v_add_u32_e32 v40, v36, v4
	v_sub_u32_e32 v41, v21, v36
	ds_read_u8 v36, v40
	ds_read_u8 v37, v41
	v_cmp_le_i32_e64 s[12:13], v12, v40
	v_cmp_gt_i32_e32 vcc, v13, v41
                                        ; implicit-def: $vgpr38
	s_waitcnt lgkmcnt(1)
	v_bfe_i32 v36, v36, 0, 8
	s_waitcnt lgkmcnt(0)
	v_bfe_i32 v37, v37, 0, 8
	v_cmp_lt_i16_e64 s[14:15], v37, v36
	s_or_b64 s[12:13], s[12:13], s[14:15]
	s_and_b64 s[12:13], vcc, s[12:13]
	s_xor_b64 s[14:15], s[12:13], -1
	s_and_saveexec_b64 s[16:17], s[14:15]
	s_xor_b64 s[14:15], exec, s[16:17]
; %bb.39:                               ;   in Loop: Header=BB48_2 Depth=1
	ds_read_u8 v38, v40 offset:1
; %bb.40:                               ;   in Loop: Header=BB48_2 Depth=1
	s_or_saveexec_b64 s[14:15], s[14:15]
	v_mov_b32_e32 v39, v37
	s_xor_b64 exec, exec, s[14:15]
	s_cbranch_execz .LBB48_42
; %bb.41:                               ;   in Loop: Header=BB48_2 Depth=1
	ds_read_u8 v39, v41 offset:1
	s_waitcnt lgkmcnt(1)
	v_mov_b32_e32 v38, v36
.LBB48_42:                              ;   in Loop: Header=BB48_2 Depth=1
	s_or_b64 exec, exec, s[14:15]
	v_add_u32_e32 v43, 1, v40
	v_add_u32_e32 v42, 1, v41
	v_cndmask_b32_e64 v43, v43, v40, s[12:13]
	v_cndmask_b32_e64 v42, v41, v42, s[12:13]
	v_cmp_ge_i32_e64 s[14:15], v43, v12
	s_waitcnt lgkmcnt(0)
	v_cmp_lt_i16_sdwa s[16:17], sext(v39), sext(v38) src0_sel:BYTE_0 src1_sel:BYTE_0
	v_cmp_lt_i32_e32 vcc, v42, v13
	s_or_b64 s[14:15], s[14:15], s[16:17]
	s_and_b64 s[14:15], vcc, s[14:15]
	s_xor_b64 s[16:17], s[14:15], -1
                                        ; implicit-def: $vgpr40
	s_and_saveexec_b64 s[18:19], s[16:17]
	s_xor_b64 s[16:17], exec, s[18:19]
; %bb.43:                               ;   in Loop: Header=BB48_2 Depth=1
	ds_read_u8 v40, v43 offset:1
; %bb.44:                               ;   in Loop: Header=BB48_2 Depth=1
	s_or_saveexec_b64 s[16:17], s[16:17]
	v_mov_b32_e32 v41, v39
	s_xor_b64 exec, exec, s[16:17]
	s_cbranch_execz .LBB48_46
; %bb.45:                               ;   in Loop: Header=BB48_2 Depth=1
	ds_read_u8 v41, v42 offset:1
	s_waitcnt lgkmcnt(1)
	v_mov_b32_e32 v40, v38
.LBB48_46:                              ;   in Loop: Header=BB48_2 Depth=1
	s_or_b64 exec, exec, s[16:17]
	v_add_u32_e32 v45, 1, v43
	v_add_u32_e32 v44, 1, v42
	v_cndmask_b32_e64 v45, v45, v43, s[14:15]
	v_cndmask_b32_e64 v44, v42, v44, s[14:15]
	v_cmp_ge_i32_e64 s[16:17], v45, v12
	s_waitcnt lgkmcnt(0)
	v_cmp_lt_i16_sdwa s[18:19], sext(v41), sext(v40) src0_sel:BYTE_0 src1_sel:BYTE_0
	v_cmp_lt_i32_e32 vcc, v44, v13
	s_or_b64 s[16:17], s[16:17], s[18:19]
	s_and_b64 s[16:17], vcc, s[16:17]
	s_xor_b64 s[18:19], s[16:17], -1
                                        ; implicit-def: $vgpr42
	s_and_saveexec_b64 s[20:21], s[18:19]
	s_xor_b64 s[18:19], exec, s[20:21]
; %bb.47:                               ;   in Loop: Header=BB48_2 Depth=1
	ds_read_u8 v42, v45 offset:1
; %bb.48:                               ;   in Loop: Header=BB48_2 Depth=1
	s_or_saveexec_b64 s[18:19], s[18:19]
	v_mov_b32_e32 v43, v41
	s_xor_b64 exec, exec, s[18:19]
	s_cbranch_execz .LBB48_50
; %bb.49:                               ;   in Loop: Header=BB48_2 Depth=1
	ds_read_u8 v43, v44 offset:1
	s_waitcnt lgkmcnt(1)
	v_mov_b32_e32 v42, v40
.LBB48_50:                              ;   in Loop: Header=BB48_2 Depth=1
	s_or_b64 exec, exec, s[18:19]
	v_add_u32_e32 v47, 1, v45
	v_add_u32_e32 v46, 1, v44
	v_cndmask_b32_e64 v47, v47, v45, s[16:17]
	v_cndmask_b32_e64 v46, v44, v46, s[16:17]
	v_cmp_ge_i32_e64 s[18:19], v47, v12
	s_waitcnt lgkmcnt(0)
	v_cmp_lt_i16_sdwa s[20:21], sext(v43), sext(v42) src0_sel:BYTE_0 src1_sel:BYTE_0
	v_cmp_lt_i32_e32 vcc, v46, v13
	s_or_b64 s[18:19], s[18:19], s[20:21]
	s_and_b64 s[18:19], vcc, s[18:19]
	s_xor_b64 s[20:21], s[18:19], -1
                                        ; implicit-def: $vgpr44
	s_and_saveexec_b64 s[22:23], s[20:21]
	s_xor_b64 s[20:21], exec, s[22:23]
; %bb.51:                               ;   in Loop: Header=BB48_2 Depth=1
	ds_read_u8 v44, v47 offset:1
; %bb.52:                               ;   in Loop: Header=BB48_2 Depth=1
	s_or_saveexec_b64 s[20:21], s[20:21]
	v_mov_b32_e32 v45, v43
	s_xor_b64 exec, exec, s[20:21]
	s_cbranch_execz .LBB48_54
; %bb.53:                               ;   in Loop: Header=BB48_2 Depth=1
	ds_read_u8 v45, v46 offset:1
	s_waitcnt lgkmcnt(1)
	v_mov_b32_e32 v44, v42
.LBB48_54:                              ;   in Loop: Header=BB48_2 Depth=1
	s_or_b64 exec, exec, s[20:21]
	v_add_u32_e32 v49, 1, v47
	v_add_u32_e32 v48, 1, v46
	v_cndmask_b32_e64 v49, v49, v47, s[18:19]
	v_cndmask_b32_e64 v48, v46, v48, s[18:19]
	v_cmp_ge_i32_e64 s[20:21], v49, v12
	s_waitcnt lgkmcnt(0)
	v_cmp_lt_i16_sdwa s[22:23], sext(v45), sext(v44) src0_sel:BYTE_0 src1_sel:BYTE_0
	v_cmp_lt_i32_e32 vcc, v48, v13
	s_or_b64 s[20:21], s[20:21], s[22:23]
	s_and_b64 s[20:21], vcc, s[20:21]
	s_xor_b64 s[22:23], s[20:21], -1
                                        ; implicit-def: $vgpr46
	s_and_saveexec_b64 s[24:25], s[22:23]
	s_xor_b64 s[22:23], exec, s[24:25]
; %bb.55:                               ;   in Loop: Header=BB48_2 Depth=1
	ds_read_u8 v46, v49 offset:1
; %bb.56:                               ;   in Loop: Header=BB48_2 Depth=1
	s_or_saveexec_b64 s[22:23], s[22:23]
	v_mov_b32_e32 v47, v45
	s_xor_b64 exec, exec, s[22:23]
	s_cbranch_execz .LBB48_58
; %bb.57:                               ;   in Loop: Header=BB48_2 Depth=1
	ds_read_u8 v47, v48 offset:1
	s_waitcnt lgkmcnt(1)
	v_mov_b32_e32 v46, v44
.LBB48_58:                              ;   in Loop: Header=BB48_2 Depth=1
	s_or_b64 exec, exec, s[22:23]
	v_add_u32_e32 v51, 1, v49
	v_add_u32_e32 v50, 1, v48
	v_cndmask_b32_e64 v52, v51, v49, s[20:21]
	v_cndmask_b32_e64 v50, v48, v50, s[20:21]
	v_cmp_ge_i32_e64 s[22:23], v52, v12
	s_waitcnt lgkmcnt(0)
	v_cmp_lt_i16_sdwa s[24:25], sext(v47), sext(v46) src0_sel:BYTE_0 src1_sel:BYTE_0
	v_cmp_lt_i32_e32 vcc, v50, v13
	s_or_b64 s[22:23], s[22:23], s[24:25]
	s_and_b64 vcc, vcc, s[22:23]
	s_xor_b64 s[22:23], vcc, -1
                                        ; implicit-def: $vgpr48
	s_and_saveexec_b64 s[24:25], s[22:23]
	s_xor_b64 s[22:23], exec, s[24:25]
; %bb.59:                               ;   in Loop: Header=BB48_2 Depth=1
	ds_read_u8 v48, v52 offset:1
; %bb.60:                               ;   in Loop: Header=BB48_2 Depth=1
	s_or_saveexec_b64 s[22:23], s[22:23]
	v_mov_b32_e32 v49, v47
	s_xor_b64 exec, exec, s[22:23]
	s_cbranch_execz .LBB48_62
; %bb.61:                               ;   in Loop: Header=BB48_2 Depth=1
	ds_read_u8 v49, v50 offset:1
	s_waitcnt lgkmcnt(1)
	v_mov_b32_e32 v48, v46
.LBB48_62:                              ;   in Loop: Header=BB48_2 Depth=1
	s_or_b64 exec, exec, s[22:23]
	v_add_u32_e32 v53, 1, v52
	v_add_u32_e32 v51, 1, v50
	v_cndmask_b32_e32 v52, v53, v52, vcc
	v_cndmask_b32_e32 v51, v50, v51, vcc
	v_cmp_ge_i32_e64 s[24:25], v52, v12
	s_waitcnt lgkmcnt(0)
	v_cmp_lt_i16_sdwa s[42:43], sext(v49), sext(v48) src0_sel:BYTE_0 src1_sel:BYTE_0
	v_cmp_lt_i32_e64 s[22:23], v51, v13
	s_or_b64 s[24:25], s[24:25], s[42:43]
	s_and_b64 s[22:23], s[22:23], s[24:25]
	s_xor_b64 s[24:25], s[22:23], -1
                                        ; implicit-def: $vgpr50
	s_and_saveexec_b64 s[42:43], s[24:25]
	s_xor_b64 s[24:25], exec, s[42:43]
; %bb.63:                               ;   in Loop: Header=BB48_2 Depth=1
	ds_read_u8 v50, v52 offset:1
; %bb.64:                               ;   in Loop: Header=BB48_2 Depth=1
	s_or_saveexec_b64 s[24:25], s[24:25]
	v_mov_b32_e32 v53, v49
	s_xor_b64 exec, exec, s[24:25]
	s_cbranch_execz .LBB48_66
; %bb.65:                               ;   in Loop: Header=BB48_2 Depth=1
	ds_read_u8 v53, v51 offset:1
	s_waitcnt lgkmcnt(1)
	v_mov_b32_e32 v50, v48
.LBB48_66:                              ;   in Loop: Header=BB48_2 Depth=1
	s_or_b64 exec, exec, s[24:25]
	v_cndmask_b32_e64 v48, v48, v49, s[22:23]
	v_add_u32_e32 v49, 1, v51
	v_add_u32_e32 v54, 1, v52
	v_cndmask_b32_e64 v49, v51, v49, s[22:23]
	v_cndmask_b32_e64 v51, v54, v52, s[22:23]
	v_cndmask_b32_sdwa v46, v46, v47, vcc dst_sel:BYTE_1 dst_unused:UNUSED_PAD src0_sel:DWORD src1_sel:DWORD
	s_mov_b64 vcc, s[18:19]
	v_cndmask_b32_e64 v38, v38, v39, s[14:15]
	v_cndmask_b32_e64 v36, v36, v37, s[12:13]
	v_cmp_ge_i32_e64 s[12:13], v51, v12
	s_waitcnt lgkmcnt(0)
	v_cmp_lt_i16_sdwa s[14:15], sext(v53), sext(v50) src0_sel:BYTE_0 src1_sel:BYTE_0
	v_cndmask_b32_sdwa v42, v42, v43, vcc dst_sel:BYTE_1 dst_unused:UNUSED_PAD src0_sel:DWORD src1_sel:DWORD
	v_cmp_lt_i32_e32 vcc, v49, v13
	s_or_b64 s[12:13], s[12:13], s[14:15]
	s_and_b64 vcc, vcc, s[12:13]
	v_cndmask_b32_e64 v40, v40, v41, s[16:17]
	v_cndmask_b32_e32 v37, v50, v53, vcc
	v_lshlrev_b16_e32 v38, 8, v38
	v_cndmask_b32_e64 v44, v44, v45, s[20:21]
	v_or_b32_sdwa v36, v36, v38 dst_sel:DWORD dst_unused:UNUSED_PAD src0_sel:BYTE_0 src1_sel:DWORD
	v_or_b32_sdwa v38, v40, v42 dst_sel:WORD_1 dst_unused:UNUSED_PAD src0_sel:BYTE_0 src1_sel:DWORD
	v_lshlrev_b16_e32 v37, 8, v37
	v_or_b32_sdwa v36, v36, v38 dst_sel:DWORD dst_unused:UNUSED_PAD src0_sel:WORD_0 src1_sel:DWORD
	v_or_b32_sdwa v38, v44, v46 dst_sel:DWORD dst_unused:UNUSED_PAD src0_sel:BYTE_0 src1_sel:DWORD
	v_or_b32_sdwa v37, v48, v37 dst_sel:WORD_1 dst_unused:UNUSED_PAD src0_sel:BYTE_0 src1_sel:DWORD
	v_or_b32_sdwa v37, v38, v37 dst_sel:DWORD dst_unused:UNUSED_PAD src0_sel:WORD_0 src1_sel:DWORD
	; wave barrier
	ds_write_b64 v2, v[36:37]
	v_mov_b32_e32 v36, v32
	s_waitcnt lgkmcnt(0)
	; wave barrier
	s_and_saveexec_b64 s[12:13], s[6:7]
	s_cbranch_execz .LBB48_70
; %bb.67:                               ;   in Loop: Header=BB48_2 Depth=1
	s_mov_b64 s[14:15], 0
	v_mov_b32_e32 v36, v32
	v_mov_b32_e32 v37, v27
.LBB48_68:                              ;   Parent Loop BB48_2 Depth=1
                                        ; =>  This Inner Loop Header: Depth=2
	v_sub_u32_e32 v38, v37, v36
	v_lshrrev_b32_e32 v38, 1, v38
	v_add_u32_e32 v38, v38, v36
	v_add_u32_e32 v39, v5, v38
	v_xad_u32 v40, v38, -1, v22
	ds_read_i8 v39, v39
	ds_read_i8 v40, v40
	v_add_u32_e32 v41, 1, v38
	s_waitcnt lgkmcnt(0)
	v_cmp_lt_i16_e32 vcc, v40, v39
	v_cndmask_b32_e32 v37, v37, v38, vcc
	v_cndmask_b32_e32 v36, v41, v36, vcc
	v_cmp_ge_i32_e32 vcc, v36, v37
	s_or_b64 s[14:15], vcc, s[14:15]
	s_andn2_b64 exec, exec, s[14:15]
	s_cbranch_execnz .LBB48_68
; %bb.69:                               ;   in Loop: Header=BB48_2 Depth=1
	s_or_b64 exec, exec, s[14:15]
.LBB48_70:                              ;   in Loop: Header=BB48_2 Depth=1
	s_or_b64 exec, exec, s[12:13]
	v_add_u32_e32 v40, v36, v5
	v_sub_u32_e32 v41, v22, v36
	ds_read_u8 v36, v40
	ds_read_u8 v37, v41
	v_cmp_le_i32_e64 s[12:13], v14, v40
	v_cmp_gt_i32_e32 vcc, v15, v41
                                        ; implicit-def: $vgpr38
	s_waitcnt lgkmcnt(1)
	v_bfe_i32 v36, v36, 0, 8
	s_waitcnt lgkmcnt(0)
	v_bfe_i32 v37, v37, 0, 8
	v_cmp_lt_i16_e64 s[14:15], v37, v36
	s_or_b64 s[12:13], s[12:13], s[14:15]
	s_and_b64 s[12:13], vcc, s[12:13]
	s_xor_b64 s[14:15], s[12:13], -1
	s_and_saveexec_b64 s[16:17], s[14:15]
	s_xor_b64 s[14:15], exec, s[16:17]
; %bb.71:                               ;   in Loop: Header=BB48_2 Depth=1
	ds_read_u8 v38, v40 offset:1
; %bb.72:                               ;   in Loop: Header=BB48_2 Depth=1
	s_or_saveexec_b64 s[14:15], s[14:15]
	v_mov_b32_e32 v39, v37
	s_xor_b64 exec, exec, s[14:15]
	s_cbranch_execz .LBB48_74
; %bb.73:                               ;   in Loop: Header=BB48_2 Depth=1
	ds_read_u8 v39, v41 offset:1
	s_waitcnt lgkmcnt(1)
	v_mov_b32_e32 v38, v36
.LBB48_74:                              ;   in Loop: Header=BB48_2 Depth=1
	s_or_b64 exec, exec, s[14:15]
	v_add_u32_e32 v43, 1, v40
	v_add_u32_e32 v42, 1, v41
	v_cndmask_b32_e64 v43, v43, v40, s[12:13]
	v_cndmask_b32_e64 v42, v41, v42, s[12:13]
	v_cmp_ge_i32_e64 s[14:15], v43, v14
	s_waitcnt lgkmcnt(0)
	v_cmp_lt_i16_sdwa s[16:17], sext(v39), sext(v38) src0_sel:BYTE_0 src1_sel:BYTE_0
	v_cmp_lt_i32_e32 vcc, v42, v15
	s_or_b64 s[14:15], s[14:15], s[16:17]
	s_and_b64 s[14:15], vcc, s[14:15]
	s_xor_b64 s[16:17], s[14:15], -1
                                        ; implicit-def: $vgpr40
	s_and_saveexec_b64 s[18:19], s[16:17]
	s_xor_b64 s[16:17], exec, s[18:19]
; %bb.75:                               ;   in Loop: Header=BB48_2 Depth=1
	ds_read_u8 v40, v43 offset:1
; %bb.76:                               ;   in Loop: Header=BB48_2 Depth=1
	s_or_saveexec_b64 s[16:17], s[16:17]
	v_mov_b32_e32 v41, v39
	s_xor_b64 exec, exec, s[16:17]
	s_cbranch_execz .LBB48_78
; %bb.77:                               ;   in Loop: Header=BB48_2 Depth=1
	ds_read_u8 v41, v42 offset:1
	s_waitcnt lgkmcnt(1)
	v_mov_b32_e32 v40, v38
.LBB48_78:                              ;   in Loop: Header=BB48_2 Depth=1
	s_or_b64 exec, exec, s[16:17]
	v_add_u32_e32 v45, 1, v43
	v_add_u32_e32 v44, 1, v42
	v_cndmask_b32_e64 v45, v45, v43, s[14:15]
	v_cndmask_b32_e64 v44, v42, v44, s[14:15]
	v_cmp_ge_i32_e64 s[16:17], v45, v14
	s_waitcnt lgkmcnt(0)
	v_cmp_lt_i16_sdwa s[18:19], sext(v41), sext(v40) src0_sel:BYTE_0 src1_sel:BYTE_0
	v_cmp_lt_i32_e32 vcc, v44, v15
	s_or_b64 s[16:17], s[16:17], s[18:19]
	s_and_b64 s[16:17], vcc, s[16:17]
	s_xor_b64 s[18:19], s[16:17], -1
                                        ; implicit-def: $vgpr42
	s_and_saveexec_b64 s[20:21], s[18:19]
	s_xor_b64 s[18:19], exec, s[20:21]
; %bb.79:                               ;   in Loop: Header=BB48_2 Depth=1
	ds_read_u8 v42, v45 offset:1
; %bb.80:                               ;   in Loop: Header=BB48_2 Depth=1
	s_or_saveexec_b64 s[18:19], s[18:19]
	v_mov_b32_e32 v43, v41
	s_xor_b64 exec, exec, s[18:19]
	s_cbranch_execz .LBB48_82
; %bb.81:                               ;   in Loop: Header=BB48_2 Depth=1
	ds_read_u8 v43, v44 offset:1
	s_waitcnt lgkmcnt(1)
	v_mov_b32_e32 v42, v40
.LBB48_82:                              ;   in Loop: Header=BB48_2 Depth=1
	s_or_b64 exec, exec, s[18:19]
	v_add_u32_e32 v47, 1, v45
	v_add_u32_e32 v46, 1, v44
	v_cndmask_b32_e64 v47, v47, v45, s[16:17]
	v_cndmask_b32_e64 v46, v44, v46, s[16:17]
	v_cmp_ge_i32_e64 s[18:19], v47, v14
	s_waitcnt lgkmcnt(0)
	v_cmp_lt_i16_sdwa s[20:21], sext(v43), sext(v42) src0_sel:BYTE_0 src1_sel:BYTE_0
	v_cmp_lt_i32_e32 vcc, v46, v15
	s_or_b64 s[18:19], s[18:19], s[20:21]
	s_and_b64 s[18:19], vcc, s[18:19]
	s_xor_b64 s[20:21], s[18:19], -1
                                        ; implicit-def: $vgpr44
	s_and_saveexec_b64 s[22:23], s[20:21]
	s_xor_b64 s[20:21], exec, s[22:23]
; %bb.83:                               ;   in Loop: Header=BB48_2 Depth=1
	ds_read_u8 v44, v47 offset:1
; %bb.84:                               ;   in Loop: Header=BB48_2 Depth=1
	s_or_saveexec_b64 s[20:21], s[20:21]
	v_mov_b32_e32 v45, v43
	s_xor_b64 exec, exec, s[20:21]
	s_cbranch_execz .LBB48_86
; %bb.85:                               ;   in Loop: Header=BB48_2 Depth=1
	ds_read_u8 v45, v46 offset:1
	s_waitcnt lgkmcnt(1)
	v_mov_b32_e32 v44, v42
.LBB48_86:                              ;   in Loop: Header=BB48_2 Depth=1
	s_or_b64 exec, exec, s[20:21]
	v_add_u32_e32 v49, 1, v47
	v_add_u32_e32 v48, 1, v46
	v_cndmask_b32_e64 v49, v49, v47, s[18:19]
	v_cndmask_b32_e64 v48, v46, v48, s[18:19]
	v_cmp_ge_i32_e64 s[20:21], v49, v14
	s_waitcnt lgkmcnt(0)
	v_cmp_lt_i16_sdwa s[22:23], sext(v45), sext(v44) src0_sel:BYTE_0 src1_sel:BYTE_0
	v_cmp_lt_i32_e32 vcc, v48, v15
	s_or_b64 s[20:21], s[20:21], s[22:23]
	s_and_b64 s[20:21], vcc, s[20:21]
	s_xor_b64 s[22:23], s[20:21], -1
                                        ; implicit-def: $vgpr46
	s_and_saveexec_b64 s[24:25], s[22:23]
	s_xor_b64 s[22:23], exec, s[24:25]
; %bb.87:                               ;   in Loop: Header=BB48_2 Depth=1
	ds_read_u8 v46, v49 offset:1
; %bb.88:                               ;   in Loop: Header=BB48_2 Depth=1
	s_or_saveexec_b64 s[22:23], s[22:23]
	v_mov_b32_e32 v47, v45
	s_xor_b64 exec, exec, s[22:23]
	s_cbranch_execz .LBB48_90
; %bb.89:                               ;   in Loop: Header=BB48_2 Depth=1
	ds_read_u8 v47, v48 offset:1
	s_waitcnt lgkmcnt(1)
	v_mov_b32_e32 v46, v44
.LBB48_90:                              ;   in Loop: Header=BB48_2 Depth=1
	s_or_b64 exec, exec, s[22:23]
	v_add_u32_e32 v51, 1, v49
	v_add_u32_e32 v50, 1, v48
	v_cndmask_b32_e64 v52, v51, v49, s[20:21]
	v_cndmask_b32_e64 v50, v48, v50, s[20:21]
	v_cmp_ge_i32_e64 s[22:23], v52, v14
	s_waitcnt lgkmcnt(0)
	v_cmp_lt_i16_sdwa s[24:25], sext(v47), sext(v46) src0_sel:BYTE_0 src1_sel:BYTE_0
	v_cmp_lt_i32_e32 vcc, v50, v15
	s_or_b64 s[22:23], s[22:23], s[24:25]
	s_and_b64 vcc, vcc, s[22:23]
	s_xor_b64 s[22:23], vcc, -1
                                        ; implicit-def: $vgpr48
	s_and_saveexec_b64 s[24:25], s[22:23]
	s_xor_b64 s[22:23], exec, s[24:25]
; %bb.91:                               ;   in Loop: Header=BB48_2 Depth=1
	ds_read_u8 v48, v52 offset:1
; %bb.92:                               ;   in Loop: Header=BB48_2 Depth=1
	s_or_saveexec_b64 s[22:23], s[22:23]
	v_mov_b32_e32 v49, v47
	s_xor_b64 exec, exec, s[22:23]
	s_cbranch_execz .LBB48_94
; %bb.93:                               ;   in Loop: Header=BB48_2 Depth=1
	ds_read_u8 v49, v50 offset:1
	s_waitcnt lgkmcnt(1)
	v_mov_b32_e32 v48, v46
.LBB48_94:                              ;   in Loop: Header=BB48_2 Depth=1
	s_or_b64 exec, exec, s[22:23]
	v_add_u32_e32 v53, 1, v52
	v_add_u32_e32 v51, 1, v50
	v_cndmask_b32_e32 v52, v53, v52, vcc
	v_cndmask_b32_e32 v51, v50, v51, vcc
	v_cmp_ge_i32_e64 s[24:25], v52, v14
	s_waitcnt lgkmcnt(0)
	v_cmp_lt_i16_sdwa s[42:43], sext(v49), sext(v48) src0_sel:BYTE_0 src1_sel:BYTE_0
	v_cmp_lt_i32_e64 s[22:23], v51, v15
	s_or_b64 s[24:25], s[24:25], s[42:43]
	s_and_b64 s[22:23], s[22:23], s[24:25]
	s_xor_b64 s[24:25], s[22:23], -1
                                        ; implicit-def: $vgpr50
	s_and_saveexec_b64 s[42:43], s[24:25]
	s_xor_b64 s[24:25], exec, s[42:43]
; %bb.95:                               ;   in Loop: Header=BB48_2 Depth=1
	ds_read_u8 v50, v52 offset:1
; %bb.96:                               ;   in Loop: Header=BB48_2 Depth=1
	s_or_saveexec_b64 s[24:25], s[24:25]
	v_mov_b32_e32 v53, v49
	s_xor_b64 exec, exec, s[24:25]
	s_cbranch_execz .LBB48_98
; %bb.97:                               ;   in Loop: Header=BB48_2 Depth=1
	ds_read_u8 v53, v51 offset:1
	s_waitcnt lgkmcnt(1)
	v_mov_b32_e32 v50, v48
.LBB48_98:                              ;   in Loop: Header=BB48_2 Depth=1
	s_or_b64 exec, exec, s[24:25]
	v_cndmask_b32_e64 v48, v48, v49, s[22:23]
	v_add_u32_e32 v49, 1, v51
	v_add_u32_e32 v54, 1, v52
	v_cndmask_b32_e64 v49, v51, v49, s[22:23]
	v_cndmask_b32_e64 v51, v54, v52, s[22:23]
	v_cndmask_b32_sdwa v46, v46, v47, vcc dst_sel:BYTE_1 dst_unused:UNUSED_PAD src0_sel:DWORD src1_sel:DWORD
	s_mov_b64 vcc, s[18:19]
	v_cndmask_b32_e64 v38, v38, v39, s[14:15]
	v_cndmask_b32_e64 v36, v36, v37, s[12:13]
	v_cmp_ge_i32_e64 s[12:13], v51, v14
	s_waitcnt lgkmcnt(0)
	v_cmp_lt_i16_sdwa s[14:15], sext(v53), sext(v50) src0_sel:BYTE_0 src1_sel:BYTE_0
	v_cndmask_b32_sdwa v42, v42, v43, vcc dst_sel:BYTE_1 dst_unused:UNUSED_PAD src0_sel:DWORD src1_sel:DWORD
	v_cmp_lt_i32_e32 vcc, v49, v15
	s_or_b64 s[12:13], s[12:13], s[14:15]
	s_and_b64 vcc, vcc, s[12:13]
	v_cndmask_b32_e64 v40, v40, v41, s[16:17]
	v_cndmask_b32_e32 v37, v50, v53, vcc
	v_lshlrev_b16_e32 v38, 8, v38
	v_cndmask_b32_e64 v44, v44, v45, s[20:21]
	v_or_b32_sdwa v36, v36, v38 dst_sel:DWORD dst_unused:UNUSED_PAD src0_sel:BYTE_0 src1_sel:DWORD
	v_or_b32_sdwa v38, v40, v42 dst_sel:WORD_1 dst_unused:UNUSED_PAD src0_sel:BYTE_0 src1_sel:DWORD
	v_lshlrev_b16_e32 v37, 8, v37
	v_or_b32_sdwa v36, v36, v38 dst_sel:DWORD dst_unused:UNUSED_PAD src0_sel:WORD_0 src1_sel:DWORD
	v_or_b32_sdwa v38, v44, v46 dst_sel:DWORD dst_unused:UNUSED_PAD src0_sel:BYTE_0 src1_sel:DWORD
	v_or_b32_sdwa v37, v48, v37 dst_sel:WORD_1 dst_unused:UNUSED_PAD src0_sel:BYTE_0 src1_sel:DWORD
	v_or_b32_sdwa v37, v38, v37 dst_sel:DWORD dst_unused:UNUSED_PAD src0_sel:WORD_0 src1_sel:DWORD
	; wave barrier
	ds_write_b64 v2, v[36:37]
	v_mov_b32_e32 v36, v33
	s_waitcnt lgkmcnt(0)
	; wave barrier
	s_and_saveexec_b64 s[12:13], s[8:9]
	s_cbranch_execz .LBB48_102
; %bb.99:                               ;   in Loop: Header=BB48_2 Depth=1
	s_mov_b64 s[14:15], 0
	v_mov_b32_e32 v36, v33
	v_mov_b32_e32 v37, v28
.LBB48_100:                             ;   Parent Loop BB48_2 Depth=1
                                        ; =>  This Inner Loop Header: Depth=2
	v_sub_u32_e32 v38, v37, v36
	v_lshrrev_b32_e32 v38, 1, v38
	v_add_u32_e32 v38, v38, v36
	v_add_u32_e32 v39, v6, v38
	v_xad_u32 v40, v38, -1, v23
	ds_read_i8 v39, v39
	ds_read_i8 v40, v40
	v_add_u32_e32 v41, 1, v38
	s_waitcnt lgkmcnt(0)
	v_cmp_lt_i16_e32 vcc, v40, v39
	v_cndmask_b32_e32 v37, v37, v38, vcc
	v_cndmask_b32_e32 v36, v41, v36, vcc
	v_cmp_ge_i32_e32 vcc, v36, v37
	s_or_b64 s[14:15], vcc, s[14:15]
	s_andn2_b64 exec, exec, s[14:15]
	s_cbranch_execnz .LBB48_100
; %bb.101:                              ;   in Loop: Header=BB48_2 Depth=1
	s_or_b64 exec, exec, s[14:15]
.LBB48_102:                             ;   in Loop: Header=BB48_2 Depth=1
	s_or_b64 exec, exec, s[12:13]
	v_add_u32_e32 v40, v36, v6
	v_sub_u32_e32 v41, v23, v36
	ds_read_u8 v36, v40
	ds_read_u8 v37, v41
	v_cmp_le_i32_e64 s[12:13], v16, v40
	v_cmp_gt_i32_e32 vcc, v17, v41
                                        ; implicit-def: $vgpr38
	s_waitcnt lgkmcnt(1)
	v_bfe_i32 v36, v36, 0, 8
	s_waitcnt lgkmcnt(0)
	v_bfe_i32 v37, v37, 0, 8
	v_cmp_lt_i16_e64 s[14:15], v37, v36
	s_or_b64 s[12:13], s[12:13], s[14:15]
	s_and_b64 s[12:13], vcc, s[12:13]
	s_xor_b64 s[14:15], s[12:13], -1
	s_and_saveexec_b64 s[16:17], s[14:15]
	s_xor_b64 s[14:15], exec, s[16:17]
; %bb.103:                              ;   in Loop: Header=BB48_2 Depth=1
	ds_read_u8 v38, v40 offset:1
; %bb.104:                              ;   in Loop: Header=BB48_2 Depth=1
	s_or_saveexec_b64 s[14:15], s[14:15]
	v_mov_b32_e32 v39, v37
	s_xor_b64 exec, exec, s[14:15]
	s_cbranch_execz .LBB48_106
; %bb.105:                              ;   in Loop: Header=BB48_2 Depth=1
	ds_read_u8 v39, v41 offset:1
	s_waitcnt lgkmcnt(1)
	v_mov_b32_e32 v38, v36
.LBB48_106:                             ;   in Loop: Header=BB48_2 Depth=1
	s_or_b64 exec, exec, s[14:15]
	v_add_u32_e32 v43, 1, v40
	v_add_u32_e32 v42, 1, v41
	v_cndmask_b32_e64 v43, v43, v40, s[12:13]
	v_cndmask_b32_e64 v42, v41, v42, s[12:13]
	v_cmp_ge_i32_e64 s[14:15], v43, v16
	s_waitcnt lgkmcnt(0)
	v_cmp_lt_i16_sdwa s[16:17], sext(v39), sext(v38) src0_sel:BYTE_0 src1_sel:BYTE_0
	v_cmp_lt_i32_e32 vcc, v42, v17
	s_or_b64 s[14:15], s[14:15], s[16:17]
	s_and_b64 s[14:15], vcc, s[14:15]
	s_xor_b64 s[16:17], s[14:15], -1
                                        ; implicit-def: $vgpr40
	s_and_saveexec_b64 s[18:19], s[16:17]
	s_xor_b64 s[16:17], exec, s[18:19]
; %bb.107:                              ;   in Loop: Header=BB48_2 Depth=1
	ds_read_u8 v40, v43 offset:1
; %bb.108:                              ;   in Loop: Header=BB48_2 Depth=1
	s_or_saveexec_b64 s[16:17], s[16:17]
	v_mov_b32_e32 v41, v39
	s_xor_b64 exec, exec, s[16:17]
	s_cbranch_execz .LBB48_110
; %bb.109:                              ;   in Loop: Header=BB48_2 Depth=1
	ds_read_u8 v41, v42 offset:1
	s_waitcnt lgkmcnt(1)
	v_mov_b32_e32 v40, v38
.LBB48_110:                             ;   in Loop: Header=BB48_2 Depth=1
	s_or_b64 exec, exec, s[16:17]
	v_add_u32_e32 v45, 1, v43
	v_add_u32_e32 v44, 1, v42
	v_cndmask_b32_e64 v45, v45, v43, s[14:15]
	v_cndmask_b32_e64 v44, v42, v44, s[14:15]
	v_cmp_ge_i32_e64 s[16:17], v45, v16
	s_waitcnt lgkmcnt(0)
	v_cmp_lt_i16_sdwa s[18:19], sext(v41), sext(v40) src0_sel:BYTE_0 src1_sel:BYTE_0
	v_cmp_lt_i32_e32 vcc, v44, v17
	s_or_b64 s[16:17], s[16:17], s[18:19]
	s_and_b64 s[16:17], vcc, s[16:17]
	s_xor_b64 s[18:19], s[16:17], -1
                                        ; implicit-def: $vgpr42
	s_and_saveexec_b64 s[20:21], s[18:19]
	s_xor_b64 s[18:19], exec, s[20:21]
; %bb.111:                              ;   in Loop: Header=BB48_2 Depth=1
	ds_read_u8 v42, v45 offset:1
; %bb.112:                              ;   in Loop: Header=BB48_2 Depth=1
	s_or_saveexec_b64 s[18:19], s[18:19]
	v_mov_b32_e32 v43, v41
	s_xor_b64 exec, exec, s[18:19]
	s_cbranch_execz .LBB48_114
; %bb.113:                              ;   in Loop: Header=BB48_2 Depth=1
	ds_read_u8 v43, v44 offset:1
	s_waitcnt lgkmcnt(1)
	v_mov_b32_e32 v42, v40
.LBB48_114:                             ;   in Loop: Header=BB48_2 Depth=1
	s_or_b64 exec, exec, s[18:19]
	v_add_u32_e32 v47, 1, v45
	v_add_u32_e32 v46, 1, v44
	v_cndmask_b32_e64 v47, v47, v45, s[16:17]
	v_cndmask_b32_e64 v46, v44, v46, s[16:17]
	v_cmp_ge_i32_e64 s[18:19], v47, v16
	s_waitcnt lgkmcnt(0)
	v_cmp_lt_i16_sdwa s[20:21], sext(v43), sext(v42) src0_sel:BYTE_0 src1_sel:BYTE_0
	v_cmp_lt_i32_e32 vcc, v46, v17
	s_or_b64 s[18:19], s[18:19], s[20:21]
	s_and_b64 s[18:19], vcc, s[18:19]
	s_xor_b64 s[20:21], s[18:19], -1
                                        ; implicit-def: $vgpr44
	s_and_saveexec_b64 s[22:23], s[20:21]
	s_xor_b64 s[20:21], exec, s[22:23]
; %bb.115:                              ;   in Loop: Header=BB48_2 Depth=1
	ds_read_u8 v44, v47 offset:1
; %bb.116:                              ;   in Loop: Header=BB48_2 Depth=1
	s_or_saveexec_b64 s[20:21], s[20:21]
	v_mov_b32_e32 v45, v43
	s_xor_b64 exec, exec, s[20:21]
	s_cbranch_execz .LBB48_118
; %bb.117:                              ;   in Loop: Header=BB48_2 Depth=1
	ds_read_u8 v45, v46 offset:1
	s_waitcnt lgkmcnt(1)
	v_mov_b32_e32 v44, v42
.LBB48_118:                             ;   in Loop: Header=BB48_2 Depth=1
	s_or_b64 exec, exec, s[20:21]
	v_add_u32_e32 v49, 1, v47
	v_add_u32_e32 v48, 1, v46
	v_cndmask_b32_e64 v49, v49, v47, s[18:19]
	v_cndmask_b32_e64 v48, v46, v48, s[18:19]
	v_cmp_ge_i32_e64 s[20:21], v49, v16
	s_waitcnt lgkmcnt(0)
	v_cmp_lt_i16_sdwa s[22:23], sext(v45), sext(v44) src0_sel:BYTE_0 src1_sel:BYTE_0
	v_cmp_lt_i32_e32 vcc, v48, v17
	s_or_b64 s[20:21], s[20:21], s[22:23]
	s_and_b64 s[20:21], vcc, s[20:21]
	s_xor_b64 s[22:23], s[20:21], -1
                                        ; implicit-def: $vgpr46
	s_and_saveexec_b64 s[24:25], s[22:23]
	s_xor_b64 s[22:23], exec, s[24:25]
; %bb.119:                              ;   in Loop: Header=BB48_2 Depth=1
	ds_read_u8 v46, v49 offset:1
; %bb.120:                              ;   in Loop: Header=BB48_2 Depth=1
	s_or_saveexec_b64 s[22:23], s[22:23]
	v_mov_b32_e32 v47, v45
	s_xor_b64 exec, exec, s[22:23]
	s_cbranch_execz .LBB48_122
; %bb.121:                              ;   in Loop: Header=BB48_2 Depth=1
	ds_read_u8 v47, v48 offset:1
	s_waitcnt lgkmcnt(1)
	v_mov_b32_e32 v46, v44
.LBB48_122:                             ;   in Loop: Header=BB48_2 Depth=1
	s_or_b64 exec, exec, s[22:23]
	v_add_u32_e32 v51, 1, v49
	v_add_u32_e32 v50, 1, v48
	v_cndmask_b32_e64 v52, v51, v49, s[20:21]
	v_cndmask_b32_e64 v50, v48, v50, s[20:21]
	v_cmp_ge_i32_e64 s[22:23], v52, v16
	s_waitcnt lgkmcnt(0)
	v_cmp_lt_i16_sdwa s[24:25], sext(v47), sext(v46) src0_sel:BYTE_0 src1_sel:BYTE_0
	v_cmp_lt_i32_e32 vcc, v50, v17
	s_or_b64 s[22:23], s[22:23], s[24:25]
	s_and_b64 vcc, vcc, s[22:23]
	s_xor_b64 s[22:23], vcc, -1
                                        ; implicit-def: $vgpr48
	s_and_saveexec_b64 s[24:25], s[22:23]
	s_xor_b64 s[22:23], exec, s[24:25]
; %bb.123:                              ;   in Loop: Header=BB48_2 Depth=1
	ds_read_u8 v48, v52 offset:1
; %bb.124:                              ;   in Loop: Header=BB48_2 Depth=1
	s_or_saveexec_b64 s[22:23], s[22:23]
	v_mov_b32_e32 v49, v47
	s_xor_b64 exec, exec, s[22:23]
	s_cbranch_execz .LBB48_126
; %bb.125:                              ;   in Loop: Header=BB48_2 Depth=1
	ds_read_u8 v49, v50 offset:1
	s_waitcnt lgkmcnt(1)
	v_mov_b32_e32 v48, v46
.LBB48_126:                             ;   in Loop: Header=BB48_2 Depth=1
	s_or_b64 exec, exec, s[22:23]
	v_add_u32_e32 v53, 1, v52
	v_add_u32_e32 v51, 1, v50
	v_cndmask_b32_e32 v52, v53, v52, vcc
	v_cndmask_b32_e32 v51, v50, v51, vcc
	v_cmp_ge_i32_e64 s[24:25], v52, v16
	s_waitcnt lgkmcnt(0)
	v_cmp_lt_i16_sdwa s[42:43], sext(v49), sext(v48) src0_sel:BYTE_0 src1_sel:BYTE_0
	v_cmp_lt_i32_e64 s[22:23], v51, v17
	s_or_b64 s[24:25], s[24:25], s[42:43]
	s_and_b64 s[22:23], s[22:23], s[24:25]
	s_xor_b64 s[24:25], s[22:23], -1
                                        ; implicit-def: $vgpr50
	s_and_saveexec_b64 s[42:43], s[24:25]
	s_xor_b64 s[24:25], exec, s[42:43]
; %bb.127:                              ;   in Loop: Header=BB48_2 Depth=1
	ds_read_u8 v50, v52 offset:1
; %bb.128:                              ;   in Loop: Header=BB48_2 Depth=1
	s_or_saveexec_b64 s[24:25], s[24:25]
	v_mov_b32_e32 v53, v49
	s_xor_b64 exec, exec, s[24:25]
	s_cbranch_execz .LBB48_130
; %bb.129:                              ;   in Loop: Header=BB48_2 Depth=1
	ds_read_u8 v53, v51 offset:1
	s_waitcnt lgkmcnt(1)
	v_mov_b32_e32 v50, v48
.LBB48_130:                             ;   in Loop: Header=BB48_2 Depth=1
	s_or_b64 exec, exec, s[24:25]
	v_cndmask_b32_e64 v48, v48, v49, s[22:23]
	v_add_u32_e32 v49, 1, v51
	v_add_u32_e32 v54, 1, v52
	v_cndmask_b32_e64 v49, v51, v49, s[22:23]
	v_cndmask_b32_e64 v51, v54, v52, s[22:23]
	v_cndmask_b32_sdwa v46, v46, v47, vcc dst_sel:BYTE_1 dst_unused:UNUSED_PAD src0_sel:DWORD src1_sel:DWORD
	s_mov_b64 vcc, s[18:19]
	v_cndmask_b32_e64 v38, v38, v39, s[14:15]
	v_cndmask_b32_e64 v36, v36, v37, s[12:13]
	v_cmp_ge_i32_e64 s[12:13], v51, v16
	s_waitcnt lgkmcnt(0)
	v_cmp_lt_i16_sdwa s[14:15], sext(v53), sext(v50) src0_sel:BYTE_0 src1_sel:BYTE_0
	v_cndmask_b32_sdwa v42, v42, v43, vcc dst_sel:BYTE_1 dst_unused:UNUSED_PAD src0_sel:DWORD src1_sel:DWORD
	v_cmp_lt_i32_e32 vcc, v49, v17
	s_or_b64 s[12:13], s[12:13], s[14:15]
	s_and_b64 vcc, vcc, s[12:13]
	v_cndmask_b32_e64 v40, v40, v41, s[16:17]
	v_cndmask_b32_e32 v37, v50, v53, vcc
	v_lshlrev_b16_e32 v38, 8, v38
	v_cndmask_b32_e64 v44, v44, v45, s[20:21]
	v_or_b32_sdwa v36, v36, v38 dst_sel:DWORD dst_unused:UNUSED_PAD src0_sel:BYTE_0 src1_sel:DWORD
	v_or_b32_sdwa v38, v40, v42 dst_sel:WORD_1 dst_unused:UNUSED_PAD src0_sel:BYTE_0 src1_sel:DWORD
	v_lshlrev_b16_e32 v37, 8, v37
	v_or_b32_sdwa v36, v36, v38 dst_sel:DWORD dst_unused:UNUSED_PAD src0_sel:WORD_0 src1_sel:DWORD
	v_or_b32_sdwa v38, v44, v46 dst_sel:DWORD dst_unused:UNUSED_PAD src0_sel:BYTE_0 src1_sel:DWORD
	v_or_b32_sdwa v37, v48, v37 dst_sel:WORD_1 dst_unused:UNUSED_PAD src0_sel:BYTE_0 src1_sel:DWORD
	v_or_b32_sdwa v37, v38, v37 dst_sel:DWORD dst_unused:UNUSED_PAD src0_sel:WORD_0 src1_sel:DWORD
	; wave barrier
	ds_write_b64 v2, v[36:37]
	v_mov_b32_e32 v36, v34
	s_waitcnt lgkmcnt(0)
	; wave barrier
	s_and_saveexec_b64 s[12:13], s[10:11]
	s_cbranch_execz .LBB48_134
; %bb.131:                              ;   in Loop: Header=BB48_2 Depth=1
	s_mov_b64 s[14:15], 0
	v_mov_b32_e32 v36, v34
	v_mov_b32_e32 v37, v29
.LBB48_132:                             ;   Parent Loop BB48_2 Depth=1
                                        ; =>  This Inner Loop Header: Depth=2
	v_sub_u32_e32 v38, v37, v36
	v_lshrrev_b32_e32 v38, 1, v38
	v_add_u32_e32 v38, v38, v36
	v_add_u32_e32 v39, v7, v38
	v_xad_u32 v40, v38, -1, v24
	ds_read_i8 v39, v39
	ds_read_i8 v40, v40
	v_add_u32_e32 v41, 1, v38
	s_waitcnt lgkmcnt(0)
	v_cmp_lt_i16_e32 vcc, v40, v39
	v_cndmask_b32_e32 v37, v37, v38, vcc
	v_cndmask_b32_e32 v36, v41, v36, vcc
	v_cmp_ge_i32_e32 vcc, v36, v37
	s_or_b64 s[14:15], vcc, s[14:15]
	s_andn2_b64 exec, exec, s[14:15]
	s_cbranch_execnz .LBB48_132
; %bb.133:                              ;   in Loop: Header=BB48_2 Depth=1
	s_or_b64 exec, exec, s[14:15]
.LBB48_134:                             ;   in Loop: Header=BB48_2 Depth=1
	s_or_b64 exec, exec, s[12:13]
	v_add_u32_e32 v40, v36, v7
	v_sub_u32_e32 v41, v24, v36
	ds_read_u8 v36, v40
	ds_read_u8 v37, v41
	v_cmp_le_i32_e64 s[12:13], v18, v40
	v_cmp_gt_i32_e32 vcc, v19, v41
                                        ; implicit-def: $vgpr38
	s_waitcnt lgkmcnt(1)
	v_bfe_i32 v36, v36, 0, 8
	s_waitcnt lgkmcnt(0)
	v_bfe_i32 v37, v37, 0, 8
	v_cmp_lt_i16_e64 s[14:15], v37, v36
	s_or_b64 s[12:13], s[12:13], s[14:15]
	s_and_b64 s[12:13], vcc, s[12:13]
	s_xor_b64 s[14:15], s[12:13], -1
	s_and_saveexec_b64 s[16:17], s[14:15]
	s_xor_b64 s[14:15], exec, s[16:17]
; %bb.135:                              ;   in Loop: Header=BB48_2 Depth=1
	ds_read_u8 v38, v40 offset:1
; %bb.136:                              ;   in Loop: Header=BB48_2 Depth=1
	s_or_saveexec_b64 s[14:15], s[14:15]
	v_mov_b32_e32 v39, v37
	s_xor_b64 exec, exec, s[14:15]
	s_cbranch_execz .LBB48_138
; %bb.137:                              ;   in Loop: Header=BB48_2 Depth=1
	ds_read_u8 v39, v41 offset:1
	s_waitcnt lgkmcnt(1)
	v_mov_b32_e32 v38, v36
.LBB48_138:                             ;   in Loop: Header=BB48_2 Depth=1
	s_or_b64 exec, exec, s[14:15]
	v_add_u32_e32 v43, 1, v40
	v_add_u32_e32 v42, 1, v41
	v_cndmask_b32_e64 v43, v43, v40, s[12:13]
	v_cndmask_b32_e64 v42, v41, v42, s[12:13]
	v_cmp_ge_i32_e64 s[14:15], v43, v18
	s_waitcnt lgkmcnt(0)
	v_cmp_lt_i16_sdwa s[16:17], sext(v39), sext(v38) src0_sel:BYTE_0 src1_sel:BYTE_0
	v_cmp_lt_i32_e32 vcc, v42, v19
	s_or_b64 s[14:15], s[14:15], s[16:17]
	s_and_b64 s[14:15], vcc, s[14:15]
	s_xor_b64 s[16:17], s[14:15], -1
                                        ; implicit-def: $vgpr40
	s_and_saveexec_b64 s[18:19], s[16:17]
	s_xor_b64 s[16:17], exec, s[18:19]
; %bb.139:                              ;   in Loop: Header=BB48_2 Depth=1
	ds_read_u8 v40, v43 offset:1
; %bb.140:                              ;   in Loop: Header=BB48_2 Depth=1
	s_or_saveexec_b64 s[16:17], s[16:17]
	v_mov_b32_e32 v41, v39
	s_xor_b64 exec, exec, s[16:17]
	s_cbranch_execz .LBB48_142
; %bb.141:                              ;   in Loop: Header=BB48_2 Depth=1
	ds_read_u8 v41, v42 offset:1
	s_waitcnt lgkmcnt(1)
	v_mov_b32_e32 v40, v38
.LBB48_142:                             ;   in Loop: Header=BB48_2 Depth=1
	s_or_b64 exec, exec, s[16:17]
	v_add_u32_e32 v45, 1, v43
	v_add_u32_e32 v44, 1, v42
	v_cndmask_b32_e64 v45, v45, v43, s[14:15]
	v_cndmask_b32_e64 v44, v42, v44, s[14:15]
	v_cmp_ge_i32_e64 s[16:17], v45, v18
	s_waitcnt lgkmcnt(0)
	v_cmp_lt_i16_sdwa s[18:19], sext(v41), sext(v40) src0_sel:BYTE_0 src1_sel:BYTE_0
	v_cmp_lt_i32_e32 vcc, v44, v19
	s_or_b64 s[16:17], s[16:17], s[18:19]
	s_and_b64 s[16:17], vcc, s[16:17]
	s_xor_b64 s[18:19], s[16:17], -1
                                        ; implicit-def: $vgpr42
	s_and_saveexec_b64 s[20:21], s[18:19]
	s_xor_b64 s[18:19], exec, s[20:21]
; %bb.143:                              ;   in Loop: Header=BB48_2 Depth=1
	ds_read_u8 v42, v45 offset:1
; %bb.144:                              ;   in Loop: Header=BB48_2 Depth=1
	s_or_saveexec_b64 s[18:19], s[18:19]
	v_mov_b32_e32 v43, v41
	s_xor_b64 exec, exec, s[18:19]
	s_cbranch_execz .LBB48_146
; %bb.145:                              ;   in Loop: Header=BB48_2 Depth=1
	ds_read_u8 v43, v44 offset:1
	s_waitcnt lgkmcnt(1)
	v_mov_b32_e32 v42, v40
.LBB48_146:                             ;   in Loop: Header=BB48_2 Depth=1
	s_or_b64 exec, exec, s[18:19]
	v_add_u32_e32 v47, 1, v45
	v_add_u32_e32 v46, 1, v44
	v_cndmask_b32_e64 v47, v47, v45, s[16:17]
	v_cndmask_b32_e64 v46, v44, v46, s[16:17]
	v_cmp_ge_i32_e64 s[18:19], v47, v18
	s_waitcnt lgkmcnt(0)
	v_cmp_lt_i16_sdwa s[20:21], sext(v43), sext(v42) src0_sel:BYTE_0 src1_sel:BYTE_0
	v_cmp_lt_i32_e32 vcc, v46, v19
	s_or_b64 s[18:19], s[18:19], s[20:21]
	s_and_b64 s[18:19], vcc, s[18:19]
	s_xor_b64 s[20:21], s[18:19], -1
                                        ; implicit-def: $vgpr44
	s_and_saveexec_b64 s[22:23], s[20:21]
	s_xor_b64 s[20:21], exec, s[22:23]
; %bb.147:                              ;   in Loop: Header=BB48_2 Depth=1
	ds_read_u8 v44, v47 offset:1
; %bb.148:                              ;   in Loop: Header=BB48_2 Depth=1
	s_or_saveexec_b64 s[20:21], s[20:21]
	v_mov_b32_e32 v45, v43
	s_xor_b64 exec, exec, s[20:21]
	s_cbranch_execz .LBB48_150
; %bb.149:                              ;   in Loop: Header=BB48_2 Depth=1
	ds_read_u8 v45, v46 offset:1
	s_waitcnt lgkmcnt(1)
	v_mov_b32_e32 v44, v42
.LBB48_150:                             ;   in Loop: Header=BB48_2 Depth=1
	s_or_b64 exec, exec, s[20:21]
	v_add_u32_e32 v49, 1, v47
	v_add_u32_e32 v48, 1, v46
	v_cndmask_b32_e64 v49, v49, v47, s[18:19]
	v_cndmask_b32_e64 v48, v46, v48, s[18:19]
	v_cmp_ge_i32_e64 s[20:21], v49, v18
	s_waitcnt lgkmcnt(0)
	v_cmp_lt_i16_sdwa s[22:23], sext(v45), sext(v44) src0_sel:BYTE_0 src1_sel:BYTE_0
	v_cmp_lt_i32_e32 vcc, v48, v19
	s_or_b64 s[20:21], s[20:21], s[22:23]
	s_and_b64 s[20:21], vcc, s[20:21]
	s_xor_b64 s[22:23], s[20:21], -1
                                        ; implicit-def: $vgpr46
	s_and_saveexec_b64 s[24:25], s[22:23]
	s_xor_b64 s[22:23], exec, s[24:25]
; %bb.151:                              ;   in Loop: Header=BB48_2 Depth=1
	ds_read_u8 v46, v49 offset:1
; %bb.152:                              ;   in Loop: Header=BB48_2 Depth=1
	s_or_saveexec_b64 s[22:23], s[22:23]
	v_mov_b32_e32 v47, v45
	s_xor_b64 exec, exec, s[22:23]
	s_cbranch_execz .LBB48_154
; %bb.153:                              ;   in Loop: Header=BB48_2 Depth=1
	ds_read_u8 v47, v48 offset:1
	s_waitcnt lgkmcnt(1)
	v_mov_b32_e32 v46, v44
.LBB48_154:                             ;   in Loop: Header=BB48_2 Depth=1
	s_or_b64 exec, exec, s[22:23]
	v_add_u32_e32 v51, 1, v49
	v_add_u32_e32 v50, 1, v48
	v_cndmask_b32_e64 v52, v51, v49, s[20:21]
	v_cndmask_b32_e64 v50, v48, v50, s[20:21]
	v_cmp_ge_i32_e64 s[22:23], v52, v18
	s_waitcnt lgkmcnt(0)
	v_cmp_lt_i16_sdwa s[24:25], sext(v47), sext(v46) src0_sel:BYTE_0 src1_sel:BYTE_0
	v_cmp_lt_i32_e32 vcc, v50, v19
	s_or_b64 s[22:23], s[22:23], s[24:25]
	s_and_b64 vcc, vcc, s[22:23]
	s_xor_b64 s[22:23], vcc, -1
                                        ; implicit-def: $vgpr48
	s_and_saveexec_b64 s[24:25], s[22:23]
	s_xor_b64 s[22:23], exec, s[24:25]
; %bb.155:                              ;   in Loop: Header=BB48_2 Depth=1
	ds_read_u8 v48, v52 offset:1
; %bb.156:                              ;   in Loop: Header=BB48_2 Depth=1
	s_or_saveexec_b64 s[22:23], s[22:23]
	v_mov_b32_e32 v49, v47
	s_xor_b64 exec, exec, s[22:23]
	s_cbranch_execz .LBB48_158
; %bb.157:                              ;   in Loop: Header=BB48_2 Depth=1
	ds_read_u8 v49, v50 offset:1
	s_waitcnt lgkmcnt(1)
	v_mov_b32_e32 v48, v46
.LBB48_158:                             ;   in Loop: Header=BB48_2 Depth=1
	s_or_b64 exec, exec, s[22:23]
	v_add_u32_e32 v53, 1, v52
	v_add_u32_e32 v51, 1, v50
	v_cndmask_b32_e32 v52, v53, v52, vcc
	v_cndmask_b32_e32 v51, v50, v51, vcc
	v_cmp_ge_i32_e64 s[24:25], v52, v18
	s_waitcnt lgkmcnt(0)
	v_cmp_lt_i16_sdwa s[42:43], sext(v49), sext(v48) src0_sel:BYTE_0 src1_sel:BYTE_0
	v_cmp_lt_i32_e64 s[22:23], v51, v19
	s_or_b64 s[24:25], s[24:25], s[42:43]
	s_and_b64 s[22:23], s[22:23], s[24:25]
	s_xor_b64 s[24:25], s[22:23], -1
                                        ; implicit-def: $vgpr50
	s_and_saveexec_b64 s[42:43], s[24:25]
	s_xor_b64 s[24:25], exec, s[42:43]
; %bb.159:                              ;   in Loop: Header=BB48_2 Depth=1
	ds_read_u8 v50, v52 offset:1
; %bb.160:                              ;   in Loop: Header=BB48_2 Depth=1
	s_or_saveexec_b64 s[24:25], s[24:25]
	v_mov_b32_e32 v53, v49
	s_xor_b64 exec, exec, s[24:25]
	s_cbranch_execz .LBB48_162
; %bb.161:                              ;   in Loop: Header=BB48_2 Depth=1
	ds_read_u8 v53, v51 offset:1
	s_waitcnt lgkmcnt(1)
	v_mov_b32_e32 v50, v48
.LBB48_162:                             ;   in Loop: Header=BB48_2 Depth=1
	s_or_b64 exec, exec, s[24:25]
	v_cndmask_b32_e64 v48, v48, v49, s[22:23]
	v_add_u32_e32 v49, 1, v51
	v_add_u32_e32 v54, 1, v52
	v_cndmask_b32_e64 v49, v51, v49, s[22:23]
	v_cndmask_b32_e64 v51, v54, v52, s[22:23]
	v_cndmask_b32_sdwa v46, v46, v47, vcc dst_sel:BYTE_1 dst_unused:UNUSED_PAD src0_sel:DWORD src1_sel:DWORD
	s_mov_b64 vcc, s[18:19]
	v_cndmask_b32_e64 v38, v38, v39, s[14:15]
	v_cndmask_b32_e64 v36, v36, v37, s[12:13]
	v_cmp_ge_i32_e64 s[12:13], v51, v18
	s_waitcnt lgkmcnt(0)
	v_cmp_lt_i16_sdwa s[14:15], sext(v53), sext(v50) src0_sel:BYTE_0 src1_sel:BYTE_0
	v_cndmask_b32_sdwa v42, v42, v43, vcc dst_sel:BYTE_1 dst_unused:UNUSED_PAD src0_sel:DWORD src1_sel:DWORD
	v_cmp_lt_i32_e32 vcc, v49, v19
	s_or_b64 s[12:13], s[12:13], s[14:15]
	s_and_b64 vcc, vcc, s[12:13]
	v_cndmask_b32_e64 v40, v40, v41, s[16:17]
	v_cndmask_b32_e32 v37, v50, v53, vcc
	v_lshlrev_b16_e32 v38, 8, v38
	v_cndmask_b32_e64 v44, v44, v45, s[20:21]
	v_or_b32_sdwa v36, v36, v38 dst_sel:DWORD dst_unused:UNUSED_PAD src0_sel:BYTE_0 src1_sel:DWORD
	v_or_b32_sdwa v38, v40, v42 dst_sel:WORD_1 dst_unused:UNUSED_PAD src0_sel:BYTE_0 src1_sel:DWORD
	v_lshlrev_b16_e32 v37, 8, v37
	v_or_b32_sdwa v36, v36, v38 dst_sel:DWORD dst_unused:UNUSED_PAD src0_sel:WORD_0 src1_sel:DWORD
	v_or_b32_sdwa v38, v44, v46 dst_sel:DWORD dst_unused:UNUSED_PAD src0_sel:BYTE_0 src1_sel:DWORD
	v_or_b32_sdwa v37, v48, v37 dst_sel:WORD_1 dst_unused:UNUSED_PAD src0_sel:BYTE_0 src1_sel:DWORD
	v_or_b32_sdwa v37, v38, v37 dst_sel:DWORD dst_unused:UNUSED_PAD src0_sel:WORD_0 src1_sel:DWORD
	v_mov_b32_e32 v40, v8
	; wave barrier
	ds_write_b64 v2, v[36:37]
	s_waitcnt lgkmcnt(0)
	; wave barrier
	s_and_saveexec_b64 s[12:13], s[0:1]
	s_cbranch_execz .LBB48_166
; %bb.163:                              ;   in Loop: Header=BB48_2 Depth=1
	s_mov_b64 s[14:15], 0
	v_mov_b32_e32 v40, v8
	v_mov_b32_e32 v36, v9
.LBB48_164:                             ;   Parent Loop BB48_2 Depth=1
                                        ; =>  This Inner Loop Header: Depth=2
	v_sub_u32_e32 v37, v36, v40
	v_lshrrev_b32_e32 v37, 1, v37
	v_add_u32_e32 v37, v37, v40
	v_xad_u32 v38, v37, -1, v35
	ds_read_i8 v39, v37
	ds_read_i8 v38, v38
	v_add_u32_e32 v41, 1, v37
	s_waitcnt lgkmcnt(0)
	v_cmp_lt_i16_e32 vcc, v38, v39
	v_cndmask_b32_e32 v36, v36, v37, vcc
	v_cndmask_b32_e32 v40, v41, v40, vcc
	v_cmp_ge_i32_e32 vcc, v40, v36
	s_or_b64 s[14:15], vcc, s[14:15]
	s_andn2_b64 exec, exec, s[14:15]
	s_cbranch_execnz .LBB48_164
; %bb.165:                              ;   in Loop: Header=BB48_2 Depth=1
	s_or_b64 exec, exec, s[14:15]
.LBB48_166:                             ;   in Loop: Header=BB48_2 Depth=1
	s_or_b64 exec, exec, s[12:13]
	v_sub_u32_e32 v41, v35, v40
	ds_read_u8 v36, v40
	ds_read_u8 v37, v41
	v_cmp_le_i32_e64 s[12:13], v1, v40
	v_cmp_gt_i32_e32 vcc, s40, v41
                                        ; implicit-def: $vgpr38
	s_waitcnt lgkmcnt(1)
	v_bfe_i32 v36, v36, 0, 8
	s_waitcnt lgkmcnt(0)
	v_bfe_i32 v37, v37, 0, 8
	v_cmp_lt_i16_e64 s[14:15], v37, v36
	s_or_b64 s[12:13], s[12:13], s[14:15]
	s_and_b64 vcc, vcc, s[12:13]
	s_xor_b64 s[12:13], vcc, -1
	s_and_saveexec_b64 s[14:15], s[12:13]
	s_xor_b64 s[12:13], exec, s[14:15]
; %bb.167:                              ;   in Loop: Header=BB48_2 Depth=1
	ds_read_u8 v38, v40 offset:1
; %bb.168:                              ;   in Loop: Header=BB48_2 Depth=1
	s_or_saveexec_b64 s[12:13], s[12:13]
	v_mov_b32_e32 v39, v37
	s_xor_b64 exec, exec, s[12:13]
	s_cbranch_execz .LBB48_170
; %bb.169:                              ;   in Loop: Header=BB48_2 Depth=1
	ds_read_u8 v39, v41 offset:1
	s_waitcnt lgkmcnt(1)
	v_mov_b32_e32 v38, v36
.LBB48_170:                             ;   in Loop: Header=BB48_2 Depth=1
	s_or_b64 exec, exec, s[12:13]
	v_add_u32_e32 v43, 1, v40
	v_add_u32_e32 v42, 1, v41
	v_cndmask_b32_e32 v43, v43, v40, vcc
	v_cndmask_b32_e32 v42, v41, v42, vcc
	v_cmp_ge_i32_e64 s[14:15], v43, v1
	s_waitcnt lgkmcnt(0)
	v_cmp_lt_i16_sdwa s[16:17], sext(v39), sext(v38) src0_sel:BYTE_0 src1_sel:BYTE_0
	v_cmp_gt_i32_e64 s[12:13], s40, v42
	s_or_b64 s[14:15], s[14:15], s[16:17]
	s_and_b64 s[12:13], s[12:13], s[14:15]
	s_xor_b64 s[14:15], s[12:13], -1
                                        ; implicit-def: $vgpr40
	s_and_saveexec_b64 s[16:17], s[14:15]
	s_xor_b64 s[14:15], exec, s[16:17]
; %bb.171:                              ;   in Loop: Header=BB48_2 Depth=1
	ds_read_u8 v40, v43 offset:1
; %bb.172:                              ;   in Loop: Header=BB48_2 Depth=1
	s_or_saveexec_b64 s[14:15], s[14:15]
	v_mov_b32_e32 v41, v39
	s_xor_b64 exec, exec, s[14:15]
	s_cbranch_execz .LBB48_174
; %bb.173:                              ;   in Loop: Header=BB48_2 Depth=1
	ds_read_u8 v41, v42 offset:1
	s_waitcnt lgkmcnt(1)
	v_mov_b32_e32 v40, v38
.LBB48_174:                             ;   in Loop: Header=BB48_2 Depth=1
	s_or_b64 exec, exec, s[14:15]
	v_add_u32_e32 v45, 1, v43
	v_add_u32_e32 v44, 1, v42
	v_cndmask_b32_e64 v45, v45, v43, s[12:13]
	v_cndmask_b32_e64 v44, v42, v44, s[12:13]
	v_cmp_ge_i32_e64 s[16:17], v45, v1
	s_waitcnt lgkmcnt(0)
	v_cmp_lt_i16_sdwa s[18:19], sext(v41), sext(v40) src0_sel:BYTE_0 src1_sel:BYTE_0
	v_cmp_gt_i32_e64 s[14:15], s40, v44
	s_or_b64 s[16:17], s[16:17], s[18:19]
	s_and_b64 s[14:15], s[14:15], s[16:17]
	s_xor_b64 s[16:17], s[14:15], -1
                                        ; implicit-def: $vgpr42
	s_and_saveexec_b64 s[18:19], s[16:17]
	s_xor_b64 s[16:17], exec, s[18:19]
; %bb.175:                              ;   in Loop: Header=BB48_2 Depth=1
	ds_read_u8 v42, v45 offset:1
; %bb.176:                              ;   in Loop: Header=BB48_2 Depth=1
	s_or_saveexec_b64 s[16:17], s[16:17]
	v_mov_b32_e32 v43, v41
	s_xor_b64 exec, exec, s[16:17]
	s_cbranch_execz .LBB48_178
; %bb.177:                              ;   in Loop: Header=BB48_2 Depth=1
	ds_read_u8 v43, v44 offset:1
	s_waitcnt lgkmcnt(1)
	v_mov_b32_e32 v42, v40
.LBB48_178:                             ;   in Loop: Header=BB48_2 Depth=1
	s_or_b64 exec, exec, s[16:17]
	v_add_u32_e32 v47, 1, v45
	v_add_u32_e32 v46, 1, v44
	v_cndmask_b32_e64 v47, v47, v45, s[14:15]
	v_cndmask_b32_e64 v46, v44, v46, s[14:15]
	v_cmp_ge_i32_e64 s[18:19], v47, v1
	s_waitcnt lgkmcnt(0)
	v_cmp_lt_i16_sdwa s[20:21], sext(v43), sext(v42) src0_sel:BYTE_0 src1_sel:BYTE_0
	v_cmp_gt_i32_e64 s[16:17], s40, v46
	s_or_b64 s[18:19], s[18:19], s[20:21]
	s_and_b64 s[16:17], s[16:17], s[18:19]
	s_xor_b64 s[18:19], s[16:17], -1
                                        ; implicit-def: $vgpr44
	s_and_saveexec_b64 s[20:21], s[18:19]
	s_xor_b64 s[18:19], exec, s[20:21]
; %bb.179:                              ;   in Loop: Header=BB48_2 Depth=1
	ds_read_u8 v44, v47 offset:1
; %bb.180:                              ;   in Loop: Header=BB48_2 Depth=1
	s_or_saveexec_b64 s[18:19], s[18:19]
	v_mov_b32_e32 v45, v43
	s_xor_b64 exec, exec, s[18:19]
	s_cbranch_execz .LBB48_182
; %bb.181:                              ;   in Loop: Header=BB48_2 Depth=1
	ds_read_u8 v45, v46 offset:1
	s_waitcnt lgkmcnt(1)
	v_mov_b32_e32 v44, v42
.LBB48_182:                             ;   in Loop: Header=BB48_2 Depth=1
	s_or_b64 exec, exec, s[18:19]
	v_add_u32_e32 v49, 1, v47
	v_add_u32_e32 v48, 1, v46
	v_cndmask_b32_e64 v49, v49, v47, s[16:17]
	v_cndmask_b32_e64 v48, v46, v48, s[16:17]
	v_cmp_ge_i32_e64 s[20:21], v49, v1
	s_waitcnt lgkmcnt(0)
	v_cmp_lt_i16_sdwa s[22:23], sext(v45), sext(v44) src0_sel:BYTE_0 src1_sel:BYTE_0
	v_cmp_gt_i32_e64 s[18:19], s40, v48
	s_or_b64 s[20:21], s[20:21], s[22:23]
	s_and_b64 s[18:19], s[18:19], s[20:21]
	s_xor_b64 s[20:21], s[18:19], -1
                                        ; implicit-def: $vgpr46
	s_and_saveexec_b64 s[22:23], s[20:21]
	s_xor_b64 s[20:21], exec, s[22:23]
; %bb.183:                              ;   in Loop: Header=BB48_2 Depth=1
	ds_read_u8 v46, v49 offset:1
; %bb.184:                              ;   in Loop: Header=BB48_2 Depth=1
	s_or_saveexec_b64 s[20:21], s[20:21]
	v_mov_b32_e32 v47, v45
	s_xor_b64 exec, exec, s[20:21]
	s_cbranch_execz .LBB48_186
; %bb.185:                              ;   in Loop: Header=BB48_2 Depth=1
	ds_read_u8 v47, v48 offset:1
	s_waitcnt lgkmcnt(1)
	v_mov_b32_e32 v46, v44
.LBB48_186:                             ;   in Loop: Header=BB48_2 Depth=1
	s_or_b64 exec, exec, s[20:21]
	v_add_u32_e32 v51, 1, v49
	v_add_u32_e32 v50, 1, v48
	v_cndmask_b32_e64 v51, v51, v49, s[18:19]
	v_cndmask_b32_e64 v50, v48, v50, s[18:19]
	v_cmp_ge_i32_e64 s[22:23], v51, v1
	s_waitcnt lgkmcnt(0)
	v_cmp_lt_i16_sdwa s[24:25], sext(v47), sext(v46) src0_sel:BYTE_0 src1_sel:BYTE_0
	v_cmp_gt_i32_e64 s[20:21], s40, v50
	s_or_b64 s[22:23], s[22:23], s[24:25]
	s_and_b64 s[20:21], s[20:21], s[22:23]
	s_xor_b64 s[22:23], s[20:21], -1
                                        ; implicit-def: $vgpr48
	s_and_saveexec_b64 s[24:25], s[22:23]
	s_xor_b64 s[22:23], exec, s[24:25]
; %bb.187:                              ;   in Loop: Header=BB48_2 Depth=1
	ds_read_u8 v48, v51 offset:1
; %bb.188:                              ;   in Loop: Header=BB48_2 Depth=1
	s_or_saveexec_b64 s[22:23], s[22:23]
	v_mov_b32_e32 v49, v47
	s_xor_b64 exec, exec, s[22:23]
	s_cbranch_execz .LBB48_190
; %bb.189:                              ;   in Loop: Header=BB48_2 Depth=1
	ds_read_u8 v49, v50 offset:1
	s_waitcnt lgkmcnt(1)
	v_mov_b32_e32 v48, v46
.LBB48_190:                             ;   in Loop: Header=BB48_2 Depth=1
	s_or_b64 exec, exec, s[22:23]
	v_add_u32_e32 v53, 1, v51
	v_add_u32_e32 v52, 1, v50
	v_cndmask_b32_e64 v53, v53, v51, s[20:21]
	v_cndmask_b32_e64 v50, v50, v52, s[20:21]
	v_cmp_ge_i32_e64 s[24:25], v53, v1
	s_waitcnt lgkmcnt(0)
	v_cmp_lt_i16_sdwa s[42:43], sext(v49), sext(v48) src0_sel:BYTE_0 src1_sel:BYTE_0
	v_cmp_gt_i32_e64 s[22:23], s40, v50
	s_or_b64 s[24:25], s[24:25], s[42:43]
	s_and_b64 s[22:23], s[22:23], s[24:25]
	s_xor_b64 s[24:25], s[22:23], -1
                                        ; implicit-def: $vgpr51
                                        ; implicit-def: $vgpr52
	s_and_saveexec_b64 s[42:43], s[24:25]
	s_xor_b64 s[24:25], exec, s[42:43]
; %bb.191:                              ;   in Loop: Header=BB48_2 Depth=1
	ds_read_u8 v51, v53 offset:1
	v_add_u32_e32 v52, 1, v53
                                        ; implicit-def: $vgpr53
; %bb.192:                              ;   in Loop: Header=BB48_2 Depth=1
	s_or_saveexec_b64 s[24:25], s[24:25]
	v_mov_b32_e32 v54, v49
	s_xor_b64 exec, exec, s[24:25]
	s_cbranch_execz .LBB48_1
; %bb.193:                              ;   in Loop: Header=BB48_2 Depth=1
	ds_read_u8 v54, v50 offset:1
	v_add_u32_e32 v50, 1, v50
	v_mov_b32_e32 v52, v53
	s_waitcnt lgkmcnt(1)
	v_mov_b32_e32 v51, v48
	s_branch .LBB48_1
.LBB48_194:
	s_add_u32 s0, s26, s28
	s_addc_u32 s1, s27, 0
	v_mov_b32_e32 v1, s1
	v_add_co_u32_e32 v0, vcc, s0, v0
	v_addc_co_u32_e32 v1, vcc, 0, v1, vcc
	global_store_byte v[0:1], v37, off
	global_store_byte v[0:1], v38, off offset:64
	global_store_byte v[0:1], v39, off offset:128
	;; [unrolled: 1-line block ×7, first 2 shown]
	s_endpgm
	.section	.rodata,"a",@progbits
	.p2align	6, 0x0
	.amdhsa_kernel _Z16sort_keys_kernelIaLj64ELj8EN10test_utils4lessELj10EEvPKT_PS2_T2_
		.amdhsa_group_segment_fixed_size 513
		.amdhsa_private_segment_fixed_size 0
		.amdhsa_kernarg_size 20
		.amdhsa_user_sgpr_count 6
		.amdhsa_user_sgpr_private_segment_buffer 1
		.amdhsa_user_sgpr_dispatch_ptr 0
		.amdhsa_user_sgpr_queue_ptr 0
		.amdhsa_user_sgpr_kernarg_segment_ptr 1
		.amdhsa_user_sgpr_dispatch_id 0
		.amdhsa_user_sgpr_flat_scratch_init 0
		.amdhsa_user_sgpr_private_segment_size 0
		.amdhsa_uses_dynamic_stack 0
		.amdhsa_system_sgpr_private_segment_wavefront_offset 0
		.amdhsa_system_sgpr_workgroup_id_x 1
		.amdhsa_system_sgpr_workgroup_id_y 0
		.amdhsa_system_sgpr_workgroup_id_z 0
		.amdhsa_system_sgpr_workgroup_info 0
		.amdhsa_system_vgpr_workitem_id 0
		.amdhsa_next_free_vgpr 55
		.amdhsa_next_free_sgpr 44
		.amdhsa_reserve_vcc 1
		.amdhsa_reserve_flat_scratch 0
		.amdhsa_float_round_mode_32 0
		.amdhsa_float_round_mode_16_64 0
		.amdhsa_float_denorm_mode_32 3
		.amdhsa_float_denorm_mode_16_64 3
		.amdhsa_dx10_clamp 1
		.amdhsa_ieee_mode 1
		.amdhsa_fp16_overflow 0
		.amdhsa_exception_fp_ieee_invalid_op 0
		.amdhsa_exception_fp_denorm_src 0
		.amdhsa_exception_fp_ieee_div_zero 0
		.amdhsa_exception_fp_ieee_overflow 0
		.amdhsa_exception_fp_ieee_underflow 0
		.amdhsa_exception_fp_ieee_inexact 0
		.amdhsa_exception_int_div_zero 0
	.end_amdhsa_kernel
	.section	.text._Z16sort_keys_kernelIaLj64ELj8EN10test_utils4lessELj10EEvPKT_PS2_T2_,"axG",@progbits,_Z16sort_keys_kernelIaLj64ELj8EN10test_utils4lessELj10EEvPKT_PS2_T2_,comdat
.Lfunc_end48:
	.size	_Z16sort_keys_kernelIaLj64ELj8EN10test_utils4lessELj10EEvPKT_PS2_T2_, .Lfunc_end48-_Z16sort_keys_kernelIaLj64ELj8EN10test_utils4lessELj10EEvPKT_PS2_T2_
                                        ; -- End function
	.set _Z16sort_keys_kernelIaLj64ELj8EN10test_utils4lessELj10EEvPKT_PS2_T2_.num_vgpr, 55
	.set _Z16sort_keys_kernelIaLj64ELj8EN10test_utils4lessELj10EEvPKT_PS2_T2_.num_agpr, 0
	.set _Z16sort_keys_kernelIaLj64ELj8EN10test_utils4lessELj10EEvPKT_PS2_T2_.numbered_sgpr, 44
	.set _Z16sort_keys_kernelIaLj64ELj8EN10test_utils4lessELj10EEvPKT_PS2_T2_.num_named_barrier, 0
	.set _Z16sort_keys_kernelIaLj64ELj8EN10test_utils4lessELj10EEvPKT_PS2_T2_.private_seg_size, 0
	.set _Z16sort_keys_kernelIaLj64ELj8EN10test_utils4lessELj10EEvPKT_PS2_T2_.uses_vcc, 1
	.set _Z16sort_keys_kernelIaLj64ELj8EN10test_utils4lessELj10EEvPKT_PS2_T2_.uses_flat_scratch, 0
	.set _Z16sort_keys_kernelIaLj64ELj8EN10test_utils4lessELj10EEvPKT_PS2_T2_.has_dyn_sized_stack, 0
	.set _Z16sort_keys_kernelIaLj64ELj8EN10test_utils4lessELj10EEvPKT_PS2_T2_.has_recursion, 0
	.set _Z16sort_keys_kernelIaLj64ELj8EN10test_utils4lessELj10EEvPKT_PS2_T2_.has_indirect_call, 0
	.section	.AMDGPU.csdata,"",@progbits
; Kernel info:
; codeLenInByte = 8528
; TotalNumSgprs: 48
; NumVgprs: 55
; ScratchSize: 0
; MemoryBound: 0
; FloatMode: 240
; IeeeMode: 1
; LDSByteSize: 513 bytes/workgroup (compile time only)
; SGPRBlocks: 5
; VGPRBlocks: 13
; NumSGPRsForWavesPerEU: 48
; NumVGPRsForWavesPerEU: 55
; Occupancy: 4
; WaveLimiterHint : 0
; COMPUTE_PGM_RSRC2:SCRATCH_EN: 0
; COMPUTE_PGM_RSRC2:USER_SGPR: 6
; COMPUTE_PGM_RSRC2:TRAP_HANDLER: 0
; COMPUTE_PGM_RSRC2:TGID_X_EN: 1
; COMPUTE_PGM_RSRC2:TGID_Y_EN: 0
; COMPUTE_PGM_RSRC2:TGID_Z_EN: 0
; COMPUTE_PGM_RSRC2:TIDIG_COMP_CNT: 0
	.section	.text._Z17sort_pairs_kernelIaLj64ELj8EN10test_utils4lessELj10EEvPKT_PS2_T2_,"axG",@progbits,_Z17sort_pairs_kernelIaLj64ELj8EN10test_utils4lessELj10EEvPKT_PS2_T2_,comdat
	.protected	_Z17sort_pairs_kernelIaLj64ELj8EN10test_utils4lessELj10EEvPKT_PS2_T2_ ; -- Begin function _Z17sort_pairs_kernelIaLj64ELj8EN10test_utils4lessELj10EEvPKT_PS2_T2_
	.globl	_Z17sort_pairs_kernelIaLj64ELj8EN10test_utils4lessELj10EEvPKT_PS2_T2_
	.p2align	8
	.type	_Z17sort_pairs_kernelIaLj64ELj8EN10test_utils4lessELj10EEvPKT_PS2_T2_,@function
_Z17sort_pairs_kernelIaLj64ELj8EN10test_utils4lessELj10EEvPKT_PS2_T2_: ; @_Z17sort_pairs_kernelIaLj64ELj8EN10test_utils4lessELj10EEvPKT_PS2_T2_
; %bb.0:
	s_load_dwordx4 s[0:3], s[4:5], 0x0
	s_lshl_b32 s4, s6, 9
                                        ; implicit-def: $vgpr76 : SGPR spill to VGPR lane
	v_lshlrev_b32_e32 v5, 3, v0
	v_writelane_b32 v76, s4, 0
	v_and_b32_e32 v6, 0x1f0, v5
	s_waitcnt lgkmcnt(0)
	s_add_u32 s0, s0, s4
	v_writelane_b32 v76, s0, 1
	v_writelane_b32 v76, s1, 2
	v_writelane_b32 v76, s2, 3
	v_writelane_b32 v76, s3, 4
	s_addc_u32 s1, s1, 0
	s_nop 0
	global_load_ubyte v1, v0, s[0:1]
	global_load_ubyte v2, v0, s[0:1] offset:128
	global_load_ubyte v3, v0, s[0:1] offset:256
	;; [unrolled: 1-line block ×7, first 2 shown]
	v_and_b32_e32 v7, 0x1e0, v5
	v_or_b32_e32 v11, 8, v6
	v_add_u32_e32 v12, 16, v6
	v_and_b32_e32 v27, 8, v5
	v_and_b32_e32 v8, 0x1c0, v5
	v_or_b32_e32 v13, 16, v7
	v_add_u32_e32 v14, 32, v7
	v_sub_u32_e32 v36, v12, v11
	v_and_b32_e32 v28, 24, v5
	v_or_b32_e32 v15, 32, v8
	v_add_u32_e32 v16, 64, v8
	v_sub_u32_e32 v37, v14, v13
	v_sub_u32_e32 v24, v11, v6
	v_sub_u32_e32 v41, v27, v36
	v_cmp_ge_i32_e32 vcc, v27, v36
	v_and_b32_e32 v29, 56, v5
	v_sub_u32_e32 v38, v16, v15
	v_add_u32_e32 v21, v11, v27
	v_sub_u32_e32 v25, v13, v7
	v_sub_u32_e32 v42, v28, v37
	v_min_i32_e32 v24, v27, v24
	v_cndmask_b32_e32 v27, 0, v41, vcc
	v_cmp_ge_i32_e32 vcc, v28, v37
	v_add_u32_e32 v22, v13, v28
	v_sub_u32_e32 v26, v15, v8
	v_sub_u32_e32 v43, v29, v38
	v_min_i32_e32 v25, v28, v25
	v_cndmask_b32_e32 v28, 0, v42, vcc
	v_cmp_ge_i32_e32 vcc, v29, v38
	s_mov_b32 s84, 0xc0c0004
	v_and_b32_e32 v9, 0x180, v5
	v_add_u32_e32 v23, v15, v29
	v_min_i32_e32 v26, v29, v26
	v_cndmask_b32_e32 v29, 0, v43, vcc
	s_movk_i32 s0, 0x100
	v_and_b32_e32 v10, 0x100, v5
	v_or_b32_e32 v17, 64, v9
	v_add_u32_e32 v18, 0x80, v9
	v_and_b32_e32 v34, 0x78, v5
	v_or_b32_e32 v19, 0x80, v10
	v_add_u32_e32 v20, 0x100, v10
	v_sub_u32_e32 v39, v18, v17
	v_and_b32_e32 v35, 0xf8, v5
	v_sub_u32_e32 v40, v20, v19
	v_sub_u32_e32 v44, v34, v39
	v_cmp_ge_i32_e32 vcc, v34, v39
	v_sub_u32_e32 v45, v35, v40
	v_cmp_lt_i32_e64 s[2:3], v27, v24
	v_writelane_b32 v76, s2, 5
	s_mov_b32 s85, 0
	v_writelane_b32 v76, s3, 6
	v_cmp_lt_i32_e64 s[2:3], v28, v25
	v_cmp_lt_i32_e64 s[4:5], v29, v26
	s_movk_i32 s88, 0xff
	s_mov_b32 s89, 0x7060405
	s_mov_b32 s90, 0xc0c0001
	;; [unrolled: 1-line block ×7, first 2 shown]
	s_movk_i32 s33, 0x200
	v_add_u32_e32 v39, 0x100, v5
	s_waitcnt vmcnt(7)
	v_add_u16_e32 v36, 1, v1
	s_waitcnt vmcnt(6)
	v_add_u16_e32 v37, 1, v2
	s_waitcnt vmcnt(5)
	v_add_u16_e32 v38, 1, v3
	s_waitcnt vmcnt(4)
	v_add_u16_e32 v41, 1, v4
	s_waitcnt vmcnt(3)
	v_lshlrev_b16_e32 v47, 8, v30
	s_waitcnt vmcnt(2)
	v_lshlrev_b16_e32 v46, 8, v31
	;; [unrolled: 2-line block ×4, first 2 shown]
	v_perm_b32 v1, v1, v33, s84
	v_perm_b32 v2, v2, v32, s84
	v_perm_b32 v3, v3, v31, s84
	v_perm_b32 v30, v4, v30, s84
	v_or_b32_sdwa v31, v42, v36 dst_sel:DWORD dst_unused:UNUSED_PAD src0_sel:DWORD src1_sel:BYTE_0
	v_or_b32_sdwa v32, v43, v37 dst_sel:DWORD dst_unused:UNUSED_PAD src0_sel:DWORD src1_sel:BYTE_0
	;; [unrolled: 1-line block ×4, first 2 shown]
	v_lshl_or_b32 v4, v2, 16, v1
	v_lshl_or_b32 v3, v30, 16, v3
	v_add_u16_e32 v1, 0x100, v31
	v_add_u16_sdwa v2, v32, s0 dst_sel:WORD_1 dst_unused:UNUSED_PAD src0_sel:DWORD src1_sel:DWORD
	v_add_u16_e32 v30, 0x100, v33
	v_add_u16_sdwa v31, v36, s0 dst_sel:WORD_1 dst_unused:UNUSED_PAD src0_sel:DWORD src1_sel:DWORD
	v_or_b32_e32 v1, v1, v2
	v_or_b32_e32 v2, v30, v31
	v_sub_u32_e32 v31, v17, v9
	v_cndmask_b32_e32 v30, 0, v44, vcc
	v_min_i32_e32 v31, v34, v31
	v_add_u32_e32 v32, v17, v34
	v_cmp_ge_i32_e32 vcc, v35, v40
	v_sub_u32_e32 v34, v19, v10
	v_mov_b32_e32 v36, 0x100
	v_cndmask_b32_e32 v33, 0, v45, vcc
	v_min_i32_e32 v34, v35, v34
	v_sub_u32_e64 v37, v5, v36 clamp
	v_min_i32_e32 v38, 0x100, v5
	v_cmp_lt_i32_e64 s[6:7], v30, v31
	v_cmp_lt_i32_e64 s[8:9], v33, v34
	v_add_u32_e32 v35, v19, v35
	v_cmp_lt_i32_e64 s[10:11], v37, v38
	s_branch .LBB49_2
.LBB49_1:                               ;   in Loop: Header=BB49_2 Depth=1
	s_or_b64 exec, exec, s[24:25]
	v_cndmask_b32_e32 v46, v46, v47, vcc
	v_cndmask_b32_e64 v47, v48, v49, s[12:13]
	v_cndmask_b32_e64 v50, v51, v50, s[12:13]
	v_cmp_ge_i32_e64 s[12:13], v72, v36
	s_waitcnt lgkmcnt(0)
	v_cmp_lt_i16_sdwa s[0:1], sext(v75), sext(v73) src0_sel:BYTE_0 src1_sel:BYTE_0
	v_cndmask_b32_e32 v45, v44, v45, vcc
	v_cmp_gt_i32_e32 vcc, s33, v70
	s_or_b64 s[0:1], s[12:13], s[0:1]
	s_and_b64 vcc, vcc, s[0:1]
	v_perm_b32 v41, v41, v42, s84
	v_perm_b32 v40, v43, v40, s84
	;; [unrolled: 1-line block ×4, first 2 shown]
	v_cndmask_b32_e64 v49, v56, v57, s[16:17]
	v_cndmask_b32_e64 v54, v55, v54, s[14:15]
	v_cndmask_b32_e32 v51, v72, v70, vcc
	v_lshl_or_b32 v41, v40, 16, v41
	v_lshl_or_b32 v40, v2, 16, v1
	v_cndmask_b32_e64 v48, v52, v53, s[14:15]
	v_cndmask_b32_e64 v52, v60, v61, s[18:19]
	;; [unrolled: 1-line block ×5, first 2 shown]
	; wave barrier
	ds_write_b64 v5, v[40:41]
	s_waitcnt lgkmcnt(0)
	; wave barrier
	ds_read_u8 v40, v45
	ds_read_u8 v41, v71
	;; [unrolled: 1-line block ×8, first 2 shown]
	v_lshlrev_b16_e32 v1, 8, v47
	v_lshlrev_b16_e32 v2, 8, v49
	v_cndmask_b32_e64 v53, v64, v65, s[20:21]
	v_cndmask_b32_e32 v44, v73, v75, vcc
	v_or_b32_sdwa v1, v46, v1 dst_sel:DWORD dst_unused:UNUSED_PAD src0_sel:BYTE_0 src1_sel:DWORD
	v_or_b32_sdwa v2, v48, v2 dst_sel:WORD_1 dst_unused:UNUSED_PAD src0_sel:BYTE_0 src1_sel:DWORD
	v_cndmask_b32_e64 v56, v68, v69, s[22:23]
	v_or_b32_sdwa v4, v1, v2 dst_sel:DWORD dst_unused:UNUSED_PAD src0_sel:WORD_0 src1_sel:DWORD
	v_lshlrev_b16_e32 v1, 8, v53
	v_lshlrev_b16_e32 v2, 8, v44
	v_or_b32_sdwa v1, v52, v1 dst_sel:DWORD dst_unused:UNUSED_PAD src0_sel:BYTE_0 src1_sel:DWORD
	v_or_b32_sdwa v2, v56, v2 dst_sel:WORD_1 dst_unused:UNUSED_PAD src0_sel:BYTE_0 src1_sel:DWORD
	v_or_b32_sdwa v3, v1, v2 dst_sel:DWORD dst_unused:UNUSED_PAD src0_sel:WORD_0 src1_sel:DWORD
	s_waitcnt lgkmcnt(4)
	v_perm_b32 v1, v40, v43, s84
	s_waitcnt lgkmcnt(2)
	v_perm_b32 v2, v45, v50, s84
	s_add_i32 s85, s85, 1
	v_lshl_or_b32 v1, v2, 16, v1
	s_waitcnt lgkmcnt(0)
	v_perm_b32 v2, v51, v54, s84
	v_perm_b32 v55, v41, v42, s84
	s_cmp_eq_u32 s85, 10
	v_lshl_or_b32 v2, v55, 16, v2
	s_cbranch_scc1 .LBB49_194
.LBB49_2:                               ; =>This Loop Header: Depth=1
                                        ;     Child Loop BB49_4 Depth 2
                                        ;     Child Loop BB49_36 Depth 2
	;; [unrolled: 1-line block ×6, first 2 shown]
	v_lshrrev_b32_e32 v41, 8, v4
	v_perm_b32 v40, v4, v4, s89
	v_cmp_lt_i16_sdwa s[12:13], sext(v41), sext(v4) src0_sel:BYTE_0 src1_sel:BYTE_0
	v_cndmask_b32_e64 v4, v4, v40, s[12:13]
	v_lshrrev_b32_e32 v40, 16, v4
	v_perm_b32 v41, 0, v40, s90
	v_lshrrev_b32_e32 v42, 24, v4
	v_lshlrev_b32_e32 v41, 16, v41
	v_and_or_b32 v41, v4, s91, v41
	v_cmp_lt_i16_sdwa s[14:15], sext(v42), sext(v40) src0_sel:BYTE_0 src1_sel:BYTE_0
	v_cndmask_b32_e64 v4, v4, v41, s[14:15]
	v_lshrrev_b32_e32 v41, 8, v3
	v_perm_b32 v40, v3, v3, s89
	v_cmp_lt_i16_sdwa s[16:17], sext(v41), sext(v3) src0_sel:BYTE_0 src1_sel:BYTE_0
	v_cndmask_b32_e64 v3, v3, v40, s[16:17]
	v_lshrrev_b32_e32 v40, 24, v3
	v_lshrrev_b32_e32 v41, 16, v3
	v_perm_b32 v42, v3, v3, s92
	v_cmp_lt_i16_sdwa s[18:19], sext(v40), sext(v41) src0_sel:BYTE_0 src1_sel:BYTE_0
	v_lshrrev_b32_e32 v40, 16, v4
	v_lshrrev_b32_e32 v41, 8, v4
	v_cndmask_b32_e64 v3, v3, v42, s[18:19]
	v_perm_b32 v42, v4, v4, s93
	v_cmp_lt_i16_sdwa s[20:21], sext(v40), sext(v41) src0_sel:BYTE_0 src1_sel:BYTE_0
	v_cndmask_b32_e64 v4, v4, v42, s[20:21]
	v_and_b32_sdwa v41, v4, s88 dst_sel:DWORD dst_unused:UNUSED_PAD src0_sel:WORD_1 src1_sel:DWORD
	v_lshlrev_b16_e32 v42, 8, v3
	v_or_b32_sdwa v41, v41, v42 dst_sel:WORD_1 dst_unused:UNUSED_PAD src0_sel:DWORD src1_sel:DWORD
	v_lshrrev_b32_e32 v42, 24, v4
	v_perm_b32 v40, v4, v3, s94
	v_cmp_lt_i16_sdwa s[22:23], sext(v3), sext(v42) src0_sel:BYTE_0 src1_sel:BYTE_0
	v_and_or_b32 v41, v4, s91, v41
	v_cndmask_b32_e64 v3, v3, v40, s[22:23]
	v_cndmask_b32_e64 v4, v4, v41, s[22:23]
	v_lshrrev_b32_e32 v40, 16, v3
	v_lshrrev_b32_e32 v41, 8, v3
	v_cmp_lt_i16_sdwa s[24:25], sext(v40), sext(v41) src0_sel:BYTE_0 src1_sel:BYTE_0
	v_perm_b32 v40, 0, v4, s90
	v_lshrrev_b32_e32 v41, 8, v4
	v_and_or_b32 v40, v4, s95, v40
	v_cmp_lt_i16_sdwa s[26:27], sext(v41), sext(v4) src0_sel:BYTE_0 src1_sel:BYTE_0
	v_cndmask_b32_e64 v4, v4, v40, s[26:27]
	v_lshrrev_b32_e32 v40, 16, v4
	v_perm_b32 v42, v3, v3, s93
	v_perm_b32 v41, 0, v40, s90
	v_cndmask_b32_e64 v3, v3, v42, s[24:25]
	v_lshrrev_b32_e32 v42, 24, v4
	v_lshlrev_b32_e32 v41, 16, v41
	v_and_or_b32 v41, v4, s91, v41
	v_cmp_lt_i16_sdwa s[28:29], sext(v42), sext(v40) src0_sel:BYTE_0 src1_sel:BYTE_0
	v_cndmask_b32_e64 v4, v4, v41, s[28:29]
	v_lshrrev_b32_e32 v41, 8, v3
	v_perm_b32 v40, v3, v3, s89
	v_cmp_lt_i16_sdwa s[30:31], sext(v41), sext(v3) src0_sel:BYTE_0 src1_sel:BYTE_0
	v_cndmask_b32_e64 v3, v3, v40, s[30:31]
	v_lshrrev_b32_e32 v40, 24, v3
	v_lshrrev_b32_e32 v41, 16, v3
	v_perm_b32 v42, v3, v3, s92
	v_cmp_lt_i16_sdwa s[34:35], sext(v40), sext(v41) src0_sel:BYTE_0 src1_sel:BYTE_0
	v_lshrrev_b32_e32 v40, 16, v4
	v_lshrrev_b32_e32 v41, 8, v4
	v_cndmask_b32_e64 v3, v3, v42, s[34:35]
	v_perm_b32 v42, v4, v4, s93
	v_cmp_lt_i16_sdwa s[36:37], sext(v40), sext(v41) src0_sel:BYTE_0 src1_sel:BYTE_0
	v_cndmask_b32_e64 v4, v4, v42, s[36:37]
	v_and_b32_sdwa v41, v4, s88 dst_sel:DWORD dst_unused:UNUSED_PAD src0_sel:WORD_1 src1_sel:DWORD
	v_lshlrev_b16_e32 v42, 8, v3
	v_or_b32_sdwa v41, v41, v42 dst_sel:WORD_1 dst_unused:UNUSED_PAD src0_sel:DWORD src1_sel:DWORD
	v_lshrrev_b32_e32 v42, 24, v4
	v_perm_b32 v40, v4, v3, s94
	v_cmp_lt_i16_sdwa s[38:39], sext(v3), sext(v42) src0_sel:BYTE_0 src1_sel:BYTE_0
	v_and_or_b32 v41, v4, s91, v41
	v_cndmask_b32_e64 v3, v3, v40, s[38:39]
	v_cndmask_b32_e64 v4, v4, v41, s[38:39]
	v_lshrrev_b32_e32 v40, 16, v3
	v_lshrrev_b32_e32 v41, 8, v3
	v_cmp_lt_i16_sdwa s[40:41], sext(v40), sext(v41) src0_sel:BYTE_0 src1_sel:BYTE_0
	v_perm_b32 v40, 0, v4, s90
	v_lshrrev_b32_e32 v41, 8, v4
	v_and_or_b32 v40, v4, s95, v40
	v_cmp_lt_i16_sdwa s[42:43], sext(v41), sext(v4) src0_sel:BYTE_0 src1_sel:BYTE_0
	v_cndmask_b32_e64 v4, v4, v40, s[42:43]
	v_lshrrev_b32_e32 v40, 16, v4
	v_perm_b32 v42, v3, v3, s93
	v_perm_b32 v41, 0, v40, s90
	v_cndmask_b32_e64 v3, v3, v42, s[40:41]
	;; [unrolled: 40-line block ×3, first 2 shown]
	v_lshrrev_b32_e32 v42, 24, v4
	v_lshlrev_b32_e32 v41, 16, v41
	v_and_or_b32 v41, v4, s91, v41
	v_cmp_lt_i16_sdwa s[58:59], sext(v42), sext(v40) src0_sel:BYTE_0 src1_sel:BYTE_0
	v_cndmask_b32_e64 v4, v4, v41, s[58:59]
	v_lshrrev_b32_e32 v41, 8, v3
	v_perm_b32 v40, v3, v3, s89
	v_cmp_lt_i16_sdwa s[60:61], sext(v41), sext(v3) src0_sel:BYTE_0 src1_sel:BYTE_0
	v_cndmask_b32_e64 v3, v3, v40, s[60:61]
	v_lshrrev_b32_e32 v40, 24, v3
	v_lshrrev_b32_e32 v41, 16, v3
	v_perm_b32 v42, v3, v3, s92
	v_cmp_lt_i16_sdwa s[62:63], sext(v40), sext(v41) src0_sel:BYTE_0 src1_sel:BYTE_0
	v_cndmask_b32_e64 v40, v3, v42, s[62:63]
	v_lshrrev_b32_e32 v3, 16, v4
	v_lshrrev_b32_e32 v41, 8, v4
	v_perm_b32 v42, v4, v4, s93
	v_cmp_lt_i16_sdwa s[64:65], sext(v3), sext(v41) src0_sel:BYTE_0 src1_sel:BYTE_0
	v_cndmask_b32_e64 v3, v4, v42, s[64:65]
	v_and_b32_sdwa v41, v3, s88 dst_sel:DWORD dst_unused:UNUSED_PAD src0_sel:WORD_1 src1_sel:DWORD
	v_lshlrev_b16_e32 v42, 8, v40
	v_or_b32_sdwa v41, v41, v42 dst_sel:WORD_1 dst_unused:UNUSED_PAD src0_sel:DWORD src1_sel:DWORD
	v_lshrrev_b32_e32 v42, 24, v3
	v_perm_b32 v4, v3, v40, s94
	v_cmp_lt_i16_sdwa s[66:67], sext(v40), sext(v42) src0_sel:BYTE_0 src1_sel:BYTE_0
	v_and_or_b32 v41, v3, s91, v41
	v_cndmask_b32_e64 v4, v40, v4, s[66:67]
	v_cndmask_b32_e64 v3, v3, v41, s[66:67]
	v_lshrrev_b32_e32 v40, 16, v4
	v_lshrrev_b32_e32 v41, 8, v4
	v_perm_b32 v42, v4, v4, s93
	v_cmp_lt_i16_sdwa s[68:69], sext(v40), sext(v41) src0_sel:BYTE_0 src1_sel:BYTE_0
	v_readlane_b32 s0, v76, 5
	v_cndmask_b32_e64 v4, v4, v42, s[68:69]
	v_mov_b32_e32 v45, v27
	v_readlane_b32 s1, v76, 6
	; wave barrier
	ds_write_b64 v5, v[3:4]
	s_waitcnt lgkmcnt(0)
	; wave barrier
	s_and_saveexec_b64 s[70:71], s[0:1]
	s_cbranch_execz .LBB49_6
; %bb.3:                                ;   in Loop: Header=BB49_2 Depth=1
	s_mov_b64 s[72:73], 0
	v_mov_b32_e32 v45, v27
	v_mov_b32_e32 v3, v24
.LBB49_4:                               ;   Parent Loop BB49_2 Depth=1
                                        ; =>  This Inner Loop Header: Depth=2
	v_sub_u32_e32 v4, v3, v45
	v_lshrrev_b32_e32 v4, 1, v4
	v_add_u32_e32 v4, v4, v45
	v_add_u32_e32 v40, v6, v4
	v_xad_u32 v41, v4, -1, v21
	ds_read_i8 v40, v40
	ds_read_i8 v41, v41
	v_add_u32_e32 v42, 1, v4
	s_waitcnt lgkmcnt(0)
	v_cmp_lt_i16_e32 vcc, v41, v40
	v_cndmask_b32_e32 v3, v3, v4, vcc
	v_cndmask_b32_e32 v45, v42, v45, vcc
	v_cmp_ge_i32_e32 vcc, v45, v3
	s_or_b64 s[72:73], vcc, s[72:73]
	s_andn2_b64 exec, exec, s[72:73]
	s_cbranch_execnz .LBB49_4
; %bb.5:                                ;   in Loop: Header=BB49_2 Depth=1
	s_or_b64 exec, exec, s[72:73]
.LBB49_6:                               ;   in Loop: Header=BB49_2 Depth=1
	s_or_b64 exec, exec, s[70:71]
	v_add_u32_e32 v44, v45, v6
	v_sub_u32_e32 v45, v21, v45
	ds_read_u8 v46, v44
	ds_read_u8 v47, v45
	v_cmp_le_i32_e64 s[70:71], v11, v44
	v_cmp_gt_i32_e32 vcc, v12, v45
	v_lshrrev_b64 v[3:4], 24, v[1:2]
	s_waitcnt lgkmcnt(1)
	v_bfe_i32 v46, v46, 0, 8
	s_waitcnt lgkmcnt(0)
	v_bfe_i32 v47, v47, 0, 8
	v_cmp_lt_i16_e64 s[72:73], v47, v46
	s_or_b64 s[70:71], s[70:71], s[72:73]
	s_and_b64 s[70:71], vcc, s[70:71]
	v_lshrrev_b32_e32 v40, 8, v2
	v_lshrrev_b32_e32 v41, 16, v2
	;; [unrolled: 1-line block ×5, first 2 shown]
	s_xor_b64 s[72:73], s[70:71], -1
                                        ; implicit-def: $vgpr48
	s_and_saveexec_b64 s[74:75], s[72:73]
	s_xor_b64 s[72:73], exec, s[74:75]
; %bb.7:                                ;   in Loop: Header=BB49_2 Depth=1
	ds_read_u8 v48, v44 offset:1
; %bb.8:                                ;   in Loop: Header=BB49_2 Depth=1
	s_or_saveexec_b64 s[72:73], s[72:73]
	v_mov_b32_e32 v49, v47
	s_xor_b64 exec, exec, s[72:73]
	s_cbranch_execz .LBB49_10
; %bb.9:                                ;   in Loop: Header=BB49_2 Depth=1
	ds_read_u8 v49, v45 offset:1
	s_waitcnt lgkmcnt(1)
	v_mov_b32_e32 v48, v46
.LBB49_10:                              ;   in Loop: Header=BB49_2 Depth=1
	s_or_b64 exec, exec, s[72:73]
	v_add_u32_e32 v51, 1, v44
	v_add_u32_e32 v50, 1, v45
	v_cndmask_b32_e64 v51, v51, v44, s[70:71]
	v_cndmask_b32_e64 v50, v45, v50, s[70:71]
	v_cmp_ge_i32_e64 s[72:73], v51, v11
	s_waitcnt lgkmcnt(0)
	v_cmp_lt_i16_sdwa s[74:75], sext(v49), sext(v48) src0_sel:BYTE_0 src1_sel:BYTE_0
	v_cmp_lt_i32_e32 vcc, v50, v12
	s_or_b64 s[72:73], s[72:73], s[74:75]
	s_and_b64 s[72:73], vcc, s[72:73]
	s_xor_b64 s[74:75], s[72:73], -1
                                        ; implicit-def: $vgpr52
	s_and_saveexec_b64 s[76:77], s[74:75]
	s_xor_b64 s[74:75], exec, s[76:77]
; %bb.11:                               ;   in Loop: Header=BB49_2 Depth=1
	ds_read_u8 v52, v51 offset:1
; %bb.12:                               ;   in Loop: Header=BB49_2 Depth=1
	s_or_saveexec_b64 s[74:75], s[74:75]
	v_mov_b32_e32 v53, v49
	s_xor_b64 exec, exec, s[74:75]
	s_cbranch_execz .LBB49_14
; %bb.13:                               ;   in Loop: Header=BB49_2 Depth=1
	ds_read_u8 v53, v50 offset:1
	s_waitcnt lgkmcnt(1)
	v_mov_b32_e32 v52, v48
.LBB49_14:                              ;   in Loop: Header=BB49_2 Depth=1
	s_or_b64 exec, exec, s[74:75]
	v_add_u32_e32 v55, 1, v51
	v_add_u32_e32 v54, 1, v50
	v_cndmask_b32_e64 v55, v55, v51, s[72:73]
	v_cndmask_b32_e64 v54, v50, v54, s[72:73]
	v_cmp_ge_i32_e64 s[74:75], v55, v11
	s_waitcnt lgkmcnt(0)
	v_cmp_lt_i16_sdwa s[76:77], sext(v53), sext(v52) src0_sel:BYTE_0 src1_sel:BYTE_0
	v_cmp_lt_i32_e32 vcc, v54, v12
	s_or_b64 s[74:75], s[74:75], s[76:77]
	s_and_b64 s[74:75], vcc, s[74:75]
	s_xor_b64 s[76:77], s[74:75], -1
                                        ; implicit-def: $vgpr56
	s_and_saveexec_b64 s[78:79], s[76:77]
	s_xor_b64 s[76:77], exec, s[78:79]
; %bb.15:                               ;   in Loop: Header=BB49_2 Depth=1
	ds_read_u8 v56, v55 offset:1
; %bb.16:                               ;   in Loop: Header=BB49_2 Depth=1
	s_or_saveexec_b64 s[76:77], s[76:77]
	v_mov_b32_e32 v57, v53
	s_xor_b64 exec, exec, s[76:77]
	s_cbranch_execz .LBB49_18
; %bb.17:                               ;   in Loop: Header=BB49_2 Depth=1
	ds_read_u8 v57, v54 offset:1
	s_waitcnt lgkmcnt(1)
	v_mov_b32_e32 v56, v52
.LBB49_18:                              ;   in Loop: Header=BB49_2 Depth=1
	s_or_b64 exec, exec, s[76:77]
	v_add_u32_e32 v59, 1, v55
	v_add_u32_e32 v58, 1, v54
	v_cndmask_b32_e64 v59, v59, v55, s[74:75]
	v_cndmask_b32_e64 v58, v54, v58, s[74:75]
	v_cmp_ge_i32_e64 s[76:77], v59, v11
	s_waitcnt lgkmcnt(0)
	v_cmp_lt_i16_sdwa s[78:79], sext(v57), sext(v56) src0_sel:BYTE_0 src1_sel:BYTE_0
	v_cmp_lt_i32_e32 vcc, v58, v12
	s_or_b64 s[76:77], s[76:77], s[78:79]
	s_and_b64 s[76:77], vcc, s[76:77]
	s_xor_b64 s[78:79], s[76:77], -1
                                        ; implicit-def: $vgpr60
	s_and_saveexec_b64 s[80:81], s[78:79]
	s_xor_b64 s[78:79], exec, s[80:81]
; %bb.19:                               ;   in Loop: Header=BB49_2 Depth=1
	ds_read_u8 v60, v59 offset:1
; %bb.20:                               ;   in Loop: Header=BB49_2 Depth=1
	s_or_saveexec_b64 s[78:79], s[78:79]
	v_mov_b32_e32 v62, v57
	s_xor_b64 exec, exec, s[78:79]
	s_cbranch_execz .LBB49_22
; %bb.21:                               ;   in Loop: Header=BB49_2 Depth=1
	ds_read_u8 v62, v58 offset:1
	s_waitcnt lgkmcnt(1)
	v_mov_b32_e32 v60, v56
.LBB49_22:                              ;   in Loop: Header=BB49_2 Depth=1
	s_or_b64 exec, exec, s[78:79]
	v_add_u32_e32 v63, 1, v59
	v_add_u32_e32 v61, 1, v58
	v_cndmask_b32_e64 v65, v63, v59, s[76:77]
	v_cndmask_b32_e64 v64, v58, v61, s[76:77]
	v_cmp_ge_i32_e64 s[78:79], v65, v11
	s_waitcnt lgkmcnt(0)
	v_cmp_lt_i16_sdwa s[80:81], sext(v62), sext(v60) src0_sel:BYTE_0 src1_sel:BYTE_0
	v_cmp_lt_i32_e32 vcc, v64, v12
	s_or_b64 s[78:79], s[78:79], s[80:81]
	s_and_b64 s[78:79], vcc, s[78:79]
	s_xor_b64 s[80:81], s[78:79], -1
                                        ; implicit-def: $vgpr66
	s_and_saveexec_b64 s[82:83], s[80:81]
	s_xor_b64 s[80:81], exec, s[82:83]
; %bb.23:                               ;   in Loop: Header=BB49_2 Depth=1
	ds_read_u8 v66, v65 offset:1
; %bb.24:                               ;   in Loop: Header=BB49_2 Depth=1
	s_or_saveexec_b64 s[80:81], s[80:81]
	v_mov_b32_e32 v67, v62
	s_xor_b64 exec, exec, s[80:81]
	s_cbranch_execz .LBB49_26
; %bb.25:                               ;   in Loop: Header=BB49_2 Depth=1
	ds_read_u8 v67, v64 offset:1
	s_waitcnt lgkmcnt(1)
	v_mov_b32_e32 v66, v60
.LBB49_26:                              ;   in Loop: Header=BB49_2 Depth=1
	s_or_b64 exec, exec, s[80:81]
	v_add_u32_e32 v63, 1, v65
	v_add_u32_e32 v61, 1, v64
	v_cndmask_b32_e64 v69, v63, v65, s[78:79]
	v_cndmask_b32_e64 v68, v64, v61, s[78:79]
	v_cmp_ge_i32_e64 s[80:81], v69, v11
	s_waitcnt lgkmcnt(0)
	v_cmp_lt_i16_sdwa s[82:83], sext(v67), sext(v66) src0_sel:BYTE_0 src1_sel:BYTE_0
	v_cmp_lt_i32_e32 vcc, v68, v12
	s_or_b64 s[80:81], s[80:81], s[82:83]
	s_and_b64 vcc, vcc, s[80:81]
	s_xor_b64 s[80:81], vcc, -1
                                        ; implicit-def: $vgpr70
	s_and_saveexec_b64 s[82:83], s[80:81]
	s_xor_b64 s[80:81], exec, s[82:83]
; %bb.27:                               ;   in Loop: Header=BB49_2 Depth=1
	ds_read_u8 v70, v69 offset:1
; %bb.28:                               ;   in Loop: Header=BB49_2 Depth=1
	s_or_saveexec_b64 s[80:81], s[80:81]
	v_mov_b32_e32 v71, v67
	s_xor_b64 exec, exec, s[80:81]
	s_cbranch_execz .LBB49_30
; %bb.29:                               ;   in Loop: Header=BB49_2 Depth=1
	ds_read_u8 v71, v68 offset:1
	s_waitcnt lgkmcnt(1)
	v_mov_b32_e32 v70, v66
.LBB49_30:                              ;   in Loop: Header=BB49_2 Depth=1
	s_or_b64 exec, exec, s[80:81]
	v_add_u32_e32 v63, 1, v69
	v_add_u32_e32 v61, 1, v68
	v_cndmask_b32_e32 v73, v63, v69, vcc
	v_cndmask_b32_e32 v72, v68, v61, vcc
	v_cmp_ge_i32_e64 s[82:83], v73, v11
	s_waitcnt lgkmcnt(0)
	v_cmp_lt_i16_sdwa s[86:87], sext(v71), sext(v70) src0_sel:BYTE_0 src1_sel:BYTE_0
	v_cmp_lt_i32_e64 s[80:81], v72, v12
	s_or_b64 s[82:83], s[82:83], s[86:87]
	s_and_b64 s[80:81], s[80:81], s[82:83]
	s_xor_b64 s[82:83], s[80:81], -1
                                        ; implicit-def: $vgpr61
	s_and_saveexec_b64 s[86:87], s[82:83]
	s_xor_b64 s[82:83], exec, s[86:87]
; %bb.31:                               ;   in Loop: Header=BB49_2 Depth=1
	ds_read_u8 v61, v73 offset:1
; %bb.32:                               ;   in Loop: Header=BB49_2 Depth=1
	s_or_saveexec_b64 s[82:83], s[82:83]
	v_mov_b32_e32 v63, v71
	s_xor_b64 exec, exec, s[82:83]
	s_cbranch_execz .LBB49_34
; %bb.33:                               ;   in Loop: Header=BB49_2 Depth=1
	ds_read_u8 v63, v72 offset:1
	s_waitcnt lgkmcnt(1)
	v_mov_b32_e32 v61, v70
.LBB49_34:                              ;   in Loop: Header=BB49_2 Depth=1
	s_or_b64 exec, exec, s[82:83]
	v_perm_b32 v2, v2, v40, s84
	v_perm_b32 v40, v41, v43, s84
	v_lshl_or_b32 v2, v40, 16, v2
	v_perm_b32 v40, v4, v1, s84
	v_perm_b32 v1, v1, v4, s84
	;; [unrolled: 1-line block ×3, first 2 shown]
	v_cndmask_b32_e64 v1, v1, v40, s[12:13]
	v_lshl_or_b32 v1, v3, 16, v1
	v_perm_b32 v3, 0, v3, s90
	v_lshlrev_b32_e32 v3, 16, v3
	v_and_or_b32 v3, v1, s91, v3
	v_cndmask_b32_e64 v1, v1, v3, s[14:15]
	v_perm_b32 v3, v2, v2, s89
	v_cndmask_b32_e64 v2, v2, v3, s[16:17]
	v_perm_b32 v3, v2, v2, s92
	v_cndmask_b32_e64 v2, v2, v3, s[18:19]
	v_perm_b32 v3, v1, v1, s93
	v_cndmask_b32_e64 v1, v1, v3, s[20:21]
	v_and_b32_sdwa v4, v1, s88 dst_sel:DWORD dst_unused:UNUSED_PAD src0_sel:WORD_1 src1_sel:DWORD
	v_lshlrev_b16_e32 v40, 8, v2
	v_or_b32_sdwa v4, v4, v40 dst_sel:WORD_1 dst_unused:UNUSED_PAD src0_sel:DWORD src1_sel:DWORD
	v_and_or_b32 v4, v1, s91, v4
	v_perm_b32 v3, v1, v2, s94
	v_cndmask_b32_e64 v1, v1, v4, s[22:23]
	v_perm_b32 v4, 0, v1, s90
	v_cndmask_b32_e64 v2, v2, v3, s[22:23]
	v_and_or_b32 v4, v1, s95, v4
	v_perm_b32 v3, v2, v2, s93
	v_cndmask_b32_e64 v1, v1, v4, s[26:27]
	v_cndmask_b32_e64 v2, v2, v3, s[24:25]
	v_lshrrev_b32_e32 v3, 16, v1
	v_perm_b32 v3, 0, v3, s90
	v_lshlrev_b32_e32 v3, 16, v3
	v_and_or_b32 v3, v1, s91, v3
	v_cndmask_b32_e64 v1, v1, v3, s[28:29]
	v_perm_b32 v3, v2, v2, s89
	v_cndmask_b32_e64 v2, v2, v3, s[30:31]
	v_perm_b32 v3, v2, v2, s92
	v_cndmask_b32_e64 v2, v2, v3, s[34:35]
	v_perm_b32 v3, v1, v1, s93
	v_cndmask_b32_e64 v1, v1, v3, s[36:37]
	v_and_b32_sdwa v4, v1, s88 dst_sel:DWORD dst_unused:UNUSED_PAD src0_sel:WORD_1 src1_sel:DWORD
	v_lshlrev_b16_e32 v40, 8, v2
	v_or_b32_sdwa v4, v4, v40 dst_sel:WORD_1 dst_unused:UNUSED_PAD src0_sel:DWORD src1_sel:DWORD
	v_and_or_b32 v4, v1, s91, v4
	v_perm_b32 v3, v1, v2, s94
	v_cndmask_b32_e64 v1, v1, v4, s[38:39]
	v_perm_b32 v4, 0, v1, s90
	v_cndmask_b32_e64 v2, v2, v3, s[38:39]
	v_and_or_b32 v4, v1, s95, v4
	v_perm_b32 v3, v2, v2, s93
	v_cndmask_b32_e64 v1, v1, v4, s[42:43]
	v_cndmask_b32_e64 v2, v2, v3, s[40:41]
	v_lshrrev_b32_e32 v3, 16, v1
	;; [unrolled: 23-line block ×3, first 2 shown]
	v_perm_b32 v3, 0, v3, s90
	v_lshlrev_b32_e32 v3, 16, v3
	v_and_or_b32 v3, v1, s91, v3
	v_cndmask_b32_e64 v1, v1, v3, s[58:59]
	v_perm_b32 v3, v2, v2, s89
	v_cndmask_b32_e64 v2, v2, v3, s[60:61]
	v_perm_b32 v3, v2, v2, s92
	v_add_u32_e32 v74, 1, v73
	v_cndmask_b32_e64 v2, v2, v3, s[62:63]
	v_perm_b32 v3, v1, v1, s93
	v_cndmask_b32_e64 v70, v70, v71, s[80:81]
	v_add_u32_e32 v71, 1, v72
	v_cndmask_b32_e64 v74, v74, v73, s[80:81]
	v_cndmask_b32_e64 v1, v1, v3, s[64:65]
	;; [unrolled: 1-line block ×3, first 2 shown]
	v_perm_b32 v3, v1, v2, s94
	v_and_b32_sdwa v4, v1, s88 dst_sel:DWORD dst_unused:UNUSED_PAD src0_sel:WORD_1 src1_sel:DWORD
	v_lshlrev_b16_e32 v40, 8, v2
	v_cmp_ge_i32_e64 s[12:13], v74, v11
	s_waitcnt lgkmcnt(0)
	v_cmp_lt_i16_sdwa s[0:1], sext(v63), sext(v61) src0_sel:BYTE_0 src1_sel:BYTE_0
	v_cndmask_b32_sdwa v66, v66, v67, vcc dst_sel:BYTE_1 dst_unused:UNUSED_PAD src0_sel:DWORD src1_sel:DWORD
	v_cndmask_b32_e32 v67, v69, v68, vcc
	v_or_b32_sdwa v4, v4, v40 dst_sel:WORD_1 dst_unused:UNUSED_PAD src0_sel:DWORD src1_sel:DWORD
	v_cndmask_b32_e64 v2, v2, v3, s[66:67]
	v_cmp_lt_i32_e32 vcc, v71, v12
	s_or_b64 s[0:1], s[12:13], s[0:1]
	v_and_or_b32 v4, v1, s91, v4
	v_perm_b32 v3, v2, v2, s93
	s_and_b64 vcc, vcc, s[0:1]
	v_cndmask_b32_e64 v44, v44, v45, s[70:71]
	v_cndmask_b32_e64 v1, v1, v4, s[66:67]
	;; [unrolled: 1-line block ×3, first 2 shown]
	v_cndmask_b32_e32 v3, v74, v71, vcc
	v_cndmask_b32_e64 v72, v73, v72, s[80:81]
	v_cndmask_b32_e64 v60, v60, v62, s[78:79]
	;; [unrolled: 1-line block ×9, first 2 shown]
	; wave barrier
	ds_write_b64 v5, v[1:2]
	s_waitcnt lgkmcnt(0)
	; wave barrier
	ds_read_u8 v1, v44
	ds_read_u8 v40, v3
	;; [unrolled: 1-line block ×8, first 2 shown]
	v_cndmask_b32_e64 v46, v46, v47, s[70:71]
	v_lshlrev_b16_e32 v44, 8, v48
	v_cndmask_b32_e32 v45, v61, v63, vcc
	v_or_b32_sdwa v44, v46, v44 dst_sel:DWORD dst_unused:UNUSED_PAD src0_sel:BYTE_0 src1_sel:DWORD
	v_lshlrev_b16_e32 v46, 8, v56
	v_or_b32_sdwa v46, v52, v46 dst_sel:WORD_1 dst_unused:UNUSED_PAD src0_sel:BYTE_0 src1_sel:DWORD
	v_lshlrev_b16_e32 v45, 8, v45
	v_or_b32_sdwa v44, v44, v46 dst_sel:DWORD dst_unused:UNUSED_PAD src0_sel:WORD_0 src1_sel:DWORD
	v_or_b32_sdwa v46, v60, v66 dst_sel:DWORD dst_unused:UNUSED_PAD src0_sel:BYTE_0 src1_sel:DWORD
	v_or_b32_sdwa v45, v70, v45 dst_sel:WORD_1 dst_unused:UNUSED_PAD src0_sel:BYTE_0 src1_sel:DWORD
	v_or_b32_sdwa v45, v46, v45 dst_sel:DWORD dst_unused:UNUSED_PAD src0_sel:WORD_0 src1_sel:DWORD
	s_waitcnt lgkmcnt(0)
	; wave barrier
	ds_write_b64 v5, v[44:45]
	v_mov_b32_e32 v45, v28
	s_waitcnt lgkmcnt(0)
	; wave barrier
	s_and_saveexec_b64 s[12:13], s[2:3]
	s_cbranch_execz .LBB49_38
; %bb.35:                               ;   in Loop: Header=BB49_2 Depth=1
	s_mov_b64 s[14:15], 0
	v_mov_b32_e32 v45, v28
	v_mov_b32_e32 v44, v25
.LBB49_36:                              ;   Parent Loop BB49_2 Depth=1
                                        ; =>  This Inner Loop Header: Depth=2
	v_sub_u32_e32 v46, v44, v45
	v_lshrrev_b32_e32 v46, 1, v46
	v_add_u32_e32 v46, v46, v45
	v_add_u32_e32 v47, v7, v46
	v_xad_u32 v48, v46, -1, v22
	ds_read_i8 v47, v47
	ds_read_i8 v48, v48
	v_add_u32_e32 v49, 1, v46
	s_waitcnt lgkmcnt(0)
	v_cmp_lt_i16_e32 vcc, v48, v47
	v_cndmask_b32_e32 v44, v44, v46, vcc
	v_cndmask_b32_e32 v45, v49, v45, vcc
	v_cmp_ge_i32_e32 vcc, v45, v44
	s_or_b64 s[14:15], vcc, s[14:15]
	s_andn2_b64 exec, exec, s[14:15]
	s_cbranch_execnz .LBB49_36
; %bb.37:                               ;   in Loop: Header=BB49_2 Depth=1
	s_or_b64 exec, exec, s[14:15]
.LBB49_38:                              ;   in Loop: Header=BB49_2 Depth=1
	s_or_b64 exec, exec, s[12:13]
	v_add_u32_e32 v44, v45, v7
	v_sub_u32_e32 v45, v22, v45
	ds_read_u8 v46, v44
	ds_read_u8 v47, v45
	v_cmp_le_i32_e64 s[12:13], v13, v44
	v_cmp_gt_i32_e32 vcc, v14, v45
                                        ; implicit-def: $vgpr48
	s_waitcnt lgkmcnt(1)
	v_bfe_i32 v46, v46, 0, 8
	s_waitcnt lgkmcnt(0)
	v_bfe_i32 v47, v47, 0, 8
	v_cmp_lt_i16_e64 s[14:15], v47, v46
	s_or_b64 s[0:1], s[12:13], s[14:15]
	s_and_b64 s[12:13], vcc, s[0:1]
	s_xor_b64 s[0:1], s[12:13], -1
	s_and_saveexec_b64 s[14:15], s[0:1]
	s_xor_b64 s[14:15], exec, s[14:15]
; %bb.39:                               ;   in Loop: Header=BB49_2 Depth=1
	ds_read_u8 v48, v44 offset:1
; %bb.40:                               ;   in Loop: Header=BB49_2 Depth=1
	s_or_saveexec_b64 s[14:15], s[14:15]
	v_mov_b32_e32 v49, v47
	s_xor_b64 exec, exec, s[14:15]
	s_cbranch_execz .LBB49_42
; %bb.41:                               ;   in Loop: Header=BB49_2 Depth=1
	ds_read_u8 v49, v45 offset:1
	s_waitcnt lgkmcnt(1)
	v_mov_b32_e32 v48, v46
.LBB49_42:                              ;   in Loop: Header=BB49_2 Depth=1
	s_or_b64 exec, exec, s[14:15]
	v_add_u32_e32 v51, 1, v44
	v_add_u32_e32 v50, 1, v45
	v_cndmask_b32_e64 v51, v51, v44, s[12:13]
	v_cndmask_b32_e64 v50, v45, v50, s[12:13]
	v_cmp_ge_i32_e64 s[14:15], v51, v13
	s_waitcnt lgkmcnt(0)
	v_cmp_lt_i16_sdwa s[0:1], sext(v49), sext(v48) src0_sel:BYTE_0 src1_sel:BYTE_0
	v_cmp_lt_i32_e32 vcc, v50, v14
	s_or_b64 s[0:1], s[14:15], s[0:1]
	s_and_b64 s[14:15], vcc, s[0:1]
	s_xor_b64 s[0:1], s[14:15], -1
                                        ; implicit-def: $vgpr52
	s_and_saveexec_b64 s[16:17], s[0:1]
	s_xor_b64 s[16:17], exec, s[16:17]
; %bb.43:                               ;   in Loop: Header=BB49_2 Depth=1
	ds_read_u8 v52, v51 offset:1
; %bb.44:                               ;   in Loop: Header=BB49_2 Depth=1
	s_or_saveexec_b64 s[16:17], s[16:17]
	v_mov_b32_e32 v53, v49
	s_xor_b64 exec, exec, s[16:17]
	s_cbranch_execz .LBB49_46
; %bb.45:                               ;   in Loop: Header=BB49_2 Depth=1
	ds_read_u8 v53, v50 offset:1
	s_waitcnt lgkmcnt(1)
	v_mov_b32_e32 v52, v48
.LBB49_46:                              ;   in Loop: Header=BB49_2 Depth=1
	s_or_b64 exec, exec, s[16:17]
	v_add_u32_e32 v55, 1, v51
	v_add_u32_e32 v54, 1, v50
	v_cndmask_b32_e64 v55, v55, v51, s[14:15]
	v_cndmask_b32_e64 v54, v50, v54, s[14:15]
	v_cmp_ge_i32_e64 s[16:17], v55, v13
	s_waitcnt lgkmcnt(0)
	v_cmp_lt_i16_sdwa s[0:1], sext(v53), sext(v52) src0_sel:BYTE_0 src1_sel:BYTE_0
	v_cmp_lt_i32_e32 vcc, v54, v14
	s_or_b64 s[0:1], s[16:17], s[0:1]
	s_and_b64 s[16:17], vcc, s[0:1]
	s_xor_b64 s[0:1], s[16:17], -1
                                        ; implicit-def: $vgpr56
	s_and_saveexec_b64 s[18:19], s[0:1]
	s_xor_b64 s[18:19], exec, s[18:19]
; %bb.47:                               ;   in Loop: Header=BB49_2 Depth=1
	ds_read_u8 v56, v55 offset:1
; %bb.48:                               ;   in Loop: Header=BB49_2 Depth=1
	s_or_saveexec_b64 s[18:19], s[18:19]
	v_mov_b32_e32 v57, v53
	s_xor_b64 exec, exec, s[18:19]
	s_cbranch_execz .LBB49_50
; %bb.49:                               ;   in Loop: Header=BB49_2 Depth=1
	ds_read_u8 v57, v54 offset:1
	s_waitcnt lgkmcnt(1)
	v_mov_b32_e32 v56, v52
.LBB49_50:                              ;   in Loop: Header=BB49_2 Depth=1
	s_or_b64 exec, exec, s[18:19]
	v_add_u32_e32 v59, 1, v55
	v_add_u32_e32 v58, 1, v54
	v_cndmask_b32_e64 v59, v59, v55, s[16:17]
	v_cndmask_b32_e64 v58, v54, v58, s[16:17]
	v_cmp_ge_i32_e64 s[18:19], v59, v13
	s_waitcnt lgkmcnt(0)
	v_cmp_lt_i16_sdwa s[0:1], sext(v57), sext(v56) src0_sel:BYTE_0 src1_sel:BYTE_0
	v_cmp_lt_i32_e32 vcc, v58, v14
	s_or_b64 s[0:1], s[18:19], s[0:1]
	s_and_b64 s[18:19], vcc, s[0:1]
	s_xor_b64 s[0:1], s[18:19], -1
                                        ; implicit-def: $vgpr60
	s_and_saveexec_b64 s[20:21], s[0:1]
	s_xor_b64 s[20:21], exec, s[20:21]
; %bb.51:                               ;   in Loop: Header=BB49_2 Depth=1
	ds_read_u8 v60, v59 offset:1
; %bb.52:                               ;   in Loop: Header=BB49_2 Depth=1
	s_or_saveexec_b64 s[20:21], s[20:21]
	v_mov_b32_e32 v61, v57
	s_xor_b64 exec, exec, s[20:21]
	s_cbranch_execz .LBB49_54
; %bb.53:                               ;   in Loop: Header=BB49_2 Depth=1
	ds_read_u8 v61, v58 offset:1
	s_waitcnt lgkmcnt(1)
	v_mov_b32_e32 v60, v56
.LBB49_54:                              ;   in Loop: Header=BB49_2 Depth=1
	s_or_b64 exec, exec, s[20:21]
	v_add_u32_e32 v63, 1, v59
	v_add_u32_e32 v62, 1, v58
	v_cndmask_b32_e64 v63, v63, v59, s[18:19]
	v_cndmask_b32_e64 v62, v58, v62, s[18:19]
	v_cmp_ge_i32_e64 s[20:21], v63, v13
	s_waitcnt lgkmcnt(0)
	v_cmp_lt_i16_sdwa s[0:1], sext(v61), sext(v60) src0_sel:BYTE_0 src1_sel:BYTE_0
	v_cmp_lt_i32_e32 vcc, v62, v14
	s_or_b64 s[0:1], s[20:21], s[0:1]
	s_and_b64 s[20:21], vcc, s[0:1]
	s_xor_b64 s[0:1], s[20:21], -1
                                        ; implicit-def: $vgpr64
	s_and_saveexec_b64 s[22:23], s[0:1]
	s_xor_b64 s[22:23], exec, s[22:23]
; %bb.55:                               ;   in Loop: Header=BB49_2 Depth=1
	ds_read_u8 v64, v63 offset:1
; %bb.56:                               ;   in Loop: Header=BB49_2 Depth=1
	s_or_saveexec_b64 s[22:23], s[22:23]
	v_mov_b32_e32 v65, v61
	s_xor_b64 exec, exec, s[22:23]
	s_cbranch_execz .LBB49_58
; %bb.57:                               ;   in Loop: Header=BB49_2 Depth=1
	ds_read_u8 v65, v62 offset:1
	s_waitcnt lgkmcnt(1)
	v_mov_b32_e32 v64, v60
.LBB49_58:                              ;   in Loop: Header=BB49_2 Depth=1
	s_or_b64 exec, exec, s[22:23]
	v_add_u32_e32 v67, 1, v63
	v_add_u32_e32 v66, 1, v62
	v_cndmask_b32_e64 v67, v67, v63, s[20:21]
	v_cndmask_b32_e64 v66, v62, v66, s[20:21]
	v_cmp_ge_i32_e64 s[22:23], v67, v13
	s_waitcnt lgkmcnt(0)
	v_cmp_lt_i16_sdwa s[0:1], sext(v65), sext(v64) src0_sel:BYTE_0 src1_sel:BYTE_0
	v_cmp_lt_i32_e32 vcc, v66, v14
	s_or_b64 s[0:1], s[22:23], s[0:1]
	s_and_b64 vcc, vcc, s[0:1]
	s_xor_b64 s[0:1], vcc, -1
                                        ; implicit-def: $vgpr68
	s_and_saveexec_b64 s[22:23], s[0:1]
	s_xor_b64 s[22:23], exec, s[22:23]
; %bb.59:                               ;   in Loop: Header=BB49_2 Depth=1
	ds_read_u8 v68, v67 offset:1
; %bb.60:                               ;   in Loop: Header=BB49_2 Depth=1
	s_or_saveexec_b64 s[22:23], s[22:23]
	v_mov_b32_e32 v69, v65
	s_xor_b64 exec, exec, s[22:23]
	s_cbranch_execz .LBB49_62
; %bb.61:                               ;   in Loop: Header=BB49_2 Depth=1
	ds_read_u8 v69, v66 offset:1
	s_waitcnt lgkmcnt(1)
	v_mov_b32_e32 v68, v64
.LBB49_62:                              ;   in Loop: Header=BB49_2 Depth=1
	s_or_b64 exec, exec, s[22:23]
	v_add_u32_e32 v72, 1, v67
	v_add_u32_e32 v70, 1, v66
	v_cndmask_b32_e32 v72, v72, v67, vcc
	v_cndmask_b32_e32 v71, v66, v70, vcc
	v_cmp_ge_i32_e64 s[24:25], v72, v13
	s_waitcnt lgkmcnt(0)
	v_cmp_lt_i16_sdwa s[0:1], sext(v69), sext(v68) src0_sel:BYTE_0 src1_sel:BYTE_0
	v_cmp_lt_i32_e64 s[22:23], v71, v14
	s_or_b64 s[0:1], s[24:25], s[0:1]
	s_and_b64 s[22:23], s[22:23], s[0:1]
	s_xor_b64 s[0:1], s[22:23], -1
                                        ; implicit-def: $vgpr70
	s_and_saveexec_b64 s[24:25], s[0:1]
	s_xor_b64 s[24:25], exec, s[24:25]
; %bb.63:                               ;   in Loop: Header=BB49_2 Depth=1
	ds_read_u8 v70, v72 offset:1
; %bb.64:                               ;   in Loop: Header=BB49_2 Depth=1
	s_or_saveexec_b64 s[24:25], s[24:25]
	v_mov_b32_e32 v73, v69
	s_xor_b64 exec, exec, s[24:25]
	s_cbranch_execz .LBB49_66
; %bb.65:                               ;   in Loop: Header=BB49_2 Depth=1
	ds_read_u8 v73, v71 offset:1
	s_waitcnt lgkmcnt(1)
	v_mov_b32_e32 v70, v68
.LBB49_66:                              ;   in Loop: Header=BB49_2 Depth=1
	s_or_b64 exec, exec, s[24:25]
	v_add_u32_e32 v74, 1, v72
	v_cndmask_b32_e64 v68, v68, v69, s[22:23]
	v_add_u32_e32 v69, 1, v71
	v_cndmask_b32_e64 v74, v74, v72, s[22:23]
	v_cndmask_b32_e64 v69, v71, v69, s[22:23]
	;; [unrolled: 1-line block ×4, first 2 shown]
	v_cmp_ge_i32_e64 s[12:13], v74, v13
	s_waitcnt lgkmcnt(0)
	v_cmp_lt_i16_sdwa s[0:1], sext(v73), sext(v70) src0_sel:BYTE_0 src1_sel:BYTE_0
	v_cndmask_b32_sdwa v64, v64, v65, vcc dst_sel:BYTE_1 dst_unused:UNUSED_PAD src0_sel:DWORD src1_sel:DWORD
	v_cndmask_b32_e32 v65, v67, v66, vcc
	v_cmp_lt_i32_e32 vcc, v69, v14
	s_or_b64 s[0:1], s[12:13], s[0:1]
	v_perm_b32 v41, v41, v42, s84
	v_perm_b32 v40, v43, v40, s84
	;; [unrolled: 1-line block ×4, first 2 shown]
	s_and_b64 vcc, vcc, s[0:1]
	v_lshl_or_b32 v41, v40, 16, v41
	v_lshl_or_b32 v40, v2, 16, v1
	v_cndmask_b32_e64 v71, v72, v71, s[22:23]
	v_cndmask_b32_e64 v60, v60, v61, s[20:21]
	;; [unrolled: 1-line block ×9, first 2 shown]
	v_cndmask_b32_e32 v47, v74, v69, vcc
	; wave barrier
	ds_write_b64 v5, v[40:41]
	s_waitcnt lgkmcnt(0)
	; wave barrier
	ds_read_u8 v1, v44
	ds_read_u8 v40, v47
	;; [unrolled: 1-line block ×8, first 2 shown]
	v_lshlrev_b16_e32 v44, 8, v48
	v_cndmask_b32_e32 v45, v70, v73, vcc
	v_or_b32_sdwa v44, v46, v44 dst_sel:DWORD dst_unused:UNUSED_PAD src0_sel:BYTE_0 src1_sel:DWORD
	v_lshlrev_b16_e32 v46, 8, v56
	v_or_b32_sdwa v46, v52, v46 dst_sel:WORD_1 dst_unused:UNUSED_PAD src0_sel:BYTE_0 src1_sel:DWORD
	v_lshlrev_b16_e32 v45, 8, v45
	v_or_b32_sdwa v44, v44, v46 dst_sel:DWORD dst_unused:UNUSED_PAD src0_sel:WORD_0 src1_sel:DWORD
	v_or_b32_sdwa v46, v60, v64 dst_sel:DWORD dst_unused:UNUSED_PAD src0_sel:BYTE_0 src1_sel:DWORD
	v_or_b32_sdwa v45, v68, v45 dst_sel:WORD_1 dst_unused:UNUSED_PAD src0_sel:BYTE_0 src1_sel:DWORD
	v_or_b32_sdwa v45, v46, v45 dst_sel:DWORD dst_unused:UNUSED_PAD src0_sel:WORD_0 src1_sel:DWORD
	s_waitcnt lgkmcnt(0)
	; wave barrier
	ds_write_b64 v5, v[44:45]
	v_mov_b32_e32 v45, v29
	s_waitcnt lgkmcnt(0)
	; wave barrier
	s_and_saveexec_b64 s[12:13], s[4:5]
	s_cbranch_execz .LBB49_70
; %bb.67:                               ;   in Loop: Header=BB49_2 Depth=1
	s_mov_b64 s[14:15], 0
	v_mov_b32_e32 v45, v29
	v_mov_b32_e32 v44, v26
.LBB49_68:                              ;   Parent Loop BB49_2 Depth=1
                                        ; =>  This Inner Loop Header: Depth=2
	v_sub_u32_e32 v46, v44, v45
	v_lshrrev_b32_e32 v46, 1, v46
	v_add_u32_e32 v46, v46, v45
	v_add_u32_e32 v47, v8, v46
	v_xad_u32 v48, v46, -1, v23
	ds_read_i8 v47, v47
	ds_read_i8 v48, v48
	v_add_u32_e32 v49, 1, v46
	s_waitcnt lgkmcnt(0)
	v_cmp_lt_i16_e32 vcc, v48, v47
	v_cndmask_b32_e32 v44, v44, v46, vcc
	v_cndmask_b32_e32 v45, v49, v45, vcc
	v_cmp_ge_i32_e32 vcc, v45, v44
	s_or_b64 s[14:15], vcc, s[14:15]
	s_andn2_b64 exec, exec, s[14:15]
	s_cbranch_execnz .LBB49_68
; %bb.69:                               ;   in Loop: Header=BB49_2 Depth=1
	s_or_b64 exec, exec, s[14:15]
.LBB49_70:                              ;   in Loop: Header=BB49_2 Depth=1
	s_or_b64 exec, exec, s[12:13]
	v_add_u32_e32 v44, v45, v8
	v_sub_u32_e32 v45, v23, v45
	ds_read_u8 v46, v44
	ds_read_u8 v47, v45
	v_cmp_le_i32_e64 s[12:13], v15, v44
	v_cmp_gt_i32_e32 vcc, v16, v45
                                        ; implicit-def: $vgpr48
	s_waitcnt lgkmcnt(1)
	v_bfe_i32 v46, v46, 0, 8
	s_waitcnt lgkmcnt(0)
	v_bfe_i32 v47, v47, 0, 8
	v_cmp_lt_i16_e64 s[14:15], v47, v46
	s_or_b64 s[0:1], s[12:13], s[14:15]
	s_and_b64 s[12:13], vcc, s[0:1]
	s_xor_b64 s[0:1], s[12:13], -1
	s_and_saveexec_b64 s[14:15], s[0:1]
	s_xor_b64 s[14:15], exec, s[14:15]
; %bb.71:                               ;   in Loop: Header=BB49_2 Depth=1
	ds_read_u8 v48, v44 offset:1
; %bb.72:                               ;   in Loop: Header=BB49_2 Depth=1
	s_or_saveexec_b64 s[14:15], s[14:15]
	v_mov_b32_e32 v49, v47
	s_xor_b64 exec, exec, s[14:15]
	s_cbranch_execz .LBB49_74
; %bb.73:                               ;   in Loop: Header=BB49_2 Depth=1
	ds_read_u8 v49, v45 offset:1
	s_waitcnt lgkmcnt(1)
	v_mov_b32_e32 v48, v46
.LBB49_74:                              ;   in Loop: Header=BB49_2 Depth=1
	s_or_b64 exec, exec, s[14:15]
	v_add_u32_e32 v51, 1, v44
	v_add_u32_e32 v50, 1, v45
	v_cndmask_b32_e64 v51, v51, v44, s[12:13]
	v_cndmask_b32_e64 v50, v45, v50, s[12:13]
	v_cmp_ge_i32_e64 s[14:15], v51, v15
	s_waitcnt lgkmcnt(0)
	v_cmp_lt_i16_sdwa s[0:1], sext(v49), sext(v48) src0_sel:BYTE_0 src1_sel:BYTE_0
	v_cmp_lt_i32_e32 vcc, v50, v16
	s_or_b64 s[0:1], s[14:15], s[0:1]
	s_and_b64 s[14:15], vcc, s[0:1]
	s_xor_b64 s[0:1], s[14:15], -1
                                        ; implicit-def: $vgpr52
	s_and_saveexec_b64 s[16:17], s[0:1]
	s_xor_b64 s[16:17], exec, s[16:17]
; %bb.75:                               ;   in Loop: Header=BB49_2 Depth=1
	ds_read_u8 v52, v51 offset:1
; %bb.76:                               ;   in Loop: Header=BB49_2 Depth=1
	s_or_saveexec_b64 s[16:17], s[16:17]
	v_mov_b32_e32 v53, v49
	s_xor_b64 exec, exec, s[16:17]
	s_cbranch_execz .LBB49_78
; %bb.77:                               ;   in Loop: Header=BB49_2 Depth=1
	ds_read_u8 v53, v50 offset:1
	s_waitcnt lgkmcnt(1)
	v_mov_b32_e32 v52, v48
.LBB49_78:                              ;   in Loop: Header=BB49_2 Depth=1
	s_or_b64 exec, exec, s[16:17]
	v_add_u32_e32 v55, 1, v51
	v_add_u32_e32 v54, 1, v50
	v_cndmask_b32_e64 v55, v55, v51, s[14:15]
	v_cndmask_b32_e64 v54, v50, v54, s[14:15]
	v_cmp_ge_i32_e64 s[16:17], v55, v15
	s_waitcnt lgkmcnt(0)
	v_cmp_lt_i16_sdwa s[0:1], sext(v53), sext(v52) src0_sel:BYTE_0 src1_sel:BYTE_0
	v_cmp_lt_i32_e32 vcc, v54, v16
	s_or_b64 s[0:1], s[16:17], s[0:1]
	s_and_b64 s[16:17], vcc, s[0:1]
	s_xor_b64 s[0:1], s[16:17], -1
                                        ; implicit-def: $vgpr56
	s_and_saveexec_b64 s[18:19], s[0:1]
	s_xor_b64 s[18:19], exec, s[18:19]
; %bb.79:                               ;   in Loop: Header=BB49_2 Depth=1
	ds_read_u8 v56, v55 offset:1
; %bb.80:                               ;   in Loop: Header=BB49_2 Depth=1
	s_or_saveexec_b64 s[18:19], s[18:19]
	v_mov_b32_e32 v57, v53
	s_xor_b64 exec, exec, s[18:19]
	s_cbranch_execz .LBB49_82
; %bb.81:                               ;   in Loop: Header=BB49_2 Depth=1
	ds_read_u8 v57, v54 offset:1
	s_waitcnt lgkmcnt(1)
	v_mov_b32_e32 v56, v52
.LBB49_82:                              ;   in Loop: Header=BB49_2 Depth=1
	s_or_b64 exec, exec, s[18:19]
	v_add_u32_e32 v59, 1, v55
	v_add_u32_e32 v58, 1, v54
	v_cndmask_b32_e64 v59, v59, v55, s[16:17]
	v_cndmask_b32_e64 v58, v54, v58, s[16:17]
	v_cmp_ge_i32_e64 s[18:19], v59, v15
	s_waitcnt lgkmcnt(0)
	v_cmp_lt_i16_sdwa s[0:1], sext(v57), sext(v56) src0_sel:BYTE_0 src1_sel:BYTE_0
	v_cmp_lt_i32_e32 vcc, v58, v16
	s_or_b64 s[0:1], s[18:19], s[0:1]
	s_and_b64 s[18:19], vcc, s[0:1]
	s_xor_b64 s[0:1], s[18:19], -1
                                        ; implicit-def: $vgpr60
	s_and_saveexec_b64 s[20:21], s[0:1]
	s_xor_b64 s[20:21], exec, s[20:21]
; %bb.83:                               ;   in Loop: Header=BB49_2 Depth=1
	ds_read_u8 v60, v59 offset:1
; %bb.84:                               ;   in Loop: Header=BB49_2 Depth=1
	s_or_saveexec_b64 s[20:21], s[20:21]
	v_mov_b32_e32 v61, v57
	s_xor_b64 exec, exec, s[20:21]
	s_cbranch_execz .LBB49_86
; %bb.85:                               ;   in Loop: Header=BB49_2 Depth=1
	ds_read_u8 v61, v58 offset:1
	s_waitcnt lgkmcnt(1)
	v_mov_b32_e32 v60, v56
.LBB49_86:                              ;   in Loop: Header=BB49_2 Depth=1
	s_or_b64 exec, exec, s[20:21]
	v_add_u32_e32 v63, 1, v59
	v_add_u32_e32 v62, 1, v58
	v_cndmask_b32_e64 v63, v63, v59, s[18:19]
	v_cndmask_b32_e64 v62, v58, v62, s[18:19]
	v_cmp_ge_i32_e64 s[20:21], v63, v15
	s_waitcnt lgkmcnt(0)
	v_cmp_lt_i16_sdwa s[0:1], sext(v61), sext(v60) src0_sel:BYTE_0 src1_sel:BYTE_0
	v_cmp_lt_i32_e32 vcc, v62, v16
	s_or_b64 s[0:1], s[20:21], s[0:1]
	s_and_b64 s[20:21], vcc, s[0:1]
	s_xor_b64 s[0:1], s[20:21], -1
                                        ; implicit-def: $vgpr64
	s_and_saveexec_b64 s[22:23], s[0:1]
	s_xor_b64 s[22:23], exec, s[22:23]
; %bb.87:                               ;   in Loop: Header=BB49_2 Depth=1
	ds_read_u8 v64, v63 offset:1
; %bb.88:                               ;   in Loop: Header=BB49_2 Depth=1
	s_or_saveexec_b64 s[22:23], s[22:23]
	v_mov_b32_e32 v65, v61
	s_xor_b64 exec, exec, s[22:23]
	s_cbranch_execz .LBB49_90
; %bb.89:                               ;   in Loop: Header=BB49_2 Depth=1
	ds_read_u8 v65, v62 offset:1
	s_waitcnt lgkmcnt(1)
	v_mov_b32_e32 v64, v60
.LBB49_90:                              ;   in Loop: Header=BB49_2 Depth=1
	s_or_b64 exec, exec, s[22:23]
	v_add_u32_e32 v67, 1, v63
	v_add_u32_e32 v66, 1, v62
	v_cndmask_b32_e64 v67, v67, v63, s[20:21]
	v_cndmask_b32_e64 v66, v62, v66, s[20:21]
	v_cmp_ge_i32_e64 s[22:23], v67, v15
	s_waitcnt lgkmcnt(0)
	v_cmp_lt_i16_sdwa s[0:1], sext(v65), sext(v64) src0_sel:BYTE_0 src1_sel:BYTE_0
	v_cmp_lt_i32_e32 vcc, v66, v16
	s_or_b64 s[0:1], s[22:23], s[0:1]
	s_and_b64 vcc, vcc, s[0:1]
	s_xor_b64 s[0:1], vcc, -1
                                        ; implicit-def: $vgpr68
	s_and_saveexec_b64 s[22:23], s[0:1]
	s_xor_b64 s[22:23], exec, s[22:23]
; %bb.91:                               ;   in Loop: Header=BB49_2 Depth=1
	ds_read_u8 v68, v67 offset:1
; %bb.92:                               ;   in Loop: Header=BB49_2 Depth=1
	s_or_saveexec_b64 s[22:23], s[22:23]
	v_mov_b32_e32 v69, v65
	s_xor_b64 exec, exec, s[22:23]
	s_cbranch_execz .LBB49_94
; %bb.93:                               ;   in Loop: Header=BB49_2 Depth=1
	ds_read_u8 v69, v66 offset:1
	s_waitcnt lgkmcnt(1)
	v_mov_b32_e32 v68, v64
.LBB49_94:                              ;   in Loop: Header=BB49_2 Depth=1
	s_or_b64 exec, exec, s[22:23]
	v_add_u32_e32 v72, 1, v67
	v_add_u32_e32 v70, 1, v66
	v_cndmask_b32_e32 v72, v72, v67, vcc
	v_cndmask_b32_e32 v71, v66, v70, vcc
	v_cmp_ge_i32_e64 s[24:25], v72, v15
	s_waitcnt lgkmcnt(0)
	v_cmp_lt_i16_sdwa s[0:1], sext(v69), sext(v68) src0_sel:BYTE_0 src1_sel:BYTE_0
	v_cmp_lt_i32_e64 s[22:23], v71, v16
	s_or_b64 s[0:1], s[24:25], s[0:1]
	s_and_b64 s[22:23], s[22:23], s[0:1]
	s_xor_b64 s[0:1], s[22:23], -1
                                        ; implicit-def: $vgpr70
	s_and_saveexec_b64 s[24:25], s[0:1]
	s_xor_b64 s[24:25], exec, s[24:25]
; %bb.95:                               ;   in Loop: Header=BB49_2 Depth=1
	ds_read_u8 v70, v72 offset:1
; %bb.96:                               ;   in Loop: Header=BB49_2 Depth=1
	s_or_saveexec_b64 s[24:25], s[24:25]
	v_mov_b32_e32 v73, v69
	s_xor_b64 exec, exec, s[24:25]
	s_cbranch_execz .LBB49_98
; %bb.97:                               ;   in Loop: Header=BB49_2 Depth=1
	ds_read_u8 v73, v71 offset:1
	s_waitcnt lgkmcnt(1)
	v_mov_b32_e32 v70, v68
.LBB49_98:                              ;   in Loop: Header=BB49_2 Depth=1
	s_or_b64 exec, exec, s[24:25]
	v_add_u32_e32 v74, 1, v72
	v_cndmask_b32_e64 v68, v68, v69, s[22:23]
	v_add_u32_e32 v69, 1, v71
	v_cndmask_b32_e64 v74, v74, v72, s[22:23]
	v_cndmask_b32_e64 v69, v71, v69, s[22:23]
	;; [unrolled: 1-line block ×4, first 2 shown]
	v_cmp_ge_i32_e64 s[12:13], v74, v15
	s_waitcnt lgkmcnt(0)
	v_cmp_lt_i16_sdwa s[0:1], sext(v73), sext(v70) src0_sel:BYTE_0 src1_sel:BYTE_0
	v_cndmask_b32_sdwa v64, v64, v65, vcc dst_sel:BYTE_1 dst_unused:UNUSED_PAD src0_sel:DWORD src1_sel:DWORD
	v_cndmask_b32_e32 v65, v67, v66, vcc
	v_cmp_lt_i32_e32 vcc, v69, v16
	s_or_b64 s[0:1], s[12:13], s[0:1]
	v_perm_b32 v41, v41, v42, s84
	v_perm_b32 v40, v43, v40, s84
	;; [unrolled: 1-line block ×4, first 2 shown]
	s_and_b64 vcc, vcc, s[0:1]
	v_lshl_or_b32 v41, v40, 16, v41
	v_lshl_or_b32 v40, v2, 16, v1
	v_cndmask_b32_e64 v71, v72, v71, s[22:23]
	v_cndmask_b32_e64 v60, v60, v61, s[20:21]
	;; [unrolled: 1-line block ×9, first 2 shown]
	v_cndmask_b32_e32 v47, v74, v69, vcc
	; wave barrier
	ds_write_b64 v5, v[40:41]
	s_waitcnt lgkmcnt(0)
	; wave barrier
	ds_read_u8 v1, v44
	ds_read_u8 v40, v47
	;; [unrolled: 1-line block ×8, first 2 shown]
	v_lshlrev_b16_e32 v44, 8, v48
	v_cndmask_b32_e32 v45, v70, v73, vcc
	v_or_b32_sdwa v44, v46, v44 dst_sel:DWORD dst_unused:UNUSED_PAD src0_sel:BYTE_0 src1_sel:DWORD
	v_lshlrev_b16_e32 v46, 8, v56
	v_or_b32_sdwa v46, v52, v46 dst_sel:WORD_1 dst_unused:UNUSED_PAD src0_sel:BYTE_0 src1_sel:DWORD
	v_lshlrev_b16_e32 v45, 8, v45
	v_or_b32_sdwa v44, v44, v46 dst_sel:DWORD dst_unused:UNUSED_PAD src0_sel:WORD_0 src1_sel:DWORD
	v_or_b32_sdwa v46, v60, v64 dst_sel:DWORD dst_unused:UNUSED_PAD src0_sel:BYTE_0 src1_sel:DWORD
	v_or_b32_sdwa v45, v68, v45 dst_sel:WORD_1 dst_unused:UNUSED_PAD src0_sel:BYTE_0 src1_sel:DWORD
	v_or_b32_sdwa v45, v46, v45 dst_sel:DWORD dst_unused:UNUSED_PAD src0_sel:WORD_0 src1_sel:DWORD
	s_waitcnt lgkmcnt(0)
	; wave barrier
	ds_write_b64 v5, v[44:45]
	v_mov_b32_e32 v45, v30
	s_waitcnt lgkmcnt(0)
	; wave barrier
	s_and_saveexec_b64 s[12:13], s[6:7]
	s_cbranch_execz .LBB49_102
; %bb.99:                               ;   in Loop: Header=BB49_2 Depth=1
	s_mov_b64 s[14:15], 0
	v_mov_b32_e32 v45, v30
	v_mov_b32_e32 v44, v31
.LBB49_100:                             ;   Parent Loop BB49_2 Depth=1
                                        ; =>  This Inner Loop Header: Depth=2
	v_sub_u32_e32 v46, v44, v45
	v_lshrrev_b32_e32 v46, 1, v46
	v_add_u32_e32 v46, v46, v45
	v_add_u32_e32 v47, v9, v46
	v_xad_u32 v48, v46, -1, v32
	ds_read_i8 v47, v47
	ds_read_i8 v48, v48
	v_add_u32_e32 v49, 1, v46
	s_waitcnt lgkmcnt(0)
	v_cmp_lt_i16_e32 vcc, v48, v47
	v_cndmask_b32_e32 v44, v44, v46, vcc
	v_cndmask_b32_e32 v45, v49, v45, vcc
	v_cmp_ge_i32_e32 vcc, v45, v44
	s_or_b64 s[14:15], vcc, s[14:15]
	s_andn2_b64 exec, exec, s[14:15]
	s_cbranch_execnz .LBB49_100
; %bb.101:                              ;   in Loop: Header=BB49_2 Depth=1
	s_or_b64 exec, exec, s[14:15]
.LBB49_102:                             ;   in Loop: Header=BB49_2 Depth=1
	s_or_b64 exec, exec, s[12:13]
	v_add_u32_e32 v44, v45, v9
	v_sub_u32_e32 v45, v32, v45
	ds_read_u8 v46, v44
	ds_read_u8 v47, v45
	v_cmp_le_i32_e64 s[12:13], v17, v44
	v_cmp_gt_i32_e32 vcc, v18, v45
                                        ; implicit-def: $vgpr48
	s_waitcnt lgkmcnt(1)
	v_bfe_i32 v46, v46, 0, 8
	s_waitcnt lgkmcnt(0)
	v_bfe_i32 v47, v47, 0, 8
	v_cmp_lt_i16_e64 s[14:15], v47, v46
	s_or_b64 s[0:1], s[12:13], s[14:15]
	s_and_b64 s[12:13], vcc, s[0:1]
	s_xor_b64 s[0:1], s[12:13], -1
	s_and_saveexec_b64 s[14:15], s[0:1]
	s_xor_b64 s[14:15], exec, s[14:15]
; %bb.103:                              ;   in Loop: Header=BB49_2 Depth=1
	ds_read_u8 v48, v44 offset:1
; %bb.104:                              ;   in Loop: Header=BB49_2 Depth=1
	s_or_saveexec_b64 s[14:15], s[14:15]
	v_mov_b32_e32 v49, v47
	s_xor_b64 exec, exec, s[14:15]
	s_cbranch_execz .LBB49_106
; %bb.105:                              ;   in Loop: Header=BB49_2 Depth=1
	ds_read_u8 v49, v45 offset:1
	s_waitcnt lgkmcnt(1)
	v_mov_b32_e32 v48, v46
.LBB49_106:                             ;   in Loop: Header=BB49_2 Depth=1
	s_or_b64 exec, exec, s[14:15]
	v_add_u32_e32 v51, 1, v44
	v_add_u32_e32 v50, 1, v45
	v_cndmask_b32_e64 v51, v51, v44, s[12:13]
	v_cndmask_b32_e64 v50, v45, v50, s[12:13]
	v_cmp_ge_i32_e64 s[14:15], v51, v17
	s_waitcnt lgkmcnt(0)
	v_cmp_lt_i16_sdwa s[0:1], sext(v49), sext(v48) src0_sel:BYTE_0 src1_sel:BYTE_0
	v_cmp_lt_i32_e32 vcc, v50, v18
	s_or_b64 s[0:1], s[14:15], s[0:1]
	s_and_b64 s[14:15], vcc, s[0:1]
	s_xor_b64 s[0:1], s[14:15], -1
                                        ; implicit-def: $vgpr52
	s_and_saveexec_b64 s[16:17], s[0:1]
	s_xor_b64 s[16:17], exec, s[16:17]
; %bb.107:                              ;   in Loop: Header=BB49_2 Depth=1
	ds_read_u8 v52, v51 offset:1
; %bb.108:                              ;   in Loop: Header=BB49_2 Depth=1
	s_or_saveexec_b64 s[16:17], s[16:17]
	v_mov_b32_e32 v53, v49
	s_xor_b64 exec, exec, s[16:17]
	s_cbranch_execz .LBB49_110
; %bb.109:                              ;   in Loop: Header=BB49_2 Depth=1
	ds_read_u8 v53, v50 offset:1
	s_waitcnt lgkmcnt(1)
	v_mov_b32_e32 v52, v48
.LBB49_110:                             ;   in Loop: Header=BB49_2 Depth=1
	s_or_b64 exec, exec, s[16:17]
	v_add_u32_e32 v55, 1, v51
	v_add_u32_e32 v54, 1, v50
	v_cndmask_b32_e64 v55, v55, v51, s[14:15]
	v_cndmask_b32_e64 v54, v50, v54, s[14:15]
	v_cmp_ge_i32_e64 s[16:17], v55, v17
	s_waitcnt lgkmcnt(0)
	v_cmp_lt_i16_sdwa s[0:1], sext(v53), sext(v52) src0_sel:BYTE_0 src1_sel:BYTE_0
	v_cmp_lt_i32_e32 vcc, v54, v18
	s_or_b64 s[0:1], s[16:17], s[0:1]
	s_and_b64 s[16:17], vcc, s[0:1]
	s_xor_b64 s[0:1], s[16:17], -1
                                        ; implicit-def: $vgpr56
	s_and_saveexec_b64 s[18:19], s[0:1]
	s_xor_b64 s[18:19], exec, s[18:19]
; %bb.111:                              ;   in Loop: Header=BB49_2 Depth=1
	ds_read_u8 v56, v55 offset:1
; %bb.112:                              ;   in Loop: Header=BB49_2 Depth=1
	s_or_saveexec_b64 s[18:19], s[18:19]
	v_mov_b32_e32 v57, v53
	s_xor_b64 exec, exec, s[18:19]
	s_cbranch_execz .LBB49_114
; %bb.113:                              ;   in Loop: Header=BB49_2 Depth=1
	ds_read_u8 v57, v54 offset:1
	s_waitcnt lgkmcnt(1)
	v_mov_b32_e32 v56, v52
.LBB49_114:                             ;   in Loop: Header=BB49_2 Depth=1
	s_or_b64 exec, exec, s[18:19]
	v_add_u32_e32 v59, 1, v55
	v_add_u32_e32 v58, 1, v54
	v_cndmask_b32_e64 v59, v59, v55, s[16:17]
	v_cndmask_b32_e64 v58, v54, v58, s[16:17]
	v_cmp_ge_i32_e64 s[18:19], v59, v17
	s_waitcnt lgkmcnt(0)
	v_cmp_lt_i16_sdwa s[0:1], sext(v57), sext(v56) src0_sel:BYTE_0 src1_sel:BYTE_0
	v_cmp_lt_i32_e32 vcc, v58, v18
	s_or_b64 s[0:1], s[18:19], s[0:1]
	s_and_b64 s[18:19], vcc, s[0:1]
	s_xor_b64 s[0:1], s[18:19], -1
                                        ; implicit-def: $vgpr60
	s_and_saveexec_b64 s[20:21], s[0:1]
	s_xor_b64 s[20:21], exec, s[20:21]
; %bb.115:                              ;   in Loop: Header=BB49_2 Depth=1
	ds_read_u8 v60, v59 offset:1
; %bb.116:                              ;   in Loop: Header=BB49_2 Depth=1
	s_or_saveexec_b64 s[20:21], s[20:21]
	v_mov_b32_e32 v61, v57
	s_xor_b64 exec, exec, s[20:21]
	s_cbranch_execz .LBB49_118
; %bb.117:                              ;   in Loop: Header=BB49_2 Depth=1
	ds_read_u8 v61, v58 offset:1
	s_waitcnt lgkmcnt(1)
	v_mov_b32_e32 v60, v56
.LBB49_118:                             ;   in Loop: Header=BB49_2 Depth=1
	s_or_b64 exec, exec, s[20:21]
	v_add_u32_e32 v63, 1, v59
	v_add_u32_e32 v62, 1, v58
	v_cndmask_b32_e64 v63, v63, v59, s[18:19]
	v_cndmask_b32_e64 v62, v58, v62, s[18:19]
	v_cmp_ge_i32_e64 s[20:21], v63, v17
	s_waitcnt lgkmcnt(0)
	v_cmp_lt_i16_sdwa s[0:1], sext(v61), sext(v60) src0_sel:BYTE_0 src1_sel:BYTE_0
	v_cmp_lt_i32_e32 vcc, v62, v18
	s_or_b64 s[0:1], s[20:21], s[0:1]
	s_and_b64 s[20:21], vcc, s[0:1]
	s_xor_b64 s[0:1], s[20:21], -1
                                        ; implicit-def: $vgpr64
	s_and_saveexec_b64 s[22:23], s[0:1]
	s_xor_b64 s[22:23], exec, s[22:23]
; %bb.119:                              ;   in Loop: Header=BB49_2 Depth=1
	ds_read_u8 v64, v63 offset:1
; %bb.120:                              ;   in Loop: Header=BB49_2 Depth=1
	s_or_saveexec_b64 s[22:23], s[22:23]
	v_mov_b32_e32 v65, v61
	s_xor_b64 exec, exec, s[22:23]
	s_cbranch_execz .LBB49_122
; %bb.121:                              ;   in Loop: Header=BB49_2 Depth=1
	ds_read_u8 v65, v62 offset:1
	s_waitcnt lgkmcnt(1)
	v_mov_b32_e32 v64, v60
.LBB49_122:                             ;   in Loop: Header=BB49_2 Depth=1
	s_or_b64 exec, exec, s[22:23]
	v_add_u32_e32 v67, 1, v63
	v_add_u32_e32 v66, 1, v62
	v_cndmask_b32_e64 v67, v67, v63, s[20:21]
	v_cndmask_b32_e64 v66, v62, v66, s[20:21]
	v_cmp_ge_i32_e64 s[22:23], v67, v17
	s_waitcnt lgkmcnt(0)
	v_cmp_lt_i16_sdwa s[0:1], sext(v65), sext(v64) src0_sel:BYTE_0 src1_sel:BYTE_0
	v_cmp_lt_i32_e32 vcc, v66, v18
	s_or_b64 s[0:1], s[22:23], s[0:1]
	s_and_b64 vcc, vcc, s[0:1]
	s_xor_b64 s[0:1], vcc, -1
                                        ; implicit-def: $vgpr68
	s_and_saveexec_b64 s[22:23], s[0:1]
	s_xor_b64 s[22:23], exec, s[22:23]
; %bb.123:                              ;   in Loop: Header=BB49_2 Depth=1
	ds_read_u8 v68, v67 offset:1
; %bb.124:                              ;   in Loop: Header=BB49_2 Depth=1
	s_or_saveexec_b64 s[22:23], s[22:23]
	v_mov_b32_e32 v69, v65
	s_xor_b64 exec, exec, s[22:23]
	s_cbranch_execz .LBB49_126
; %bb.125:                              ;   in Loop: Header=BB49_2 Depth=1
	ds_read_u8 v69, v66 offset:1
	s_waitcnt lgkmcnt(1)
	v_mov_b32_e32 v68, v64
.LBB49_126:                             ;   in Loop: Header=BB49_2 Depth=1
	s_or_b64 exec, exec, s[22:23]
	v_add_u32_e32 v72, 1, v67
	v_add_u32_e32 v70, 1, v66
	v_cndmask_b32_e32 v72, v72, v67, vcc
	v_cndmask_b32_e32 v71, v66, v70, vcc
	v_cmp_ge_i32_e64 s[24:25], v72, v17
	s_waitcnt lgkmcnt(0)
	v_cmp_lt_i16_sdwa s[0:1], sext(v69), sext(v68) src0_sel:BYTE_0 src1_sel:BYTE_0
	v_cmp_lt_i32_e64 s[22:23], v71, v18
	s_or_b64 s[0:1], s[24:25], s[0:1]
	s_and_b64 s[22:23], s[22:23], s[0:1]
	s_xor_b64 s[0:1], s[22:23], -1
                                        ; implicit-def: $vgpr70
	s_and_saveexec_b64 s[24:25], s[0:1]
	s_xor_b64 s[24:25], exec, s[24:25]
; %bb.127:                              ;   in Loop: Header=BB49_2 Depth=1
	ds_read_u8 v70, v72 offset:1
; %bb.128:                              ;   in Loop: Header=BB49_2 Depth=1
	s_or_saveexec_b64 s[24:25], s[24:25]
	v_mov_b32_e32 v73, v69
	s_xor_b64 exec, exec, s[24:25]
	s_cbranch_execz .LBB49_130
; %bb.129:                              ;   in Loop: Header=BB49_2 Depth=1
	ds_read_u8 v73, v71 offset:1
	s_waitcnt lgkmcnt(1)
	v_mov_b32_e32 v70, v68
.LBB49_130:                             ;   in Loop: Header=BB49_2 Depth=1
	s_or_b64 exec, exec, s[24:25]
	v_add_u32_e32 v74, 1, v72
	v_cndmask_b32_e64 v68, v68, v69, s[22:23]
	v_add_u32_e32 v69, 1, v71
	v_cndmask_b32_e64 v74, v74, v72, s[22:23]
	v_cndmask_b32_e64 v69, v71, v69, s[22:23]
	;; [unrolled: 1-line block ×4, first 2 shown]
	v_cmp_ge_i32_e64 s[12:13], v74, v17
	s_waitcnt lgkmcnt(0)
	v_cmp_lt_i16_sdwa s[0:1], sext(v73), sext(v70) src0_sel:BYTE_0 src1_sel:BYTE_0
	v_cndmask_b32_sdwa v64, v64, v65, vcc dst_sel:BYTE_1 dst_unused:UNUSED_PAD src0_sel:DWORD src1_sel:DWORD
	v_cndmask_b32_e32 v65, v67, v66, vcc
	v_cmp_lt_i32_e32 vcc, v69, v18
	s_or_b64 s[0:1], s[12:13], s[0:1]
	v_perm_b32 v41, v41, v42, s84
	v_perm_b32 v40, v43, v40, s84
	;; [unrolled: 1-line block ×4, first 2 shown]
	s_and_b64 vcc, vcc, s[0:1]
	v_lshl_or_b32 v41, v40, 16, v41
	v_lshl_or_b32 v40, v2, 16, v1
	v_cndmask_b32_e64 v71, v72, v71, s[22:23]
	v_cndmask_b32_e64 v60, v60, v61, s[20:21]
	;; [unrolled: 1-line block ×9, first 2 shown]
	v_cndmask_b32_e32 v47, v74, v69, vcc
	; wave barrier
	ds_write_b64 v5, v[40:41]
	s_waitcnt lgkmcnt(0)
	; wave barrier
	ds_read_u8 v1, v44
	ds_read_u8 v40, v47
	;; [unrolled: 1-line block ×8, first 2 shown]
	v_lshlrev_b16_e32 v44, 8, v48
	v_cndmask_b32_e32 v45, v70, v73, vcc
	v_or_b32_sdwa v44, v46, v44 dst_sel:DWORD dst_unused:UNUSED_PAD src0_sel:BYTE_0 src1_sel:DWORD
	v_lshlrev_b16_e32 v46, 8, v56
	v_or_b32_sdwa v46, v52, v46 dst_sel:WORD_1 dst_unused:UNUSED_PAD src0_sel:BYTE_0 src1_sel:DWORD
	v_lshlrev_b16_e32 v45, 8, v45
	v_or_b32_sdwa v44, v44, v46 dst_sel:DWORD dst_unused:UNUSED_PAD src0_sel:WORD_0 src1_sel:DWORD
	v_or_b32_sdwa v46, v60, v64 dst_sel:DWORD dst_unused:UNUSED_PAD src0_sel:BYTE_0 src1_sel:DWORD
	v_or_b32_sdwa v45, v68, v45 dst_sel:WORD_1 dst_unused:UNUSED_PAD src0_sel:BYTE_0 src1_sel:DWORD
	v_or_b32_sdwa v45, v46, v45 dst_sel:DWORD dst_unused:UNUSED_PAD src0_sel:WORD_0 src1_sel:DWORD
	s_waitcnt lgkmcnt(0)
	; wave barrier
	ds_write_b64 v5, v[44:45]
	v_mov_b32_e32 v45, v33
	s_waitcnt lgkmcnt(0)
	; wave barrier
	s_and_saveexec_b64 s[12:13], s[8:9]
	s_cbranch_execz .LBB49_134
; %bb.131:                              ;   in Loop: Header=BB49_2 Depth=1
	s_mov_b64 s[14:15], 0
	v_mov_b32_e32 v45, v33
	v_mov_b32_e32 v44, v34
.LBB49_132:                             ;   Parent Loop BB49_2 Depth=1
                                        ; =>  This Inner Loop Header: Depth=2
	v_sub_u32_e32 v46, v44, v45
	v_lshrrev_b32_e32 v46, 1, v46
	v_add_u32_e32 v46, v46, v45
	v_add_u32_e32 v47, v10, v46
	v_xad_u32 v48, v46, -1, v35
	ds_read_i8 v47, v47
	ds_read_i8 v48, v48
	v_add_u32_e32 v49, 1, v46
	s_waitcnt lgkmcnt(0)
	v_cmp_lt_i16_e32 vcc, v48, v47
	v_cndmask_b32_e32 v44, v44, v46, vcc
	v_cndmask_b32_e32 v45, v49, v45, vcc
	v_cmp_ge_i32_e32 vcc, v45, v44
	s_or_b64 s[14:15], vcc, s[14:15]
	s_andn2_b64 exec, exec, s[14:15]
	s_cbranch_execnz .LBB49_132
; %bb.133:                              ;   in Loop: Header=BB49_2 Depth=1
	s_or_b64 exec, exec, s[14:15]
.LBB49_134:                             ;   in Loop: Header=BB49_2 Depth=1
	s_or_b64 exec, exec, s[12:13]
	v_add_u32_e32 v44, v45, v10
	v_sub_u32_e32 v45, v35, v45
	ds_read_u8 v46, v44
	ds_read_u8 v47, v45
	v_cmp_le_i32_e64 s[12:13], v19, v44
	v_cmp_gt_i32_e32 vcc, v20, v45
                                        ; implicit-def: $vgpr48
	s_waitcnt lgkmcnt(1)
	v_bfe_i32 v46, v46, 0, 8
	s_waitcnt lgkmcnt(0)
	v_bfe_i32 v47, v47, 0, 8
	v_cmp_lt_i16_e64 s[14:15], v47, v46
	s_or_b64 s[0:1], s[12:13], s[14:15]
	s_and_b64 s[12:13], vcc, s[0:1]
	s_xor_b64 s[0:1], s[12:13], -1
	s_and_saveexec_b64 s[14:15], s[0:1]
	s_xor_b64 s[14:15], exec, s[14:15]
; %bb.135:                              ;   in Loop: Header=BB49_2 Depth=1
	ds_read_u8 v48, v44 offset:1
; %bb.136:                              ;   in Loop: Header=BB49_2 Depth=1
	s_or_saveexec_b64 s[14:15], s[14:15]
	v_mov_b32_e32 v49, v47
	s_xor_b64 exec, exec, s[14:15]
	s_cbranch_execz .LBB49_138
; %bb.137:                              ;   in Loop: Header=BB49_2 Depth=1
	ds_read_u8 v49, v45 offset:1
	s_waitcnt lgkmcnt(1)
	v_mov_b32_e32 v48, v46
.LBB49_138:                             ;   in Loop: Header=BB49_2 Depth=1
	s_or_b64 exec, exec, s[14:15]
	v_add_u32_e32 v51, 1, v44
	v_add_u32_e32 v50, 1, v45
	v_cndmask_b32_e64 v51, v51, v44, s[12:13]
	v_cndmask_b32_e64 v50, v45, v50, s[12:13]
	v_cmp_ge_i32_e64 s[14:15], v51, v19
	s_waitcnt lgkmcnt(0)
	v_cmp_lt_i16_sdwa s[0:1], sext(v49), sext(v48) src0_sel:BYTE_0 src1_sel:BYTE_0
	v_cmp_lt_i32_e32 vcc, v50, v20
	s_or_b64 s[0:1], s[14:15], s[0:1]
	s_and_b64 s[14:15], vcc, s[0:1]
	s_xor_b64 s[0:1], s[14:15], -1
                                        ; implicit-def: $vgpr52
	s_and_saveexec_b64 s[16:17], s[0:1]
	s_xor_b64 s[16:17], exec, s[16:17]
; %bb.139:                              ;   in Loop: Header=BB49_2 Depth=1
	ds_read_u8 v52, v51 offset:1
; %bb.140:                              ;   in Loop: Header=BB49_2 Depth=1
	s_or_saveexec_b64 s[16:17], s[16:17]
	v_mov_b32_e32 v53, v49
	s_xor_b64 exec, exec, s[16:17]
	s_cbranch_execz .LBB49_142
; %bb.141:                              ;   in Loop: Header=BB49_2 Depth=1
	ds_read_u8 v53, v50 offset:1
	s_waitcnt lgkmcnt(1)
	v_mov_b32_e32 v52, v48
.LBB49_142:                             ;   in Loop: Header=BB49_2 Depth=1
	s_or_b64 exec, exec, s[16:17]
	v_add_u32_e32 v55, 1, v51
	v_add_u32_e32 v54, 1, v50
	v_cndmask_b32_e64 v55, v55, v51, s[14:15]
	v_cndmask_b32_e64 v54, v50, v54, s[14:15]
	v_cmp_ge_i32_e64 s[16:17], v55, v19
	s_waitcnt lgkmcnt(0)
	v_cmp_lt_i16_sdwa s[0:1], sext(v53), sext(v52) src0_sel:BYTE_0 src1_sel:BYTE_0
	v_cmp_lt_i32_e32 vcc, v54, v20
	s_or_b64 s[0:1], s[16:17], s[0:1]
	s_and_b64 s[16:17], vcc, s[0:1]
	s_xor_b64 s[0:1], s[16:17], -1
                                        ; implicit-def: $vgpr56
	s_and_saveexec_b64 s[18:19], s[0:1]
	s_xor_b64 s[18:19], exec, s[18:19]
; %bb.143:                              ;   in Loop: Header=BB49_2 Depth=1
	ds_read_u8 v56, v55 offset:1
; %bb.144:                              ;   in Loop: Header=BB49_2 Depth=1
	s_or_saveexec_b64 s[18:19], s[18:19]
	v_mov_b32_e32 v57, v53
	s_xor_b64 exec, exec, s[18:19]
	s_cbranch_execz .LBB49_146
; %bb.145:                              ;   in Loop: Header=BB49_2 Depth=1
	ds_read_u8 v57, v54 offset:1
	s_waitcnt lgkmcnt(1)
	v_mov_b32_e32 v56, v52
.LBB49_146:                             ;   in Loop: Header=BB49_2 Depth=1
	s_or_b64 exec, exec, s[18:19]
	v_add_u32_e32 v59, 1, v55
	v_add_u32_e32 v58, 1, v54
	v_cndmask_b32_e64 v59, v59, v55, s[16:17]
	v_cndmask_b32_e64 v58, v54, v58, s[16:17]
	v_cmp_ge_i32_e64 s[18:19], v59, v19
	s_waitcnt lgkmcnt(0)
	v_cmp_lt_i16_sdwa s[0:1], sext(v57), sext(v56) src0_sel:BYTE_0 src1_sel:BYTE_0
	v_cmp_lt_i32_e32 vcc, v58, v20
	s_or_b64 s[0:1], s[18:19], s[0:1]
	s_and_b64 s[18:19], vcc, s[0:1]
	s_xor_b64 s[0:1], s[18:19], -1
                                        ; implicit-def: $vgpr60
	s_and_saveexec_b64 s[20:21], s[0:1]
	s_xor_b64 s[20:21], exec, s[20:21]
; %bb.147:                              ;   in Loop: Header=BB49_2 Depth=1
	ds_read_u8 v60, v59 offset:1
; %bb.148:                              ;   in Loop: Header=BB49_2 Depth=1
	s_or_saveexec_b64 s[20:21], s[20:21]
	v_mov_b32_e32 v61, v57
	s_xor_b64 exec, exec, s[20:21]
	s_cbranch_execz .LBB49_150
; %bb.149:                              ;   in Loop: Header=BB49_2 Depth=1
	ds_read_u8 v61, v58 offset:1
	s_waitcnt lgkmcnt(1)
	v_mov_b32_e32 v60, v56
.LBB49_150:                             ;   in Loop: Header=BB49_2 Depth=1
	s_or_b64 exec, exec, s[20:21]
	v_add_u32_e32 v63, 1, v59
	v_add_u32_e32 v62, 1, v58
	v_cndmask_b32_e64 v63, v63, v59, s[18:19]
	v_cndmask_b32_e64 v62, v58, v62, s[18:19]
	v_cmp_ge_i32_e64 s[20:21], v63, v19
	s_waitcnt lgkmcnt(0)
	v_cmp_lt_i16_sdwa s[0:1], sext(v61), sext(v60) src0_sel:BYTE_0 src1_sel:BYTE_0
	v_cmp_lt_i32_e32 vcc, v62, v20
	s_or_b64 s[0:1], s[20:21], s[0:1]
	s_and_b64 s[20:21], vcc, s[0:1]
	s_xor_b64 s[0:1], s[20:21], -1
                                        ; implicit-def: $vgpr64
	s_and_saveexec_b64 s[22:23], s[0:1]
	s_xor_b64 s[22:23], exec, s[22:23]
; %bb.151:                              ;   in Loop: Header=BB49_2 Depth=1
	ds_read_u8 v64, v63 offset:1
; %bb.152:                              ;   in Loop: Header=BB49_2 Depth=1
	s_or_saveexec_b64 s[22:23], s[22:23]
	v_mov_b32_e32 v65, v61
	s_xor_b64 exec, exec, s[22:23]
	s_cbranch_execz .LBB49_154
; %bb.153:                              ;   in Loop: Header=BB49_2 Depth=1
	ds_read_u8 v65, v62 offset:1
	s_waitcnt lgkmcnt(1)
	v_mov_b32_e32 v64, v60
.LBB49_154:                             ;   in Loop: Header=BB49_2 Depth=1
	s_or_b64 exec, exec, s[22:23]
	v_add_u32_e32 v67, 1, v63
	v_add_u32_e32 v66, 1, v62
	v_cndmask_b32_e64 v67, v67, v63, s[20:21]
	v_cndmask_b32_e64 v66, v62, v66, s[20:21]
	v_cmp_ge_i32_e64 s[22:23], v67, v19
	s_waitcnt lgkmcnt(0)
	v_cmp_lt_i16_sdwa s[0:1], sext(v65), sext(v64) src0_sel:BYTE_0 src1_sel:BYTE_0
	v_cmp_lt_i32_e32 vcc, v66, v20
	s_or_b64 s[0:1], s[22:23], s[0:1]
	s_and_b64 vcc, vcc, s[0:1]
	s_xor_b64 s[0:1], vcc, -1
                                        ; implicit-def: $vgpr68
	s_and_saveexec_b64 s[22:23], s[0:1]
	s_xor_b64 s[22:23], exec, s[22:23]
; %bb.155:                              ;   in Loop: Header=BB49_2 Depth=1
	ds_read_u8 v68, v67 offset:1
; %bb.156:                              ;   in Loop: Header=BB49_2 Depth=1
	s_or_saveexec_b64 s[22:23], s[22:23]
	v_mov_b32_e32 v69, v65
	s_xor_b64 exec, exec, s[22:23]
	s_cbranch_execz .LBB49_158
; %bb.157:                              ;   in Loop: Header=BB49_2 Depth=1
	ds_read_u8 v69, v66 offset:1
	s_waitcnt lgkmcnt(1)
	v_mov_b32_e32 v68, v64
.LBB49_158:                             ;   in Loop: Header=BB49_2 Depth=1
	s_or_b64 exec, exec, s[22:23]
	v_add_u32_e32 v72, 1, v67
	v_add_u32_e32 v70, 1, v66
	v_cndmask_b32_e32 v72, v72, v67, vcc
	v_cndmask_b32_e32 v71, v66, v70, vcc
	v_cmp_ge_i32_e64 s[24:25], v72, v19
	s_waitcnt lgkmcnt(0)
	v_cmp_lt_i16_sdwa s[0:1], sext(v69), sext(v68) src0_sel:BYTE_0 src1_sel:BYTE_0
	v_cmp_lt_i32_e64 s[22:23], v71, v20
	s_or_b64 s[0:1], s[24:25], s[0:1]
	s_and_b64 s[22:23], s[22:23], s[0:1]
	s_xor_b64 s[0:1], s[22:23], -1
                                        ; implicit-def: $vgpr70
	s_and_saveexec_b64 s[24:25], s[0:1]
	s_xor_b64 s[24:25], exec, s[24:25]
; %bb.159:                              ;   in Loop: Header=BB49_2 Depth=1
	ds_read_u8 v70, v72 offset:1
; %bb.160:                              ;   in Loop: Header=BB49_2 Depth=1
	s_or_saveexec_b64 s[24:25], s[24:25]
	v_mov_b32_e32 v73, v69
	s_xor_b64 exec, exec, s[24:25]
	s_cbranch_execz .LBB49_162
; %bb.161:                              ;   in Loop: Header=BB49_2 Depth=1
	ds_read_u8 v73, v71 offset:1
	s_waitcnt lgkmcnt(1)
	v_mov_b32_e32 v70, v68
.LBB49_162:                             ;   in Loop: Header=BB49_2 Depth=1
	s_or_b64 exec, exec, s[24:25]
	v_add_u32_e32 v74, 1, v72
	v_cndmask_b32_e64 v68, v68, v69, s[22:23]
	v_add_u32_e32 v69, 1, v71
	v_cndmask_b32_e64 v74, v74, v72, s[22:23]
	v_cndmask_b32_e64 v69, v71, v69, s[22:23]
	;; [unrolled: 1-line block ×4, first 2 shown]
	v_cmp_ge_i32_e64 s[12:13], v74, v19
	s_waitcnt lgkmcnt(0)
	v_cmp_lt_i16_sdwa s[0:1], sext(v73), sext(v70) src0_sel:BYTE_0 src1_sel:BYTE_0
	v_cndmask_b32_sdwa v64, v64, v65, vcc dst_sel:BYTE_1 dst_unused:UNUSED_PAD src0_sel:DWORD src1_sel:DWORD
	v_cndmask_b32_e32 v65, v67, v66, vcc
	v_cmp_lt_i32_e32 vcc, v69, v20
	s_or_b64 s[0:1], s[12:13], s[0:1]
	v_perm_b32 v41, v41, v42, s84
	v_perm_b32 v40, v43, v40, s84
	;; [unrolled: 1-line block ×4, first 2 shown]
	s_and_b64 vcc, vcc, s[0:1]
	v_lshl_or_b32 v41, v40, 16, v41
	v_lshl_or_b32 v40, v2, 16, v1
	v_cndmask_b32_e64 v71, v72, v71, s[22:23]
	v_cndmask_b32_e64 v60, v60, v61, s[20:21]
	;; [unrolled: 1-line block ×9, first 2 shown]
	v_cndmask_b32_e32 v47, v74, v69, vcc
	; wave barrier
	ds_write_b64 v5, v[40:41]
	s_waitcnt lgkmcnt(0)
	; wave barrier
	ds_read_u8 v1, v44
	ds_read_u8 v40, v47
	;; [unrolled: 1-line block ×8, first 2 shown]
	v_lshlrev_b16_e32 v44, 8, v48
	v_cndmask_b32_e32 v45, v70, v73, vcc
	v_or_b32_sdwa v44, v46, v44 dst_sel:DWORD dst_unused:UNUSED_PAD src0_sel:BYTE_0 src1_sel:DWORD
	v_lshlrev_b16_e32 v46, 8, v56
	v_or_b32_sdwa v46, v52, v46 dst_sel:WORD_1 dst_unused:UNUSED_PAD src0_sel:BYTE_0 src1_sel:DWORD
	v_lshlrev_b16_e32 v45, 8, v45
	v_or_b32_sdwa v44, v44, v46 dst_sel:DWORD dst_unused:UNUSED_PAD src0_sel:WORD_0 src1_sel:DWORD
	v_or_b32_sdwa v46, v60, v64 dst_sel:DWORD dst_unused:UNUSED_PAD src0_sel:BYTE_0 src1_sel:DWORD
	v_or_b32_sdwa v45, v68, v45 dst_sel:WORD_1 dst_unused:UNUSED_PAD src0_sel:BYTE_0 src1_sel:DWORD
	v_or_b32_sdwa v45, v46, v45 dst_sel:DWORD dst_unused:UNUSED_PAD src0_sel:WORD_0 src1_sel:DWORD
	s_waitcnt lgkmcnt(0)
	; wave barrier
	ds_write_b64 v5, v[44:45]
	v_mov_b32_e32 v44, v37
	s_waitcnt lgkmcnt(0)
	; wave barrier
	s_and_saveexec_b64 s[12:13], s[10:11]
	s_cbranch_execz .LBB49_166
; %bb.163:                              ;   in Loop: Header=BB49_2 Depth=1
	s_mov_b64 s[14:15], 0
	v_mov_b32_e32 v44, v37
	v_mov_b32_e32 v45, v38
.LBB49_164:                             ;   Parent Loop BB49_2 Depth=1
                                        ; =>  This Inner Loop Header: Depth=2
	v_sub_u32_e32 v46, v45, v44
	v_lshrrev_b32_e32 v46, 1, v46
	v_add_u32_e32 v46, v46, v44
	v_xad_u32 v47, v46, -1, v39
	ds_read_i8 v48, v46
	ds_read_i8 v47, v47
	v_add_u32_e32 v49, 1, v46
	s_waitcnt lgkmcnt(0)
	v_cmp_lt_i16_e32 vcc, v47, v48
	v_cndmask_b32_e32 v45, v45, v46, vcc
	v_cndmask_b32_e32 v44, v49, v44, vcc
	v_cmp_ge_i32_e32 vcc, v44, v45
	s_or_b64 s[14:15], vcc, s[14:15]
	s_andn2_b64 exec, exec, s[14:15]
	s_cbranch_execnz .LBB49_164
; %bb.165:                              ;   in Loop: Header=BB49_2 Depth=1
	s_or_b64 exec, exec, s[14:15]
.LBB49_166:                             ;   in Loop: Header=BB49_2 Depth=1
	s_or_b64 exec, exec, s[12:13]
	v_sub_u32_e32 v45, v39, v44
	ds_read_u8 v46, v44
	ds_read_u8 v47, v45
	v_cmp_le_i32_e64 s[12:13], v36, v44
	v_cmp_gt_i32_e32 vcc, s33, v45
                                        ; implicit-def: $vgpr48
	s_waitcnt lgkmcnt(1)
	v_bfe_i32 v46, v46, 0, 8
	s_waitcnt lgkmcnt(0)
	v_bfe_i32 v47, v47, 0, 8
	v_cmp_lt_i16_e64 s[14:15], v47, v46
	s_or_b64 s[0:1], s[12:13], s[14:15]
	s_and_b64 vcc, vcc, s[0:1]
	s_xor_b64 s[0:1], vcc, -1
	s_and_saveexec_b64 s[12:13], s[0:1]
	s_xor_b64 s[12:13], exec, s[12:13]
; %bb.167:                              ;   in Loop: Header=BB49_2 Depth=1
	ds_read_u8 v48, v44 offset:1
; %bb.168:                              ;   in Loop: Header=BB49_2 Depth=1
	s_or_saveexec_b64 s[12:13], s[12:13]
	v_mov_b32_e32 v49, v47
	s_xor_b64 exec, exec, s[12:13]
	s_cbranch_execz .LBB49_170
; %bb.169:                              ;   in Loop: Header=BB49_2 Depth=1
	ds_read_u8 v49, v45 offset:1
	s_waitcnt lgkmcnt(1)
	v_mov_b32_e32 v48, v46
.LBB49_170:                             ;   in Loop: Header=BB49_2 Depth=1
	s_or_b64 exec, exec, s[12:13]
	v_add_u32_e32 v51, 1, v44
	v_add_u32_e32 v50, 1, v45
	v_cndmask_b32_e32 v51, v51, v44, vcc
	v_cndmask_b32_e32 v50, v45, v50, vcc
	v_cmp_ge_i32_e64 s[14:15], v51, v36
	s_waitcnt lgkmcnt(0)
	v_cmp_lt_i16_sdwa s[0:1], sext(v49), sext(v48) src0_sel:BYTE_0 src1_sel:BYTE_0
	v_cmp_gt_i32_e64 s[12:13], s33, v50
	s_or_b64 s[0:1], s[14:15], s[0:1]
	s_and_b64 s[12:13], s[12:13], s[0:1]
	s_xor_b64 s[0:1], s[12:13], -1
                                        ; implicit-def: $vgpr52
	s_and_saveexec_b64 s[14:15], s[0:1]
	s_xor_b64 s[14:15], exec, s[14:15]
; %bb.171:                              ;   in Loop: Header=BB49_2 Depth=1
	ds_read_u8 v52, v51 offset:1
; %bb.172:                              ;   in Loop: Header=BB49_2 Depth=1
	s_or_saveexec_b64 s[14:15], s[14:15]
	v_mov_b32_e32 v53, v49
	s_xor_b64 exec, exec, s[14:15]
	s_cbranch_execz .LBB49_174
; %bb.173:                              ;   in Loop: Header=BB49_2 Depth=1
	ds_read_u8 v53, v50 offset:1
	s_waitcnt lgkmcnt(1)
	v_mov_b32_e32 v52, v48
.LBB49_174:                             ;   in Loop: Header=BB49_2 Depth=1
	s_or_b64 exec, exec, s[14:15]
	v_add_u32_e32 v55, 1, v51
	v_add_u32_e32 v54, 1, v50
	v_cndmask_b32_e64 v55, v55, v51, s[12:13]
	v_cndmask_b32_e64 v54, v50, v54, s[12:13]
	v_cmp_ge_i32_e64 s[16:17], v55, v36
	s_waitcnt lgkmcnt(0)
	v_cmp_lt_i16_sdwa s[0:1], sext(v53), sext(v52) src0_sel:BYTE_0 src1_sel:BYTE_0
	v_cmp_gt_i32_e64 s[14:15], s33, v54
	s_or_b64 s[0:1], s[16:17], s[0:1]
	s_and_b64 s[14:15], s[14:15], s[0:1]
	s_xor_b64 s[0:1], s[14:15], -1
                                        ; implicit-def: $vgpr56
	s_and_saveexec_b64 s[16:17], s[0:1]
	s_xor_b64 s[16:17], exec, s[16:17]
; %bb.175:                              ;   in Loop: Header=BB49_2 Depth=1
	ds_read_u8 v56, v55 offset:1
; %bb.176:                              ;   in Loop: Header=BB49_2 Depth=1
	s_or_saveexec_b64 s[16:17], s[16:17]
	v_mov_b32_e32 v57, v53
	s_xor_b64 exec, exec, s[16:17]
	s_cbranch_execz .LBB49_178
; %bb.177:                              ;   in Loop: Header=BB49_2 Depth=1
	ds_read_u8 v57, v54 offset:1
	s_waitcnt lgkmcnt(1)
	v_mov_b32_e32 v56, v52
.LBB49_178:                             ;   in Loop: Header=BB49_2 Depth=1
	s_or_b64 exec, exec, s[16:17]
	v_add_u32_e32 v59, 1, v55
	v_add_u32_e32 v58, 1, v54
	v_cndmask_b32_e64 v59, v59, v55, s[14:15]
	v_cndmask_b32_e64 v58, v54, v58, s[14:15]
	v_cmp_ge_i32_e64 s[18:19], v59, v36
	s_waitcnt lgkmcnt(0)
	v_cmp_lt_i16_sdwa s[0:1], sext(v57), sext(v56) src0_sel:BYTE_0 src1_sel:BYTE_0
	v_cmp_gt_i32_e64 s[16:17], s33, v58
	s_or_b64 s[0:1], s[18:19], s[0:1]
	s_and_b64 s[16:17], s[16:17], s[0:1]
	s_xor_b64 s[0:1], s[16:17], -1
                                        ; implicit-def: $vgpr60
	s_and_saveexec_b64 s[18:19], s[0:1]
	s_xor_b64 s[18:19], exec, s[18:19]
; %bb.179:                              ;   in Loop: Header=BB49_2 Depth=1
	ds_read_u8 v60, v59 offset:1
; %bb.180:                              ;   in Loop: Header=BB49_2 Depth=1
	s_or_saveexec_b64 s[18:19], s[18:19]
	v_mov_b32_e32 v61, v57
	s_xor_b64 exec, exec, s[18:19]
	s_cbranch_execz .LBB49_182
; %bb.181:                              ;   in Loop: Header=BB49_2 Depth=1
	ds_read_u8 v61, v58 offset:1
	s_waitcnt lgkmcnt(1)
	v_mov_b32_e32 v60, v56
.LBB49_182:                             ;   in Loop: Header=BB49_2 Depth=1
	s_or_b64 exec, exec, s[18:19]
	v_add_u32_e32 v63, 1, v59
	v_add_u32_e32 v62, 1, v58
	v_cndmask_b32_e64 v63, v63, v59, s[16:17]
	v_cndmask_b32_e64 v62, v58, v62, s[16:17]
	v_cmp_ge_i32_e64 s[20:21], v63, v36
	s_waitcnt lgkmcnt(0)
	v_cmp_lt_i16_sdwa s[0:1], sext(v61), sext(v60) src0_sel:BYTE_0 src1_sel:BYTE_0
	v_cmp_gt_i32_e64 s[18:19], s33, v62
	s_or_b64 s[0:1], s[20:21], s[0:1]
	s_and_b64 s[18:19], s[18:19], s[0:1]
	s_xor_b64 s[0:1], s[18:19], -1
                                        ; implicit-def: $vgpr64
	s_and_saveexec_b64 s[20:21], s[0:1]
	s_xor_b64 s[20:21], exec, s[20:21]
; %bb.183:                              ;   in Loop: Header=BB49_2 Depth=1
	ds_read_u8 v64, v63 offset:1
; %bb.184:                              ;   in Loop: Header=BB49_2 Depth=1
	s_or_saveexec_b64 s[20:21], s[20:21]
	v_mov_b32_e32 v65, v61
	s_xor_b64 exec, exec, s[20:21]
	s_cbranch_execz .LBB49_186
; %bb.185:                              ;   in Loop: Header=BB49_2 Depth=1
	ds_read_u8 v65, v62 offset:1
	s_waitcnt lgkmcnt(1)
	v_mov_b32_e32 v64, v60
.LBB49_186:                             ;   in Loop: Header=BB49_2 Depth=1
	s_or_b64 exec, exec, s[20:21]
	v_add_u32_e32 v67, 1, v63
	v_add_u32_e32 v66, 1, v62
	v_cndmask_b32_e64 v67, v67, v63, s[18:19]
	v_cndmask_b32_e64 v66, v62, v66, s[18:19]
	v_cmp_ge_i32_e64 s[22:23], v67, v36
	s_waitcnt lgkmcnt(0)
	v_cmp_lt_i16_sdwa s[0:1], sext(v65), sext(v64) src0_sel:BYTE_0 src1_sel:BYTE_0
	v_cmp_gt_i32_e64 s[20:21], s33, v66
	s_or_b64 s[0:1], s[22:23], s[0:1]
	s_and_b64 s[20:21], s[20:21], s[0:1]
	s_xor_b64 s[0:1], s[20:21], -1
                                        ; implicit-def: $vgpr68
	s_and_saveexec_b64 s[22:23], s[0:1]
	s_xor_b64 s[22:23], exec, s[22:23]
; %bb.187:                              ;   in Loop: Header=BB49_2 Depth=1
	ds_read_u8 v68, v67 offset:1
; %bb.188:                              ;   in Loop: Header=BB49_2 Depth=1
	s_or_saveexec_b64 s[22:23], s[22:23]
	v_mov_b32_e32 v69, v65
	s_xor_b64 exec, exec, s[22:23]
	s_cbranch_execz .LBB49_190
; %bb.189:                              ;   in Loop: Header=BB49_2 Depth=1
	ds_read_u8 v69, v66 offset:1
	s_waitcnt lgkmcnt(1)
	v_mov_b32_e32 v68, v64
.LBB49_190:                             ;   in Loop: Header=BB49_2 Depth=1
	s_or_b64 exec, exec, s[22:23]
	v_add_u32_e32 v71, 1, v67
	v_add_u32_e32 v70, 1, v66
	v_cndmask_b32_e64 v74, v71, v67, s[20:21]
	v_cndmask_b32_e64 v70, v66, v70, s[20:21]
	v_cmp_ge_i32_e64 s[24:25], v74, v36
	s_waitcnt lgkmcnt(0)
	v_cmp_lt_i16_sdwa s[0:1], sext(v69), sext(v68) src0_sel:BYTE_0 src1_sel:BYTE_0
	v_cmp_gt_i32_e64 s[22:23], s33, v70
	s_or_b64 s[0:1], s[24:25], s[0:1]
	s_and_b64 s[22:23], s[22:23], s[0:1]
	s_xor_b64 s[0:1], s[22:23], -1
                                        ; implicit-def: $vgpr73
                                        ; implicit-def: $vgpr72
	s_and_saveexec_b64 s[24:25], s[0:1]
	s_xor_b64 s[24:25], exec, s[24:25]
; %bb.191:                              ;   in Loop: Header=BB49_2 Depth=1
	ds_read_u8 v73, v74 offset:1
	v_add_u32_e32 v72, 1, v74
; %bb.192:                              ;   in Loop: Header=BB49_2 Depth=1
	s_or_saveexec_b64 s[24:25], s[24:25]
	v_mov_b32_e32 v71, v74
	v_mov_b32_e32 v75, v69
	s_xor_b64 exec, exec, s[24:25]
	s_cbranch_execz .LBB49_1
; %bb.193:                              ;   in Loop: Header=BB49_2 Depth=1
	ds_read_u8 v75, v70 offset:1
	s_waitcnt lgkmcnt(1)
	v_add_u32_e32 v73, 1, v70
	v_mov_b32_e32 v71, v70
	v_mov_b32_e32 v72, v74
	;; [unrolled: 1-line block ×4, first 2 shown]
	s_branch .LBB49_1
.LBB49_194:
	v_readlane_b32 s0, v76, 1
	v_readlane_b32 s2, v76, 3
	;; [unrolled: 1-line block ×5, first 2 shown]
	s_add_u32 s0, s2, s0
	s_addc_u32 s1, s3, 0
	v_mov_b32_e32 v1, s1
	v_add_co_u32_e32 v0, vcc, s0, v0
	v_add_u16_e32 v2, v46, v40
	v_addc_co_u32_e32 v1, vcc, 0, v1, vcc
	v_add_u16_e32 v3, v47, v43
	v_add_u16_e32 v4, v48, v45
	v_add_u16_e32 v5, v49, v50
	v_add_u16_e32 v6, v52, v51
	v_add_u16_e32 v7, v53, v54
	v_add_u16_e32 v8, v56, v41
	v_add_u16_e32 v9, v44, v42
	global_store_byte v[0:1], v2, off
	global_store_byte v[0:1], v3, off offset:64
	global_store_byte v[0:1], v4, off offset:128
	;; [unrolled: 1-line block ×7, first 2 shown]
	s_endpgm
	.section	.rodata,"a",@progbits
	.p2align	6, 0x0
	.amdhsa_kernel _Z17sort_pairs_kernelIaLj64ELj8EN10test_utils4lessELj10EEvPKT_PS2_T2_
		.amdhsa_group_segment_fixed_size 513
		.amdhsa_private_segment_fixed_size 0
		.amdhsa_kernarg_size 20
		.amdhsa_user_sgpr_count 6
		.amdhsa_user_sgpr_private_segment_buffer 1
		.amdhsa_user_sgpr_dispatch_ptr 0
		.amdhsa_user_sgpr_queue_ptr 0
		.amdhsa_user_sgpr_kernarg_segment_ptr 1
		.amdhsa_user_sgpr_dispatch_id 0
		.amdhsa_user_sgpr_flat_scratch_init 0
		.amdhsa_user_sgpr_private_segment_size 0
		.amdhsa_uses_dynamic_stack 0
		.amdhsa_system_sgpr_private_segment_wavefront_offset 0
		.amdhsa_system_sgpr_workgroup_id_x 1
		.amdhsa_system_sgpr_workgroup_id_y 0
		.amdhsa_system_sgpr_workgroup_id_z 0
		.amdhsa_system_sgpr_workgroup_info 0
		.amdhsa_system_vgpr_workitem_id 0
		.amdhsa_next_free_vgpr 77
		.amdhsa_next_free_sgpr 96
		.amdhsa_reserve_vcc 1
		.amdhsa_reserve_flat_scratch 0
		.amdhsa_float_round_mode_32 0
		.amdhsa_float_round_mode_16_64 0
		.amdhsa_float_denorm_mode_32 3
		.amdhsa_float_denorm_mode_16_64 3
		.amdhsa_dx10_clamp 1
		.amdhsa_ieee_mode 1
		.amdhsa_fp16_overflow 0
		.amdhsa_exception_fp_ieee_invalid_op 0
		.amdhsa_exception_fp_denorm_src 0
		.amdhsa_exception_fp_ieee_div_zero 0
		.amdhsa_exception_fp_ieee_overflow 0
		.amdhsa_exception_fp_ieee_underflow 0
		.amdhsa_exception_fp_ieee_inexact 0
		.amdhsa_exception_int_div_zero 0
	.end_amdhsa_kernel
	.section	.text._Z17sort_pairs_kernelIaLj64ELj8EN10test_utils4lessELj10EEvPKT_PS2_T2_,"axG",@progbits,_Z17sort_pairs_kernelIaLj64ELj8EN10test_utils4lessELj10EEvPKT_PS2_T2_,comdat
.Lfunc_end49:
	.size	_Z17sort_pairs_kernelIaLj64ELj8EN10test_utils4lessELj10EEvPKT_PS2_T2_, .Lfunc_end49-_Z17sort_pairs_kernelIaLj64ELj8EN10test_utils4lessELj10EEvPKT_PS2_T2_
                                        ; -- End function
	.set _Z17sort_pairs_kernelIaLj64ELj8EN10test_utils4lessELj10EEvPKT_PS2_T2_.num_vgpr, 77
	.set _Z17sort_pairs_kernelIaLj64ELj8EN10test_utils4lessELj10EEvPKT_PS2_T2_.num_agpr, 0
	.set _Z17sort_pairs_kernelIaLj64ELj8EN10test_utils4lessELj10EEvPKT_PS2_T2_.numbered_sgpr, 96
	.set _Z17sort_pairs_kernelIaLj64ELj8EN10test_utils4lessELj10EEvPKT_PS2_T2_.num_named_barrier, 0
	.set _Z17sort_pairs_kernelIaLj64ELj8EN10test_utils4lessELj10EEvPKT_PS2_T2_.private_seg_size, 0
	.set _Z17sort_pairs_kernelIaLj64ELj8EN10test_utils4lessELj10EEvPKT_PS2_T2_.uses_vcc, 1
	.set _Z17sort_pairs_kernelIaLj64ELj8EN10test_utils4lessELj10EEvPKT_PS2_T2_.uses_flat_scratch, 0
	.set _Z17sort_pairs_kernelIaLj64ELj8EN10test_utils4lessELj10EEvPKT_PS2_T2_.has_dyn_sized_stack, 0
	.set _Z17sort_pairs_kernelIaLj64ELj8EN10test_utils4lessELj10EEvPKT_PS2_T2_.has_recursion, 0
	.set _Z17sort_pairs_kernelIaLj64ELj8EN10test_utils4lessELj10EEvPKT_PS2_T2_.has_indirect_call, 0
	.section	.AMDGPU.csdata,"",@progbits
; Kernel info:
; codeLenInByte = 10460
; TotalNumSgprs: 100
; NumVgprs: 77
; ScratchSize: 0
; MemoryBound: 0
; FloatMode: 240
; IeeeMode: 1
; LDSByteSize: 513 bytes/workgroup (compile time only)
; SGPRBlocks: 12
; VGPRBlocks: 19
; NumSGPRsForWavesPerEU: 100
; NumVGPRsForWavesPerEU: 77
; Occupancy: 3
; WaveLimiterHint : 0
; COMPUTE_PGM_RSRC2:SCRATCH_EN: 0
; COMPUTE_PGM_RSRC2:USER_SGPR: 6
; COMPUTE_PGM_RSRC2:TRAP_HANDLER: 0
; COMPUTE_PGM_RSRC2:TGID_X_EN: 1
; COMPUTE_PGM_RSRC2:TGID_Y_EN: 0
; COMPUTE_PGM_RSRC2:TGID_Z_EN: 0
; COMPUTE_PGM_RSRC2:TIDIG_COMP_CNT: 0
	.section	.text._Z16sort_keys_kernelIaLj128ELj1EN10test_utils4lessELj10EEvPKT_PS2_T2_,"axG",@progbits,_Z16sort_keys_kernelIaLj128ELj1EN10test_utils4lessELj10EEvPKT_PS2_T2_,comdat
	.protected	_Z16sort_keys_kernelIaLj128ELj1EN10test_utils4lessELj10EEvPKT_PS2_T2_ ; -- Begin function _Z16sort_keys_kernelIaLj128ELj1EN10test_utils4lessELj10EEvPKT_PS2_T2_
	.globl	_Z16sort_keys_kernelIaLj128ELj1EN10test_utils4lessELj10EEvPKT_PS2_T2_
	.p2align	8
	.type	_Z16sort_keys_kernelIaLj128ELj1EN10test_utils4lessELj10EEvPKT_PS2_T2_,@function
_Z16sort_keys_kernelIaLj128ELj1EN10test_utils4lessELj10EEvPKT_PS2_T2_: ; @_Z16sort_keys_kernelIaLj128ELj1EN10test_utils4lessELj10EEvPKT_PS2_T2_
; %bb.0:
	s_load_dwordx4 s[16:19], s[4:5], 0x0
	s_lshl_b32 s20, s6, 7
	v_and_b32_e32 v1, 0x7c, v0
	v_and_b32_e32 v3, 0x78, v0
	;; [unrolled: 1-line block ×3, first 2 shown]
	s_waitcnt lgkmcnt(0)
	s_add_u32 s0, s16, s20
	s_addc_u32 s1, s17, 0
	global_load_ubyte v40, v0, s[0:1]
	v_and_b32_e32 v7, 0x60, v0
	v_and_b32_e32 v9, 64, v0
	v_or_b32_e32 v19, 2, v1
	v_add_u32_e32 v2, 4, v1
	v_or_b32_e32 v23, 4, v3
	v_add_u32_e32 v4, 8, v3
	;; [unrolled: 2-line block ×5, first 2 shown]
	v_and_b32_e32 v20, 3, v0
	v_sub_u32_e32 v17, v2, v19
	v_and_b32_e32 v24, 7, v0
	v_sub_u32_e32 v21, v4, v23
	;; [unrolled: 2-line block ×6, first 2 shown]
	v_sub_u32_e32 v22, v24, v21
	v_sub_u32_e32 v26, v28, v25
	;; [unrolled: 1-line block ×4, first 2 shown]
	v_and_b32_e32 v16, 1, v0
	v_or_b32_e32 v13, 1, v12
	v_cmp_ge_i32_e64 s[0:1], v20, v17
	v_cmp_ge_i32_e64 s[2:3], v24, v21
	;; [unrolled: 1-line block ×5, first 2 shown]
	v_add_u32_e32 v11, -1, v16
	v_cmp_lt_i32_e32 vcc, 0, v16
	v_sub_u32_e32 v14, v13, v12
	v_cndmask_b32_e64 v17, 0, v18, s[0:1]
	v_sub_u32_e32 v18, v19, v1
	v_cndmask_b32_e64 v21, 0, v22, s[2:3]
	;; [unrolled: 2-line block ×5, first 2 shown]
	v_sub_u32_e32 v34, v35, v9
	v_cndmask_b32_e32 v11, 0, v11, vcc
	v_min_i32_e32 v15, v16, v14
	v_add_u32_e32 v19, v19, v20
	v_min_i32_e32 v20, v20, v18
	v_add_u32_e32 v23, v23, v24
	;; [unrolled: 2-line block ×5, first 2 shown]
	v_min_i32_e32 v36, v36, v34
	v_sub_u32_e64 v37, v0, 64 clamp
	v_min_i32_e32 v38, 64, v0
	s_mov_b32 s21, 0
	v_cmp_lt_i32_e32 vcc, v11, v15
	v_add_u32_e32 v16, v13, v16
	v_cmp_lt_i32_e64 s[0:1], v17, v20
	v_cmp_lt_i32_e64 s[2:3], v21, v24
	;; [unrolled: 1-line block ×6, first 2 shown]
	s_movk_i32 s22, 0x80
	v_add_u32_e32 v39, 64, v0
	s_branch .LBB50_2
.LBB50_1:                               ;   in Loop: Header=BB50_2 Depth=1
	s_or_b64 exec, exec, s[14:15]
	v_sub_u32_e32 v41, v39, v40
	ds_read_u8 v42, v40
	ds_read_u8 v43, v41
	v_cmp_le_i32_e64 s[12:13], 64, v40
	v_cmp_gt_i32_e64 s[14:15], s22, v41
	s_add_i32 s21, s21, 1
	s_waitcnt lgkmcnt(0)
	v_cmp_lt_i16_sdwa s[16:17], sext(v43), sext(v42) src0_sel:BYTE_0 src1_sel:BYTE_0
	s_or_b64 s[12:13], s[12:13], s[16:17]
	s_and_b64 s[12:13], s[14:15], s[12:13]
	s_cmp_eq_u32 s21, 10
	v_cndmask_b32_e64 v40, v42, v43, s[12:13]
	s_cbranch_scc1 .LBB50_30
.LBB50_2:                               ; =>This Loop Header: Depth=1
                                        ;     Child Loop BB50_4 Depth 2
                                        ;     Child Loop BB50_8 Depth 2
	;; [unrolled: 1-line block ×7, first 2 shown]
	s_waitcnt vmcnt(0)
	s_barrier
	ds_write_b8 v0, v40
	v_mov_b32_e32 v40, v11
	s_waitcnt lgkmcnt(0)
	s_barrier
	s_and_saveexec_b64 s[14:15], vcc
	s_cbranch_execz .LBB50_6
; %bb.3:                                ;   in Loop: Header=BB50_2 Depth=1
	s_mov_b64 s[16:17], 0
	v_mov_b32_e32 v40, v11
	v_mov_b32_e32 v41, v15
.LBB50_4:                               ;   Parent Loop BB50_2 Depth=1
                                        ; =>  This Inner Loop Header: Depth=2
	v_sub_u32_e32 v42, v41, v40
	v_lshrrev_b32_e32 v42, 1, v42
	v_add_u32_e32 v42, v42, v40
	v_add_u32_e32 v43, v12, v42
	v_xad_u32 v44, v42, -1, v16
	ds_read_i8 v43, v43
	ds_read_i8 v44, v44
	v_add_u32_e32 v45, 1, v42
	s_waitcnt lgkmcnt(0)
	v_cmp_lt_i16_e64 s[12:13], v44, v43
	v_cndmask_b32_e64 v41, v41, v42, s[12:13]
	v_cndmask_b32_e64 v40, v45, v40, s[12:13]
	v_cmp_ge_i32_e64 s[12:13], v40, v41
	s_or_b64 s[16:17], s[12:13], s[16:17]
	s_andn2_b64 exec, exec, s[16:17]
	s_cbranch_execnz .LBB50_4
; %bb.5:                                ;   in Loop: Header=BB50_2 Depth=1
	s_or_b64 exec, exec, s[16:17]
.LBB50_6:                               ;   in Loop: Header=BB50_2 Depth=1
	s_or_b64 exec, exec, s[14:15]
	v_add_u32_e32 v42, v12, v40
	v_sub_u32_e32 v41, v16, v40
	ds_read_u8 v42, v42
	ds_read_u8 v43, v41
	v_cmp_ge_i32_e64 s[12:13], v40, v14
	v_cmp_ge_i32_e64 s[14:15], v13, v41
	s_waitcnt lgkmcnt(0)
	s_barrier
	v_cmp_lt_i16_sdwa s[16:17], sext(v43), sext(v42) src0_sel:BYTE_0 src1_sel:BYTE_0
	s_or_b64 s[12:13], s[12:13], s[16:17]
	s_and_b64 s[12:13], s[14:15], s[12:13]
	v_cndmask_b32_e64 v40, v42, v43, s[12:13]
	ds_write_b8 v0, v40
	v_mov_b32_e32 v40, v17
	s_waitcnt lgkmcnt(0)
	s_barrier
	s_and_saveexec_b64 s[14:15], s[0:1]
	s_cbranch_execz .LBB50_10
; %bb.7:                                ;   in Loop: Header=BB50_2 Depth=1
	s_mov_b64 s[16:17], 0
	v_mov_b32_e32 v40, v17
	v_mov_b32_e32 v41, v20
.LBB50_8:                               ;   Parent Loop BB50_2 Depth=1
                                        ; =>  This Inner Loop Header: Depth=2
	v_sub_u32_e32 v42, v41, v40
	v_lshrrev_b32_e32 v42, 1, v42
	v_add_u32_e32 v42, v42, v40
	v_add_u32_e32 v43, v1, v42
	v_xad_u32 v44, v42, -1, v19
	ds_read_i8 v43, v43
	ds_read_i8 v44, v44
	v_add_u32_e32 v45, 1, v42
	s_waitcnt lgkmcnt(0)
	v_cmp_lt_i16_e64 s[12:13], v44, v43
	v_cndmask_b32_e64 v41, v41, v42, s[12:13]
	v_cndmask_b32_e64 v40, v45, v40, s[12:13]
	v_cmp_ge_i32_e64 s[12:13], v40, v41
	s_or_b64 s[16:17], s[12:13], s[16:17]
	s_andn2_b64 exec, exec, s[16:17]
	s_cbranch_execnz .LBB50_8
; %bb.9:                                ;   in Loop: Header=BB50_2 Depth=1
	s_or_b64 exec, exec, s[16:17]
.LBB50_10:                              ;   in Loop: Header=BB50_2 Depth=1
	s_or_b64 exec, exec, s[14:15]
	v_add_u32_e32 v42, v1, v40
	v_sub_u32_e32 v41, v19, v40
	ds_read_u8 v42, v42
	ds_read_u8 v43, v41
	v_cmp_ge_i32_e64 s[12:13], v40, v18
	v_cmp_gt_i32_e64 s[14:15], v2, v41
	s_waitcnt lgkmcnt(0)
	s_barrier
	v_cmp_lt_i16_sdwa s[16:17], sext(v43), sext(v42) src0_sel:BYTE_0 src1_sel:BYTE_0
	s_or_b64 s[12:13], s[12:13], s[16:17]
	s_and_b64 s[12:13], s[14:15], s[12:13]
	v_cndmask_b32_e64 v40, v42, v43, s[12:13]
	ds_write_b8 v0, v40
	v_mov_b32_e32 v40, v21
	s_waitcnt lgkmcnt(0)
	s_barrier
	s_and_saveexec_b64 s[14:15], s[2:3]
	s_cbranch_execz .LBB50_14
; %bb.11:                               ;   in Loop: Header=BB50_2 Depth=1
	s_mov_b64 s[16:17], 0
	v_mov_b32_e32 v40, v21
	v_mov_b32_e32 v41, v24
.LBB50_12:                              ;   Parent Loop BB50_2 Depth=1
                                        ; =>  This Inner Loop Header: Depth=2
	v_sub_u32_e32 v42, v41, v40
	v_lshrrev_b32_e32 v42, 1, v42
	v_add_u32_e32 v42, v42, v40
	v_add_u32_e32 v43, v3, v42
	v_xad_u32 v44, v42, -1, v23
	ds_read_i8 v43, v43
	ds_read_i8 v44, v44
	v_add_u32_e32 v45, 1, v42
	s_waitcnt lgkmcnt(0)
	v_cmp_lt_i16_e64 s[12:13], v44, v43
	v_cndmask_b32_e64 v41, v41, v42, s[12:13]
	v_cndmask_b32_e64 v40, v45, v40, s[12:13]
	v_cmp_ge_i32_e64 s[12:13], v40, v41
	s_or_b64 s[16:17], s[12:13], s[16:17]
	s_andn2_b64 exec, exec, s[16:17]
	s_cbranch_execnz .LBB50_12
; %bb.13:                               ;   in Loop: Header=BB50_2 Depth=1
	s_or_b64 exec, exec, s[16:17]
.LBB50_14:                              ;   in Loop: Header=BB50_2 Depth=1
	s_or_b64 exec, exec, s[14:15]
	v_add_u32_e32 v42, v3, v40
	v_sub_u32_e32 v41, v23, v40
	ds_read_u8 v42, v42
	ds_read_u8 v43, v41
	v_cmp_ge_i32_e64 s[12:13], v40, v22
	v_cmp_gt_i32_e64 s[14:15], v4, v41
	s_waitcnt lgkmcnt(0)
	s_barrier
	v_cmp_lt_i16_sdwa s[16:17], sext(v43), sext(v42) src0_sel:BYTE_0 src1_sel:BYTE_0
	s_or_b64 s[12:13], s[12:13], s[16:17]
	s_and_b64 s[12:13], s[14:15], s[12:13]
	v_cndmask_b32_e64 v40, v42, v43, s[12:13]
	ds_write_b8 v0, v40
	v_mov_b32_e32 v40, v25
	s_waitcnt lgkmcnt(0)
	s_barrier
	s_and_saveexec_b64 s[14:15], s[4:5]
	s_cbranch_execz .LBB50_18
; %bb.15:                               ;   in Loop: Header=BB50_2 Depth=1
	s_mov_b64 s[16:17], 0
	v_mov_b32_e32 v40, v25
	v_mov_b32_e32 v41, v28
.LBB50_16:                              ;   Parent Loop BB50_2 Depth=1
                                        ; =>  This Inner Loop Header: Depth=2
	v_sub_u32_e32 v42, v41, v40
	v_lshrrev_b32_e32 v42, 1, v42
	v_add_u32_e32 v42, v42, v40
	v_add_u32_e32 v43, v5, v42
	v_xad_u32 v44, v42, -1, v27
	ds_read_i8 v43, v43
	ds_read_i8 v44, v44
	v_add_u32_e32 v45, 1, v42
	s_waitcnt lgkmcnt(0)
	v_cmp_lt_i16_e64 s[12:13], v44, v43
	v_cndmask_b32_e64 v41, v41, v42, s[12:13]
	v_cndmask_b32_e64 v40, v45, v40, s[12:13]
	v_cmp_ge_i32_e64 s[12:13], v40, v41
	s_or_b64 s[16:17], s[12:13], s[16:17]
	s_andn2_b64 exec, exec, s[16:17]
	s_cbranch_execnz .LBB50_16
; %bb.17:                               ;   in Loop: Header=BB50_2 Depth=1
	s_or_b64 exec, exec, s[16:17]
.LBB50_18:                              ;   in Loop: Header=BB50_2 Depth=1
	;; [unrolled: 44-line block ×4, first 2 shown]
	s_or_b64 exec, exec, s[14:15]
	v_add_u32_e32 v42, v9, v40
	v_sub_u32_e32 v41, v35, v40
	ds_read_u8 v42, v42
	ds_read_u8 v43, v41
	v_cmp_ge_i32_e64 s[12:13], v40, v34
	v_cmp_gt_i32_e64 s[14:15], v10, v41
	s_waitcnt lgkmcnt(0)
	s_barrier
	v_cmp_lt_i16_sdwa s[16:17], sext(v43), sext(v42) src0_sel:BYTE_0 src1_sel:BYTE_0
	s_or_b64 s[12:13], s[12:13], s[16:17]
	s_and_b64 s[12:13], s[14:15], s[12:13]
	v_cndmask_b32_e64 v40, v42, v43, s[12:13]
	ds_write_b8 v0, v40
	v_mov_b32_e32 v40, v37
	s_waitcnt lgkmcnt(0)
	s_barrier
	s_and_saveexec_b64 s[14:15], s[10:11]
	s_cbranch_execz .LBB50_1
; %bb.27:                               ;   in Loop: Header=BB50_2 Depth=1
	s_mov_b64 s[16:17], 0
	v_mov_b32_e32 v40, v37
	v_mov_b32_e32 v41, v38
.LBB50_28:                              ;   Parent Loop BB50_2 Depth=1
                                        ; =>  This Inner Loop Header: Depth=2
	v_sub_u32_e32 v42, v41, v40
	v_lshrrev_b32_e32 v42, 1, v42
	v_add_u32_e32 v42, v42, v40
	v_xad_u32 v43, v42, -1, v39
	ds_read_i8 v44, v42
	ds_read_i8 v43, v43
	v_add_u32_e32 v45, 1, v42
	s_waitcnt lgkmcnt(0)
	v_cmp_lt_i16_e64 s[12:13], v43, v44
	v_cndmask_b32_e64 v41, v41, v42, s[12:13]
	v_cndmask_b32_e64 v40, v45, v40, s[12:13]
	v_cmp_ge_i32_e64 s[12:13], v40, v41
	s_or_b64 s[16:17], s[12:13], s[16:17]
	s_andn2_b64 exec, exec, s[16:17]
	s_cbranch_execnz .LBB50_28
; %bb.29:                               ;   in Loop: Header=BB50_2 Depth=1
	s_or_b64 exec, exec, s[16:17]
	s_branch .LBB50_1
.LBB50_30:
	s_add_u32 s0, s18, s20
	s_addc_u32 s1, s19, 0
	v_mov_b32_e32 v1, s1
	v_add_co_u32_e32 v0, vcc, s0, v0
	v_addc_co_u32_e32 v1, vcc, 0, v1, vcc
	global_store_byte v[0:1], v40, off
	s_endpgm
	.section	.rodata,"a",@progbits
	.p2align	6, 0x0
	.amdhsa_kernel _Z16sort_keys_kernelIaLj128ELj1EN10test_utils4lessELj10EEvPKT_PS2_T2_
		.amdhsa_group_segment_fixed_size 129
		.amdhsa_private_segment_fixed_size 0
		.amdhsa_kernarg_size 20
		.amdhsa_user_sgpr_count 6
		.amdhsa_user_sgpr_private_segment_buffer 1
		.amdhsa_user_sgpr_dispatch_ptr 0
		.amdhsa_user_sgpr_queue_ptr 0
		.amdhsa_user_sgpr_kernarg_segment_ptr 1
		.amdhsa_user_sgpr_dispatch_id 0
		.amdhsa_user_sgpr_flat_scratch_init 0
		.amdhsa_user_sgpr_private_segment_size 0
		.amdhsa_uses_dynamic_stack 0
		.amdhsa_system_sgpr_private_segment_wavefront_offset 0
		.amdhsa_system_sgpr_workgroup_id_x 1
		.amdhsa_system_sgpr_workgroup_id_y 0
		.amdhsa_system_sgpr_workgroup_id_z 0
		.amdhsa_system_sgpr_workgroup_info 0
		.amdhsa_system_vgpr_workitem_id 0
		.amdhsa_next_free_vgpr 46
		.amdhsa_next_free_sgpr 23
		.amdhsa_reserve_vcc 1
		.amdhsa_reserve_flat_scratch 0
		.amdhsa_float_round_mode_32 0
		.amdhsa_float_round_mode_16_64 0
		.amdhsa_float_denorm_mode_32 3
		.amdhsa_float_denorm_mode_16_64 3
		.amdhsa_dx10_clamp 1
		.amdhsa_ieee_mode 1
		.amdhsa_fp16_overflow 0
		.amdhsa_exception_fp_ieee_invalid_op 0
		.amdhsa_exception_fp_denorm_src 0
		.amdhsa_exception_fp_ieee_div_zero 0
		.amdhsa_exception_fp_ieee_overflow 0
		.amdhsa_exception_fp_ieee_underflow 0
		.amdhsa_exception_fp_ieee_inexact 0
		.amdhsa_exception_int_div_zero 0
	.end_amdhsa_kernel
	.section	.text._Z16sort_keys_kernelIaLj128ELj1EN10test_utils4lessELj10EEvPKT_PS2_T2_,"axG",@progbits,_Z16sort_keys_kernelIaLj128ELj1EN10test_utils4lessELj10EEvPKT_PS2_T2_,comdat
.Lfunc_end50:
	.size	_Z16sort_keys_kernelIaLj128ELj1EN10test_utils4lessELj10EEvPKT_PS2_T2_, .Lfunc_end50-_Z16sort_keys_kernelIaLj128ELj1EN10test_utils4lessELj10EEvPKT_PS2_T2_
                                        ; -- End function
	.set _Z16sort_keys_kernelIaLj128ELj1EN10test_utils4lessELj10EEvPKT_PS2_T2_.num_vgpr, 46
	.set _Z16sort_keys_kernelIaLj128ELj1EN10test_utils4lessELj10EEvPKT_PS2_T2_.num_agpr, 0
	.set _Z16sort_keys_kernelIaLj128ELj1EN10test_utils4lessELj10EEvPKT_PS2_T2_.numbered_sgpr, 23
	.set _Z16sort_keys_kernelIaLj128ELj1EN10test_utils4lessELj10EEvPKT_PS2_T2_.num_named_barrier, 0
	.set _Z16sort_keys_kernelIaLj128ELj1EN10test_utils4lessELj10EEvPKT_PS2_T2_.private_seg_size, 0
	.set _Z16sort_keys_kernelIaLj128ELj1EN10test_utils4lessELj10EEvPKT_PS2_T2_.uses_vcc, 1
	.set _Z16sort_keys_kernelIaLj128ELj1EN10test_utils4lessELj10EEvPKT_PS2_T2_.uses_flat_scratch, 0
	.set _Z16sort_keys_kernelIaLj128ELj1EN10test_utils4lessELj10EEvPKT_PS2_T2_.has_dyn_sized_stack, 0
	.set _Z16sort_keys_kernelIaLj128ELj1EN10test_utils4lessELj10EEvPKT_PS2_T2_.has_recursion, 0
	.set _Z16sort_keys_kernelIaLj128ELj1EN10test_utils4lessELj10EEvPKT_PS2_T2_.has_indirect_call, 0
	.section	.AMDGPU.csdata,"",@progbits
; Kernel info:
; codeLenInByte = 1956
; TotalNumSgprs: 27
; NumVgprs: 46
; ScratchSize: 0
; MemoryBound: 0
; FloatMode: 240
; IeeeMode: 1
; LDSByteSize: 129 bytes/workgroup (compile time only)
; SGPRBlocks: 3
; VGPRBlocks: 11
; NumSGPRsForWavesPerEU: 27
; NumVGPRsForWavesPerEU: 46
; Occupancy: 5
; WaveLimiterHint : 0
; COMPUTE_PGM_RSRC2:SCRATCH_EN: 0
; COMPUTE_PGM_RSRC2:USER_SGPR: 6
; COMPUTE_PGM_RSRC2:TRAP_HANDLER: 0
; COMPUTE_PGM_RSRC2:TGID_X_EN: 1
; COMPUTE_PGM_RSRC2:TGID_Y_EN: 0
; COMPUTE_PGM_RSRC2:TGID_Z_EN: 0
; COMPUTE_PGM_RSRC2:TIDIG_COMP_CNT: 0
	.section	.text._Z17sort_pairs_kernelIaLj128ELj1EN10test_utils4lessELj10EEvPKT_PS2_T2_,"axG",@progbits,_Z17sort_pairs_kernelIaLj128ELj1EN10test_utils4lessELj10EEvPKT_PS2_T2_,comdat
	.protected	_Z17sort_pairs_kernelIaLj128ELj1EN10test_utils4lessELj10EEvPKT_PS2_T2_ ; -- Begin function _Z17sort_pairs_kernelIaLj128ELj1EN10test_utils4lessELj10EEvPKT_PS2_T2_
	.globl	_Z17sort_pairs_kernelIaLj128ELj1EN10test_utils4lessELj10EEvPKT_PS2_T2_
	.p2align	8
	.type	_Z17sort_pairs_kernelIaLj128ELj1EN10test_utils4lessELj10EEvPKT_PS2_T2_,@function
_Z17sort_pairs_kernelIaLj128ELj1EN10test_utils4lessELj10EEvPKT_PS2_T2_: ; @_Z17sort_pairs_kernelIaLj128ELj1EN10test_utils4lessELj10EEvPKT_PS2_T2_
; %bb.0:
	s_load_dwordx4 s[16:19], s[4:5], 0x0
	s_lshl_b32 s20, s6, 7
	v_and_b32_e32 v1, 0x7c, v0
	v_and_b32_e32 v4, 0x60, v0
	;; [unrolled: 1-line block ×3, first 2 shown]
	s_waitcnt lgkmcnt(0)
	s_add_u32 s0, s16, s20
	s_addc_u32 s1, s17, 0
	global_load_ubyte v39, v0, s[0:1]
	v_or_b32_e32 v9, 2, v1
	v_add_u32_e32 v10, 4, v1
	v_and_b32_e32 v28, 3, v0
	v_and_b32_e32 v2, 0x78, v0
	;; [unrolled: 1-line block ×4, first 2 shown]
	v_or_b32_e32 v15, 16, v4
	v_add_u32_e32 v16, 32, v4
	v_or_b32_e32 v19, 1, v6
	v_sub_u32_e32 v27, v10, v9
	v_and_b32_e32 v36, 31, v0
	v_and_b32_e32 v26, 1, v0
	v_or_b32_e32 v11, 4, v2
	v_add_u32_e32 v12, 8, v2
	v_or_b32_e32 v13, 8, v3
	v_add_u32_e32 v14, 16, v3
	;; [unrolled: 2-line block ×3, first 2 shown]
	v_sub_u32_e32 v38, v16, v15
	v_sub_u32_e32 v33, v19, v6
	;; [unrolled: 1-line block ×3, first 2 shown]
	v_cmp_ge_i32_e64 s[2:3], v28, v27
	v_and_b32_e32 v29, 7, v0
	v_and_b32_e32 v30, 15, v0
	;; [unrolled: 1-line block ×3, first 2 shown]
	v_add_u32_e32 v20, -1, v26
	v_sub_u32_e32 v31, v12, v11
	v_sub_u32_e32 v32, v14, v13
	;; [unrolled: 1-line block ×3, first 2 shown]
	v_cmp_lt_i32_e64 s[0:1], 0, v26
	v_add_u32_e32 v21, v19, v26
	v_sub_u32_e32 v42, v15, v4
	v_min_i32_e32 v26, v26, v33
	v_sub_u32_e32 v46, v36, v38
	v_cndmask_b32_e64 v33, 0, v43, s[2:3]
	v_cmp_ge_i32_e64 s[2:3], v36, v38
	v_sub_u32_e32 v34, v9, v1
	v_sub_u32_e32 v35, v11, v2
	;; [unrolled: 1-line block ×3, first 2 shown]
	v_add_u32_e32 v25, v15, v36
	v_sub_u32_e32 v44, v29, v31
	v_cmp_ge_i32_e64 s[4:5], v29, v31
	v_sub_u32_e32 v45, v30, v32
	v_cmp_ge_i32_e64 s[6:7], v30, v32
	v_sub_u32_e32 v32, v17, v5
	v_sub_u32_e32 v47, v37, v40
	v_min_i32_e32 v31, v36, v42
	v_cndmask_b32_e64 v36, 0, v46, s[2:3]
	v_cmp_ge_i32_e64 s[2:3], v37, v40
	v_sub_u32_e64 v7, v0, 64 clamp
	v_min_i32_e32 v8, 64, v0
	v_cndmask_b32_e64 v20, 0, v20, s[0:1]
	v_add_u32_e32 v22, v9, v28
	v_add_u32_e32 v23, v11, v29
	;; [unrolled: 1-line block ×4, first 2 shown]
	v_min_i32_e32 v28, v28, v34
	v_min_i32_e32 v29, v29, v35
	;; [unrolled: 1-line block ×4, first 2 shown]
	v_cndmask_b32_e64 v34, 0, v44, s[4:5]
	v_cndmask_b32_e64 v35, 0, v45, s[6:7]
	;; [unrolled: 1-line block ×3, first 2 shown]
	s_mov_b32 s21, 0
	s_movk_i32 s22, 0x80
	v_cmp_lt_i32_e32 vcc, v7, v8
	v_cmp_lt_i32_e64 s[0:1], v20, v26
	v_cmp_lt_i32_e64 s[2:3], v33, v28
	;; [unrolled: 1-line block ×6, first 2 shown]
	v_add_u32_e32 v38, 64, v0
	s_waitcnt vmcnt(0)
	v_add_u16_e32 v40, 1, v39
	s_branch .LBB51_2
.LBB51_1:                               ;   in Loop: Header=BB51_2 Depth=1
	s_or_b64 exec, exec, s[14:15]
	v_sub_u32_e32 v42, v38, v41
	ds_read_u8 v39, v41
	ds_read_u8 v43, v42
	v_cmp_le_i32_e64 s[12:13], 64, v41
	v_cmp_gt_i32_e64 s[14:15], s22, v42
	s_waitcnt lgkmcnt(0)
	s_barrier
	v_cmp_lt_i16_sdwa s[16:17], sext(v43), sext(v39) src0_sel:BYTE_0 src1_sel:BYTE_0
	s_or_b64 s[12:13], s[12:13], s[16:17]
	s_and_b64 s[12:13], s[14:15], s[12:13]
	v_cndmask_b32_e64 v41, v41, v42, s[12:13]
	ds_write_b8 v0, v40
	s_waitcnt lgkmcnt(0)
	s_barrier
	ds_read_u8 v40, v41
	s_add_i32 s21, s21, 1
	v_cndmask_b32_e64 v39, v39, v43, s[12:13]
	s_cmp_eq_u32 s21, 10
	s_cbranch_scc1 .LBB51_30
.LBB51_2:                               ; =>This Loop Header: Depth=1
                                        ;     Child Loop BB51_4 Depth 2
                                        ;     Child Loop BB51_8 Depth 2
	;; [unrolled: 1-line block ×7, first 2 shown]
	s_waitcnt lgkmcnt(0)
	s_barrier
	ds_write_b8 v0, v39
	v_mov_b32_e32 v39, v20
	s_waitcnt lgkmcnt(0)
	s_barrier
	s_and_saveexec_b64 s[14:15], s[0:1]
	s_cbranch_execz .LBB51_6
; %bb.3:                                ;   in Loop: Header=BB51_2 Depth=1
	s_mov_b64 s[16:17], 0
	v_mov_b32_e32 v39, v20
	v_mov_b32_e32 v41, v26
.LBB51_4:                               ;   Parent Loop BB51_2 Depth=1
                                        ; =>  This Inner Loop Header: Depth=2
	v_sub_u32_e32 v42, v41, v39
	v_lshrrev_b32_e32 v42, 1, v42
	v_add_u32_e32 v42, v42, v39
	v_add_u32_e32 v43, v6, v42
	v_xad_u32 v44, v42, -1, v21
	ds_read_i8 v43, v43
	ds_read_i8 v44, v44
	v_add_u32_e32 v45, 1, v42
	s_waitcnt lgkmcnt(0)
	v_cmp_lt_i16_e64 s[12:13], v44, v43
	v_cndmask_b32_e64 v41, v41, v42, s[12:13]
	v_cndmask_b32_e64 v39, v45, v39, s[12:13]
	v_cmp_ge_i32_e64 s[12:13], v39, v41
	s_or_b64 s[16:17], s[12:13], s[16:17]
	s_andn2_b64 exec, exec, s[16:17]
	s_cbranch_execnz .LBB51_4
; %bb.5:                                ;   in Loop: Header=BB51_2 Depth=1
	s_or_b64 exec, exec, s[16:17]
.LBB51_6:                               ;   in Loop: Header=BB51_2 Depth=1
	s_or_b64 exec, exec, s[14:15]
	v_add_u32_e32 v41, v39, v6
	v_sub_u32_e32 v39, v21, v39
	ds_read_u8 v42, v41
	ds_read_u8 v43, v39
	v_cmp_le_i32_e64 s[14:15], v19, v41
	v_cmp_ge_i32_e64 s[12:13], v19, v39
	s_waitcnt lgkmcnt(0)
	s_barrier
	v_cmp_lt_i16_sdwa s[16:17], sext(v43), sext(v42) src0_sel:BYTE_0 src1_sel:BYTE_0
	s_or_b64 s[14:15], s[14:15], s[16:17]
	s_and_b64 s[12:13], s[12:13], s[14:15]
	v_cndmask_b32_e64 v39, v41, v39, s[12:13]
	ds_write_b8 v0, v40
	s_waitcnt lgkmcnt(0)
	s_barrier
	ds_read_u8 v39, v39
	v_cndmask_b32_e64 v42, v42, v43, s[12:13]
	v_mov_b32_e32 v40, v33
	s_waitcnt lgkmcnt(0)
	s_barrier
	ds_write_b8 v0, v42
	s_waitcnt lgkmcnt(0)
	s_barrier
	s_and_saveexec_b64 s[14:15], s[2:3]
	s_cbranch_execz .LBB51_10
; %bb.7:                                ;   in Loop: Header=BB51_2 Depth=1
	s_mov_b64 s[16:17], 0
	v_mov_b32_e32 v40, v33
	v_mov_b32_e32 v41, v28
.LBB51_8:                               ;   Parent Loop BB51_2 Depth=1
                                        ; =>  This Inner Loop Header: Depth=2
	v_sub_u32_e32 v42, v41, v40
	v_lshrrev_b32_e32 v42, 1, v42
	v_add_u32_e32 v42, v42, v40
	v_add_u32_e32 v43, v1, v42
	v_xad_u32 v44, v42, -1, v22
	ds_read_i8 v43, v43
	ds_read_i8 v44, v44
	v_add_u32_e32 v45, 1, v42
	s_waitcnt lgkmcnt(0)
	v_cmp_lt_i16_e64 s[12:13], v44, v43
	v_cndmask_b32_e64 v41, v41, v42, s[12:13]
	v_cndmask_b32_e64 v40, v45, v40, s[12:13]
	v_cmp_ge_i32_e64 s[12:13], v40, v41
	s_or_b64 s[16:17], s[12:13], s[16:17]
	s_andn2_b64 exec, exec, s[16:17]
	s_cbranch_execnz .LBB51_8
; %bb.9:                                ;   in Loop: Header=BB51_2 Depth=1
	s_or_b64 exec, exec, s[16:17]
.LBB51_10:                              ;   in Loop: Header=BB51_2 Depth=1
	s_or_b64 exec, exec, s[14:15]
	v_add_u32_e32 v41, v40, v1
	v_sub_u32_e32 v40, v22, v40
	ds_read_u8 v42, v41
	ds_read_u8 v43, v40
	v_cmp_le_i32_e64 s[14:15], v9, v41
	v_cmp_gt_i32_e64 s[12:13], v10, v40
	s_waitcnt lgkmcnt(0)
	s_barrier
	v_cmp_lt_i16_sdwa s[16:17], sext(v43), sext(v42) src0_sel:BYTE_0 src1_sel:BYTE_0
	s_or_b64 s[14:15], s[14:15], s[16:17]
	s_and_b64 s[12:13], s[12:13], s[14:15]
	v_cndmask_b32_e64 v40, v41, v40, s[12:13]
	ds_write_b8 v0, v39
	s_waitcnt lgkmcnt(0)
	s_barrier
	ds_read_u8 v39, v40
	v_cndmask_b32_e64 v42, v42, v43, s[12:13]
	v_mov_b32_e32 v40, v34
	s_waitcnt lgkmcnt(0)
	s_barrier
	ds_write_b8 v0, v42
	s_waitcnt lgkmcnt(0)
	s_barrier
	s_and_saveexec_b64 s[14:15], s[4:5]
	s_cbranch_execz .LBB51_14
; %bb.11:                               ;   in Loop: Header=BB51_2 Depth=1
	s_mov_b64 s[16:17], 0
	v_mov_b32_e32 v40, v34
	v_mov_b32_e32 v41, v29
.LBB51_12:                              ;   Parent Loop BB51_2 Depth=1
                                        ; =>  This Inner Loop Header: Depth=2
	v_sub_u32_e32 v42, v41, v40
	v_lshrrev_b32_e32 v42, 1, v42
	v_add_u32_e32 v42, v42, v40
	v_add_u32_e32 v43, v2, v42
	v_xad_u32 v44, v42, -1, v23
	ds_read_i8 v43, v43
	ds_read_i8 v44, v44
	v_add_u32_e32 v45, 1, v42
	s_waitcnt lgkmcnt(0)
	v_cmp_lt_i16_e64 s[12:13], v44, v43
	v_cndmask_b32_e64 v41, v41, v42, s[12:13]
	v_cndmask_b32_e64 v40, v45, v40, s[12:13]
	v_cmp_ge_i32_e64 s[12:13], v40, v41
	s_or_b64 s[16:17], s[12:13], s[16:17]
	s_andn2_b64 exec, exec, s[16:17]
	s_cbranch_execnz .LBB51_12
; %bb.13:                               ;   in Loop: Header=BB51_2 Depth=1
	s_or_b64 exec, exec, s[16:17]
.LBB51_14:                              ;   in Loop: Header=BB51_2 Depth=1
	s_or_b64 exec, exec, s[14:15]
	v_add_u32_e32 v41, v40, v2
	v_sub_u32_e32 v40, v23, v40
	ds_read_u8 v42, v41
	ds_read_u8 v43, v40
	v_cmp_le_i32_e64 s[14:15], v11, v41
	v_cmp_gt_i32_e64 s[12:13], v12, v40
	s_waitcnt lgkmcnt(0)
	s_barrier
	v_cmp_lt_i16_sdwa s[16:17], sext(v43), sext(v42) src0_sel:BYTE_0 src1_sel:BYTE_0
	s_or_b64 s[14:15], s[14:15], s[16:17]
	s_and_b64 s[12:13], s[12:13], s[14:15]
	v_cndmask_b32_e64 v40, v41, v40, s[12:13]
	ds_write_b8 v0, v39
	s_waitcnt lgkmcnt(0)
	s_barrier
	ds_read_u8 v39, v40
	v_cndmask_b32_e64 v42, v42, v43, s[12:13]
	v_mov_b32_e32 v40, v35
	s_waitcnt lgkmcnt(0)
	s_barrier
	ds_write_b8 v0, v42
	s_waitcnt lgkmcnt(0)
	s_barrier
	s_and_saveexec_b64 s[14:15], s[6:7]
	s_cbranch_execz .LBB51_18
; %bb.15:                               ;   in Loop: Header=BB51_2 Depth=1
	s_mov_b64 s[16:17], 0
	v_mov_b32_e32 v40, v35
	v_mov_b32_e32 v41, v30
.LBB51_16:                              ;   Parent Loop BB51_2 Depth=1
                                        ; =>  This Inner Loop Header: Depth=2
	v_sub_u32_e32 v42, v41, v40
	v_lshrrev_b32_e32 v42, 1, v42
	v_add_u32_e32 v42, v42, v40
	v_add_u32_e32 v43, v3, v42
	v_xad_u32 v44, v42, -1, v24
	ds_read_i8 v43, v43
	ds_read_i8 v44, v44
	v_add_u32_e32 v45, 1, v42
	s_waitcnt lgkmcnt(0)
	v_cmp_lt_i16_e64 s[12:13], v44, v43
	v_cndmask_b32_e64 v41, v41, v42, s[12:13]
	v_cndmask_b32_e64 v40, v45, v40, s[12:13]
	v_cmp_ge_i32_e64 s[12:13], v40, v41
	s_or_b64 s[16:17], s[12:13], s[16:17]
	s_andn2_b64 exec, exec, s[16:17]
	s_cbranch_execnz .LBB51_16
; %bb.17:                               ;   in Loop: Header=BB51_2 Depth=1
	s_or_b64 exec, exec, s[16:17]
.LBB51_18:                              ;   in Loop: Header=BB51_2 Depth=1
	;; [unrolled: 51-line block ×4, first 2 shown]
	s_or_b64 exec, exec, s[14:15]
	v_add_u32_e32 v41, v40, v5
	v_sub_u32_e32 v40, v27, v40
	ds_read_u8 v42, v41
	ds_read_u8 v43, v40
	v_cmp_le_i32_e64 s[14:15], v17, v41
	v_cmp_gt_i32_e64 s[12:13], v18, v40
	s_waitcnt lgkmcnt(0)
	s_barrier
	v_cmp_lt_i16_sdwa s[16:17], sext(v43), sext(v42) src0_sel:BYTE_0 src1_sel:BYTE_0
	s_or_b64 s[14:15], s[14:15], s[16:17]
	s_and_b64 s[12:13], s[12:13], s[14:15]
	v_cndmask_b32_e64 v40, v41, v40, s[12:13]
	ds_write_b8 v0, v39
	s_waitcnt lgkmcnt(0)
	s_barrier
	ds_read_u8 v40, v40
	v_cndmask_b32_e64 v42, v42, v43, s[12:13]
	v_mov_b32_e32 v41, v7
	s_waitcnt lgkmcnt(0)
	s_barrier
	ds_write_b8 v0, v42
	s_waitcnt lgkmcnt(0)
	s_barrier
	s_and_saveexec_b64 s[14:15], vcc
	s_cbranch_execz .LBB51_1
; %bb.27:                               ;   in Loop: Header=BB51_2 Depth=1
	s_mov_b64 s[16:17], 0
	v_mov_b32_e32 v41, v7
	v_mov_b32_e32 v39, v8
.LBB51_28:                              ;   Parent Loop BB51_2 Depth=1
                                        ; =>  This Inner Loop Header: Depth=2
	v_sub_u32_e32 v42, v39, v41
	v_lshrrev_b32_e32 v42, 1, v42
	v_add_u32_e32 v42, v42, v41
	v_xad_u32 v43, v42, -1, v38
	ds_read_i8 v44, v42
	ds_read_i8 v43, v43
	v_add_u32_e32 v45, 1, v42
	s_waitcnt lgkmcnt(0)
	v_cmp_lt_i16_e64 s[12:13], v43, v44
	v_cndmask_b32_e64 v39, v39, v42, s[12:13]
	v_cndmask_b32_e64 v41, v45, v41, s[12:13]
	v_cmp_ge_i32_e64 s[12:13], v41, v39
	s_or_b64 s[16:17], s[12:13], s[16:17]
	s_andn2_b64 exec, exec, s[16:17]
	s_cbranch_execnz .LBB51_28
; %bb.29:                               ;   in Loop: Header=BB51_2 Depth=1
	s_or_b64 exec, exec, s[16:17]
	s_branch .LBB51_1
.LBB51_30:
	s_add_u32 s0, s18, s20
	s_addc_u32 s1, s19, 0
	v_mov_b32_e32 v1, s1
	v_add_co_u32_e32 v0, vcc, s0, v0
	s_waitcnt lgkmcnt(0)
	v_add_u16_e32 v2, v39, v40
	v_addc_co_u32_e32 v1, vcc, 0, v1, vcc
	global_store_byte v[0:1], v2, off
	s_endpgm
	.section	.rodata,"a",@progbits
	.p2align	6, 0x0
	.amdhsa_kernel _Z17sort_pairs_kernelIaLj128ELj1EN10test_utils4lessELj10EEvPKT_PS2_T2_
		.amdhsa_group_segment_fixed_size 129
		.amdhsa_private_segment_fixed_size 0
		.amdhsa_kernarg_size 20
		.amdhsa_user_sgpr_count 6
		.amdhsa_user_sgpr_private_segment_buffer 1
		.amdhsa_user_sgpr_dispatch_ptr 0
		.amdhsa_user_sgpr_queue_ptr 0
		.amdhsa_user_sgpr_kernarg_segment_ptr 1
		.amdhsa_user_sgpr_dispatch_id 0
		.amdhsa_user_sgpr_flat_scratch_init 0
		.amdhsa_user_sgpr_private_segment_size 0
		.amdhsa_uses_dynamic_stack 0
		.amdhsa_system_sgpr_private_segment_wavefront_offset 0
		.amdhsa_system_sgpr_workgroup_id_x 1
		.amdhsa_system_sgpr_workgroup_id_y 0
		.amdhsa_system_sgpr_workgroup_id_z 0
		.amdhsa_system_sgpr_workgroup_info 0
		.amdhsa_system_vgpr_workitem_id 0
		.amdhsa_next_free_vgpr 48
		.amdhsa_next_free_sgpr 23
		.amdhsa_reserve_vcc 1
		.amdhsa_reserve_flat_scratch 0
		.amdhsa_float_round_mode_32 0
		.amdhsa_float_round_mode_16_64 0
		.amdhsa_float_denorm_mode_32 3
		.amdhsa_float_denorm_mode_16_64 3
		.amdhsa_dx10_clamp 1
		.amdhsa_ieee_mode 1
		.amdhsa_fp16_overflow 0
		.amdhsa_exception_fp_ieee_invalid_op 0
		.amdhsa_exception_fp_denorm_src 0
		.amdhsa_exception_fp_ieee_div_zero 0
		.amdhsa_exception_fp_ieee_overflow 0
		.amdhsa_exception_fp_ieee_underflow 0
		.amdhsa_exception_fp_ieee_inexact 0
		.amdhsa_exception_int_div_zero 0
	.end_amdhsa_kernel
	.section	.text._Z17sort_pairs_kernelIaLj128ELj1EN10test_utils4lessELj10EEvPKT_PS2_T2_,"axG",@progbits,_Z17sort_pairs_kernelIaLj128ELj1EN10test_utils4lessELj10EEvPKT_PS2_T2_,comdat
.Lfunc_end51:
	.size	_Z17sort_pairs_kernelIaLj128ELj1EN10test_utils4lessELj10EEvPKT_PS2_T2_, .Lfunc_end51-_Z17sort_pairs_kernelIaLj128ELj1EN10test_utils4lessELj10EEvPKT_PS2_T2_
                                        ; -- End function
	.set _Z17sort_pairs_kernelIaLj128ELj1EN10test_utils4lessELj10EEvPKT_PS2_T2_.num_vgpr, 48
	.set _Z17sort_pairs_kernelIaLj128ELj1EN10test_utils4lessELj10EEvPKT_PS2_T2_.num_agpr, 0
	.set _Z17sort_pairs_kernelIaLj128ELj1EN10test_utils4lessELj10EEvPKT_PS2_T2_.numbered_sgpr, 23
	.set _Z17sort_pairs_kernelIaLj128ELj1EN10test_utils4lessELj10EEvPKT_PS2_T2_.num_named_barrier, 0
	.set _Z17sort_pairs_kernelIaLj128ELj1EN10test_utils4lessELj10EEvPKT_PS2_T2_.private_seg_size, 0
	.set _Z17sort_pairs_kernelIaLj128ELj1EN10test_utils4lessELj10EEvPKT_PS2_T2_.uses_vcc, 1
	.set _Z17sort_pairs_kernelIaLj128ELj1EN10test_utils4lessELj10EEvPKT_PS2_T2_.uses_flat_scratch, 0
	.set _Z17sort_pairs_kernelIaLj128ELj1EN10test_utils4lessELj10EEvPKT_PS2_T2_.has_dyn_sized_stack, 0
	.set _Z17sort_pairs_kernelIaLj128ELj1EN10test_utils4lessELj10EEvPKT_PS2_T2_.has_recursion, 0
	.set _Z17sort_pairs_kernelIaLj128ELj1EN10test_utils4lessELj10EEvPKT_PS2_T2_.has_indirect_call, 0
	.section	.AMDGPU.csdata,"",@progbits
; Kernel info:
; codeLenInByte = 2256
; TotalNumSgprs: 27
; NumVgprs: 48
; ScratchSize: 0
; MemoryBound: 0
; FloatMode: 240
; IeeeMode: 1
; LDSByteSize: 129 bytes/workgroup (compile time only)
; SGPRBlocks: 3
; VGPRBlocks: 11
; NumSGPRsForWavesPerEU: 27
; NumVGPRsForWavesPerEU: 48
; Occupancy: 5
; WaveLimiterHint : 0
; COMPUTE_PGM_RSRC2:SCRATCH_EN: 0
; COMPUTE_PGM_RSRC2:USER_SGPR: 6
; COMPUTE_PGM_RSRC2:TRAP_HANDLER: 0
; COMPUTE_PGM_RSRC2:TGID_X_EN: 1
; COMPUTE_PGM_RSRC2:TGID_Y_EN: 0
; COMPUTE_PGM_RSRC2:TGID_Z_EN: 0
; COMPUTE_PGM_RSRC2:TIDIG_COMP_CNT: 0
	.section	.text._Z16sort_keys_kernelIaLj128ELj2EN10test_utils4lessELj10EEvPKT_PS2_T2_,"axG",@progbits,_Z16sort_keys_kernelIaLj128ELj2EN10test_utils4lessELj10EEvPKT_PS2_T2_,comdat
	.protected	_Z16sort_keys_kernelIaLj128ELj2EN10test_utils4lessELj10EEvPKT_PS2_T2_ ; -- Begin function _Z16sort_keys_kernelIaLj128ELj2EN10test_utils4lessELj10EEvPKT_PS2_T2_
	.globl	_Z16sort_keys_kernelIaLj128ELj2EN10test_utils4lessELj10EEvPKT_PS2_T2_
	.p2align	8
	.type	_Z16sort_keys_kernelIaLj128ELj2EN10test_utils4lessELj10EEvPKT_PS2_T2_,@function
_Z16sort_keys_kernelIaLj128ELj2EN10test_utils4lessELj10EEvPKT_PS2_T2_: ; @_Z16sort_keys_kernelIaLj128ELj2EN10test_utils4lessELj10EEvPKT_PS2_T2_
; %bb.0:
	s_load_dwordx4 s[16:19], s[4:5], 0x0
	s_lshl_b32 s20, s6, 8
	v_lshlrev_b32_e32 v1, 1, v0
	v_and_b32_e32 v2, 0xfc, v1
	v_and_b32_e32 v5, 0xf8, v1
	s_waitcnt lgkmcnt(0)
	s_add_u32 s0, s16, s20
	s_addc_u32 s1, s17, 0
	global_load_ubyte v43, v0, s[0:1] offset:128
	global_load_ubyte v42, v0, s[0:1]
	v_and_b32_e32 v8, 0xf0, v1
	v_and_b32_e32 v11, 0xe0, v1
	;; [unrolled: 1-line block ×4, first 2 shown]
	v_or_b32_e32 v3, 2, v2
	v_add_u32_e32 v4, 4, v2
	v_or_b32_e32 v6, 4, v5
	v_add_u32_e32 v7, 8, v5
	;; [unrolled: 2-line block ×6, first 2 shown]
	v_and_b32_e32 v22, 2, v1
	v_sub_u32_e32 v20, v4, v3
	v_and_b32_e32 v25, 6, v1
	v_sub_u32_e32 v23, v7, v6
	;; [unrolled: 2-line block ×6, first 2 shown]
	v_sub_u32_e32 v21, v22, v20
	v_sub_u32_e32 v24, v25, v23
	;; [unrolled: 1-line block ×6, first 2 shown]
	v_cmp_ge_i32_e32 vcc, v22, v20
	v_cmp_ge_i32_e64 s[0:1], v25, v23
	v_cmp_ge_i32_e64 s[2:3], v28, v26
	;; [unrolled: 1-line block ×5, first 2 shown]
	v_cndmask_b32_e32 v20, 0, v21, vcc
	v_sub_u32_e32 v21, v3, v2
	v_cndmask_b32_e64 v23, 0, v24, s[0:1]
	v_sub_u32_e32 v24, v6, v5
	v_cndmask_b32_e64 v26, 0, v27, s[2:3]
	;; [unrolled: 2-line block ×5, first 2 shown]
	v_sub_u32_e32 v36, v18, v17
	v_mov_b32_e32 v38, 0x80
	v_min_i32_e32 v21, v22, v21
	v_min_i32_e32 v24, v25, v24
	;; [unrolled: 1-line block ×6, first 2 shown]
	v_sub_u32_e64 v39, v1, v38 clamp
	v_min_i32_e32 v40, 0x80, v1
	s_mov_b32 s21, 0
	v_cmp_lt_i32_e32 vcc, v20, v21
	v_add_u32_e32 v22, v3, v22
	v_cmp_lt_i32_e64 s[0:1], v23, v24
	v_add_u32_e32 v25, v6, v25
	v_cmp_lt_i32_e64 s[2:3], v26, v27
	;; [unrolled: 2-line block ×6, first 2 shown]
	s_mov_b32 s22, 0xc0c0004
	s_movk_i32 s23, 0x100
	v_add_u32_e32 v41, 0x80, v1
	s_branch .LBB52_2
.LBB52_1:                               ;   in Loop: Header=BB52_2 Depth=1
	s_or_b64 exec, exec, s[14:15]
	v_cmp_ge_i32_e64 s[14:15], v47, v38
	s_waitcnt lgkmcnt(0)
	v_cmp_lt_i16_sdwa s[16:17], sext(v48), sext(v46) src0_sel:BYTE_0 src1_sel:BYTE_0
	v_cndmask_b32_e64 v42, v44, v45, s[12:13]
	v_cmp_gt_i32_e64 s[12:13], s23, v43
	s_or_b64 s[14:15], s[14:15], s[16:17]
	s_and_b64 s[12:13], s[12:13], s[14:15]
	s_add_i32 s21, s21, 1
	s_cmp_eq_u32 s21, 10
	v_cndmask_b32_e64 v43, v46, v48, s[12:13]
	s_cbranch_scc1 .LBB52_58
.LBB52_2:                               ; =>This Loop Header: Depth=1
                                        ;     Child Loop BB52_4 Depth 2
                                        ;     Child Loop BB52_12 Depth 2
	;; [unrolled: 1-line block ×7, first 2 shown]
	s_waitcnt vmcnt(0)
	v_perm_b32 v44, v43, v42, s22
	v_perm_b32 v45, v42, v43, s22
	v_cmp_lt_i16_sdwa s[12:13], sext(v43), sext(v42) src0_sel:BYTE_0 src1_sel:BYTE_0
	v_cndmask_b32_e64 v42, v45, v44, s[12:13]
	s_barrier
	ds_write_b8 v1, v42
	v_lshrrev_b16_e32 v42, 8, v42
	v_mov_b32_e32 v43, v20
	ds_write_b8 v1, v42 offset:1
	s_waitcnt lgkmcnt(0)
	s_barrier
	s_and_saveexec_b64 s[14:15], vcc
	s_cbranch_execz .LBB52_6
; %bb.3:                                ;   in Loop: Header=BB52_2 Depth=1
	s_mov_b64 s[16:17], 0
	v_mov_b32_e32 v43, v20
	v_mov_b32_e32 v42, v21
.LBB52_4:                               ;   Parent Loop BB52_2 Depth=1
                                        ; =>  This Inner Loop Header: Depth=2
	v_sub_u32_e32 v44, v42, v43
	v_lshrrev_b32_e32 v44, 1, v44
	v_add_u32_e32 v44, v44, v43
	v_add_u32_e32 v45, v2, v44
	v_xad_u32 v46, v44, -1, v22
	ds_read_i8 v45, v45
	ds_read_i8 v46, v46
	v_add_u32_e32 v47, 1, v44
	s_waitcnt lgkmcnt(0)
	v_cmp_lt_i16_e64 s[12:13], v46, v45
	v_cndmask_b32_e64 v42, v42, v44, s[12:13]
	v_cndmask_b32_e64 v43, v47, v43, s[12:13]
	v_cmp_ge_i32_e64 s[12:13], v43, v42
	s_or_b64 s[16:17], s[12:13], s[16:17]
	s_andn2_b64 exec, exec, s[16:17]
	s_cbranch_execnz .LBB52_4
; %bb.5:                                ;   in Loop: Header=BB52_2 Depth=1
	s_or_b64 exec, exec, s[16:17]
.LBB52_6:                               ;   in Loop: Header=BB52_2 Depth=1
	s_or_b64 exec, exec, s[14:15]
	v_add_u32_e32 v42, v43, v2
	v_sub_u32_e32 v43, v22, v43
	ds_read_u8 v44, v42
	ds_read_u8 v45, v43
	v_cmp_le_i32_e64 s[14:15], v3, v42
	v_cmp_gt_i32_e64 s[12:13], v4, v43
	s_waitcnt lgkmcnt(1)
	v_bfe_i32 v44, v44, 0, 8
	s_waitcnt lgkmcnt(0)
	v_bfe_i32 v46, v45, 0, 8
	v_cmp_lt_i16_e64 s[16:17], v46, v44
	s_or_b64 s[14:15], s[14:15], s[16:17]
	s_and_b64 s[12:13], s[12:13], s[14:15]
	s_xor_b64 s[14:15], s[12:13], -1
                                        ; implicit-def: $vgpr45
	s_and_saveexec_b64 s[16:17], s[14:15]
	s_xor_b64 s[14:15], exec, s[16:17]
; %bb.7:                                ;   in Loop: Header=BB52_2 Depth=1
	ds_read_u8 v45, v42 offset:1
; %bb.8:                                ;   in Loop: Header=BB52_2 Depth=1
	s_or_saveexec_b64 s[14:15], s[14:15]
	v_mov_b32_e32 v47, v46
	s_xor_b64 exec, exec, s[14:15]
	s_cbranch_execz .LBB52_10
; %bb.9:                                ;   in Loop: Header=BB52_2 Depth=1
	ds_read_u8 v47, v43 offset:1
	s_waitcnt lgkmcnt(1)
	v_mov_b32_e32 v45, v44
.LBB52_10:                              ;   in Loop: Header=BB52_2 Depth=1
	s_or_b64 exec, exec, s[14:15]
	v_add_u32_e32 v48, 1, v42
	v_cndmask_b32_e64 v44, v44, v46, s[12:13]
	v_add_u32_e32 v46, 1, v43
	v_cndmask_b32_e64 v42, v48, v42, s[12:13]
	v_cndmask_b32_e64 v43, v43, v46, s[12:13]
	v_cmp_ge_i32_e64 s[14:15], v42, v3
	s_waitcnt lgkmcnt(0)
	v_cmp_lt_i16_sdwa s[16:17], sext(v47), sext(v45) src0_sel:BYTE_0 src1_sel:BYTE_0
	v_cmp_lt_i32_e64 s[12:13], v43, v4
	s_or_b64 s[14:15], s[14:15], s[16:17]
	s_and_b64 s[12:13], s[12:13], s[14:15]
	v_mov_b32_e32 v43, v23
	v_cndmask_b32_e64 v42, v45, v47, s[12:13]
	s_barrier
	ds_write_b8 v1, v44
	ds_write_b8 v1, v42 offset:1
	s_waitcnt lgkmcnt(0)
	s_barrier
	s_and_saveexec_b64 s[14:15], s[0:1]
	s_cbranch_execz .LBB52_14
; %bb.11:                               ;   in Loop: Header=BB52_2 Depth=1
	s_mov_b64 s[16:17], 0
	v_mov_b32_e32 v43, v23
	v_mov_b32_e32 v42, v24
.LBB52_12:                              ;   Parent Loop BB52_2 Depth=1
                                        ; =>  This Inner Loop Header: Depth=2
	v_sub_u32_e32 v44, v42, v43
	v_lshrrev_b32_e32 v44, 1, v44
	v_add_u32_e32 v44, v44, v43
	v_add_u32_e32 v45, v5, v44
	v_xad_u32 v46, v44, -1, v25
	ds_read_i8 v45, v45
	ds_read_i8 v46, v46
	v_add_u32_e32 v47, 1, v44
	s_waitcnt lgkmcnt(0)
	v_cmp_lt_i16_e64 s[12:13], v46, v45
	v_cndmask_b32_e64 v42, v42, v44, s[12:13]
	v_cndmask_b32_e64 v43, v47, v43, s[12:13]
	v_cmp_ge_i32_e64 s[12:13], v43, v42
	s_or_b64 s[16:17], s[12:13], s[16:17]
	s_andn2_b64 exec, exec, s[16:17]
	s_cbranch_execnz .LBB52_12
; %bb.13:                               ;   in Loop: Header=BB52_2 Depth=1
	s_or_b64 exec, exec, s[16:17]
.LBB52_14:                              ;   in Loop: Header=BB52_2 Depth=1
	s_or_b64 exec, exec, s[14:15]
	v_add_u32_e32 v42, v43, v5
	v_sub_u32_e32 v43, v25, v43
	ds_read_u8 v44, v42
	ds_read_u8 v45, v43
	v_cmp_le_i32_e64 s[14:15], v6, v42
	v_cmp_gt_i32_e64 s[12:13], v7, v43
	s_waitcnt lgkmcnt(1)
	v_bfe_i32 v44, v44, 0, 8
	s_waitcnt lgkmcnt(0)
	v_bfe_i32 v46, v45, 0, 8
	v_cmp_lt_i16_e64 s[16:17], v46, v44
	s_or_b64 s[14:15], s[14:15], s[16:17]
	s_and_b64 s[12:13], s[12:13], s[14:15]
	s_xor_b64 s[14:15], s[12:13], -1
                                        ; implicit-def: $vgpr45
	s_and_saveexec_b64 s[16:17], s[14:15]
	s_xor_b64 s[14:15], exec, s[16:17]
; %bb.15:                               ;   in Loop: Header=BB52_2 Depth=1
	ds_read_u8 v45, v42 offset:1
; %bb.16:                               ;   in Loop: Header=BB52_2 Depth=1
	s_or_saveexec_b64 s[14:15], s[14:15]
	v_mov_b32_e32 v47, v46
	s_xor_b64 exec, exec, s[14:15]
	s_cbranch_execz .LBB52_18
; %bb.17:                               ;   in Loop: Header=BB52_2 Depth=1
	ds_read_u8 v47, v43 offset:1
	s_waitcnt lgkmcnt(1)
	v_mov_b32_e32 v45, v44
.LBB52_18:                              ;   in Loop: Header=BB52_2 Depth=1
	s_or_b64 exec, exec, s[14:15]
	v_add_u32_e32 v48, 1, v42
	v_cndmask_b32_e64 v44, v44, v46, s[12:13]
	v_add_u32_e32 v46, 1, v43
	v_cndmask_b32_e64 v42, v48, v42, s[12:13]
	v_cndmask_b32_e64 v43, v43, v46, s[12:13]
	v_cmp_ge_i32_e64 s[14:15], v42, v6
	s_waitcnt lgkmcnt(0)
	v_cmp_lt_i16_sdwa s[16:17], sext(v47), sext(v45) src0_sel:BYTE_0 src1_sel:BYTE_0
	v_cmp_lt_i32_e64 s[12:13], v43, v7
	s_or_b64 s[14:15], s[14:15], s[16:17]
	s_and_b64 s[12:13], s[12:13], s[14:15]
	v_mov_b32_e32 v43, v26
	v_cndmask_b32_e64 v42, v45, v47, s[12:13]
	s_barrier
	ds_write_b8 v1, v44
	ds_write_b8 v1, v42 offset:1
	s_waitcnt lgkmcnt(0)
	s_barrier
	s_and_saveexec_b64 s[14:15], s[2:3]
	s_cbranch_execz .LBB52_22
; %bb.19:                               ;   in Loop: Header=BB52_2 Depth=1
	s_mov_b64 s[16:17], 0
	v_mov_b32_e32 v43, v26
	v_mov_b32_e32 v42, v27
.LBB52_20:                              ;   Parent Loop BB52_2 Depth=1
                                        ; =>  This Inner Loop Header: Depth=2
	v_sub_u32_e32 v44, v42, v43
	v_lshrrev_b32_e32 v44, 1, v44
	v_add_u32_e32 v44, v44, v43
	v_add_u32_e32 v45, v8, v44
	v_xad_u32 v46, v44, -1, v28
	ds_read_i8 v45, v45
	ds_read_i8 v46, v46
	v_add_u32_e32 v47, 1, v44
	s_waitcnt lgkmcnt(0)
	v_cmp_lt_i16_e64 s[12:13], v46, v45
	v_cndmask_b32_e64 v42, v42, v44, s[12:13]
	v_cndmask_b32_e64 v43, v47, v43, s[12:13]
	v_cmp_ge_i32_e64 s[12:13], v43, v42
	s_or_b64 s[16:17], s[12:13], s[16:17]
	s_andn2_b64 exec, exec, s[16:17]
	s_cbranch_execnz .LBB52_20
; %bb.21:                               ;   in Loop: Header=BB52_2 Depth=1
	s_or_b64 exec, exec, s[16:17]
.LBB52_22:                              ;   in Loop: Header=BB52_2 Depth=1
	s_or_b64 exec, exec, s[14:15]
	v_add_u32_e32 v42, v43, v8
	v_sub_u32_e32 v43, v28, v43
	ds_read_u8 v44, v42
	ds_read_u8 v45, v43
	v_cmp_le_i32_e64 s[14:15], v9, v42
	v_cmp_gt_i32_e64 s[12:13], v10, v43
	s_waitcnt lgkmcnt(1)
	v_bfe_i32 v44, v44, 0, 8
	s_waitcnt lgkmcnt(0)
	v_bfe_i32 v46, v45, 0, 8
	v_cmp_lt_i16_e64 s[16:17], v46, v44
	s_or_b64 s[14:15], s[14:15], s[16:17]
	s_and_b64 s[12:13], s[12:13], s[14:15]
	s_xor_b64 s[14:15], s[12:13], -1
                                        ; implicit-def: $vgpr45
	s_and_saveexec_b64 s[16:17], s[14:15]
	s_xor_b64 s[14:15], exec, s[16:17]
; %bb.23:                               ;   in Loop: Header=BB52_2 Depth=1
	ds_read_u8 v45, v42 offset:1
; %bb.24:                               ;   in Loop: Header=BB52_2 Depth=1
	s_or_saveexec_b64 s[14:15], s[14:15]
	v_mov_b32_e32 v47, v46
	s_xor_b64 exec, exec, s[14:15]
	s_cbranch_execz .LBB52_26
; %bb.25:                               ;   in Loop: Header=BB52_2 Depth=1
	ds_read_u8 v47, v43 offset:1
	s_waitcnt lgkmcnt(1)
	v_mov_b32_e32 v45, v44
.LBB52_26:                              ;   in Loop: Header=BB52_2 Depth=1
	s_or_b64 exec, exec, s[14:15]
	v_add_u32_e32 v48, 1, v42
	v_cndmask_b32_e64 v44, v44, v46, s[12:13]
	v_add_u32_e32 v46, 1, v43
	v_cndmask_b32_e64 v42, v48, v42, s[12:13]
	v_cndmask_b32_e64 v43, v43, v46, s[12:13]
	v_cmp_ge_i32_e64 s[14:15], v42, v9
	s_waitcnt lgkmcnt(0)
	v_cmp_lt_i16_sdwa s[16:17], sext(v47), sext(v45) src0_sel:BYTE_0 src1_sel:BYTE_0
	v_cmp_lt_i32_e64 s[12:13], v43, v10
	s_or_b64 s[14:15], s[14:15], s[16:17]
	s_and_b64 s[12:13], s[12:13], s[14:15]
	v_mov_b32_e32 v43, v29
	v_cndmask_b32_e64 v42, v45, v47, s[12:13]
	s_barrier
	ds_write_b8 v1, v44
	ds_write_b8 v1, v42 offset:1
	s_waitcnt lgkmcnt(0)
	s_barrier
	s_and_saveexec_b64 s[14:15], s[4:5]
	s_cbranch_execz .LBB52_30
; %bb.27:                               ;   in Loop: Header=BB52_2 Depth=1
	s_mov_b64 s[16:17], 0
	v_mov_b32_e32 v43, v29
	v_mov_b32_e32 v42, v30
.LBB52_28:                              ;   Parent Loop BB52_2 Depth=1
                                        ; =>  This Inner Loop Header: Depth=2
	v_sub_u32_e32 v44, v42, v43
	v_lshrrev_b32_e32 v44, 1, v44
	v_add_u32_e32 v44, v44, v43
	v_add_u32_e32 v45, v11, v44
	v_xad_u32 v46, v44, -1, v31
	ds_read_i8 v45, v45
	ds_read_i8 v46, v46
	v_add_u32_e32 v47, 1, v44
	s_waitcnt lgkmcnt(0)
	v_cmp_lt_i16_e64 s[12:13], v46, v45
	v_cndmask_b32_e64 v42, v42, v44, s[12:13]
	v_cndmask_b32_e64 v43, v47, v43, s[12:13]
	v_cmp_ge_i32_e64 s[12:13], v43, v42
	s_or_b64 s[16:17], s[12:13], s[16:17]
	s_andn2_b64 exec, exec, s[16:17]
	s_cbranch_execnz .LBB52_28
; %bb.29:                               ;   in Loop: Header=BB52_2 Depth=1
	s_or_b64 exec, exec, s[16:17]
.LBB52_30:                              ;   in Loop: Header=BB52_2 Depth=1
	s_or_b64 exec, exec, s[14:15]
	v_add_u32_e32 v42, v43, v11
	v_sub_u32_e32 v43, v31, v43
	ds_read_u8 v44, v42
	ds_read_u8 v45, v43
	v_cmp_le_i32_e64 s[14:15], v12, v42
	v_cmp_gt_i32_e64 s[12:13], v13, v43
	s_waitcnt lgkmcnt(1)
	v_bfe_i32 v44, v44, 0, 8
	s_waitcnt lgkmcnt(0)
	v_bfe_i32 v46, v45, 0, 8
	v_cmp_lt_i16_e64 s[16:17], v46, v44
	s_or_b64 s[14:15], s[14:15], s[16:17]
	s_and_b64 s[12:13], s[12:13], s[14:15]
	s_xor_b64 s[14:15], s[12:13], -1
                                        ; implicit-def: $vgpr45
	s_and_saveexec_b64 s[16:17], s[14:15]
	s_xor_b64 s[14:15], exec, s[16:17]
; %bb.31:                               ;   in Loop: Header=BB52_2 Depth=1
	ds_read_u8 v45, v42 offset:1
; %bb.32:                               ;   in Loop: Header=BB52_2 Depth=1
	s_or_saveexec_b64 s[14:15], s[14:15]
	v_mov_b32_e32 v47, v46
	s_xor_b64 exec, exec, s[14:15]
	s_cbranch_execz .LBB52_34
; %bb.33:                               ;   in Loop: Header=BB52_2 Depth=1
	ds_read_u8 v47, v43 offset:1
	s_waitcnt lgkmcnt(1)
	v_mov_b32_e32 v45, v44
.LBB52_34:                              ;   in Loop: Header=BB52_2 Depth=1
	s_or_b64 exec, exec, s[14:15]
	v_add_u32_e32 v48, 1, v42
	v_cndmask_b32_e64 v44, v44, v46, s[12:13]
	v_add_u32_e32 v46, 1, v43
	v_cndmask_b32_e64 v42, v48, v42, s[12:13]
	v_cndmask_b32_e64 v43, v43, v46, s[12:13]
	v_cmp_ge_i32_e64 s[14:15], v42, v12
	s_waitcnt lgkmcnt(0)
	v_cmp_lt_i16_sdwa s[16:17], sext(v47), sext(v45) src0_sel:BYTE_0 src1_sel:BYTE_0
	v_cmp_lt_i32_e64 s[12:13], v43, v13
	s_or_b64 s[14:15], s[14:15], s[16:17]
	s_and_b64 s[12:13], s[12:13], s[14:15]
	v_mov_b32_e32 v43, v32
	v_cndmask_b32_e64 v42, v45, v47, s[12:13]
	s_barrier
	ds_write_b8 v1, v44
	ds_write_b8 v1, v42 offset:1
	s_waitcnt lgkmcnt(0)
	s_barrier
	s_and_saveexec_b64 s[14:15], s[6:7]
	s_cbranch_execz .LBB52_38
; %bb.35:                               ;   in Loop: Header=BB52_2 Depth=1
	s_mov_b64 s[16:17], 0
	v_mov_b32_e32 v43, v32
	v_mov_b32_e32 v42, v33
.LBB52_36:                              ;   Parent Loop BB52_2 Depth=1
                                        ; =>  This Inner Loop Header: Depth=2
	v_sub_u32_e32 v44, v42, v43
	v_lshrrev_b32_e32 v44, 1, v44
	v_add_u32_e32 v44, v44, v43
	v_add_u32_e32 v45, v14, v44
	v_xad_u32 v46, v44, -1, v34
	ds_read_i8 v45, v45
	ds_read_i8 v46, v46
	v_add_u32_e32 v47, 1, v44
	s_waitcnt lgkmcnt(0)
	v_cmp_lt_i16_e64 s[12:13], v46, v45
	v_cndmask_b32_e64 v42, v42, v44, s[12:13]
	v_cndmask_b32_e64 v43, v47, v43, s[12:13]
	v_cmp_ge_i32_e64 s[12:13], v43, v42
	s_or_b64 s[16:17], s[12:13], s[16:17]
	s_andn2_b64 exec, exec, s[16:17]
	s_cbranch_execnz .LBB52_36
; %bb.37:                               ;   in Loop: Header=BB52_2 Depth=1
	s_or_b64 exec, exec, s[16:17]
.LBB52_38:                              ;   in Loop: Header=BB52_2 Depth=1
	s_or_b64 exec, exec, s[14:15]
	v_add_u32_e32 v42, v43, v14
	v_sub_u32_e32 v43, v34, v43
	ds_read_u8 v44, v42
	ds_read_u8 v45, v43
	v_cmp_le_i32_e64 s[14:15], v15, v42
	v_cmp_gt_i32_e64 s[12:13], v16, v43
	s_waitcnt lgkmcnt(1)
	v_bfe_i32 v44, v44, 0, 8
	s_waitcnt lgkmcnt(0)
	v_bfe_i32 v46, v45, 0, 8
	v_cmp_lt_i16_e64 s[16:17], v46, v44
	s_or_b64 s[14:15], s[14:15], s[16:17]
	s_and_b64 s[12:13], s[12:13], s[14:15]
	s_xor_b64 s[14:15], s[12:13], -1
                                        ; implicit-def: $vgpr45
	s_and_saveexec_b64 s[16:17], s[14:15]
	s_xor_b64 s[14:15], exec, s[16:17]
; %bb.39:                               ;   in Loop: Header=BB52_2 Depth=1
	ds_read_u8 v45, v42 offset:1
; %bb.40:                               ;   in Loop: Header=BB52_2 Depth=1
	s_or_saveexec_b64 s[14:15], s[14:15]
	v_mov_b32_e32 v47, v46
	s_xor_b64 exec, exec, s[14:15]
	s_cbranch_execz .LBB52_42
; %bb.41:                               ;   in Loop: Header=BB52_2 Depth=1
	ds_read_u8 v47, v43 offset:1
	s_waitcnt lgkmcnt(1)
	v_mov_b32_e32 v45, v44
.LBB52_42:                              ;   in Loop: Header=BB52_2 Depth=1
	s_or_b64 exec, exec, s[14:15]
	v_add_u32_e32 v48, 1, v42
	v_cndmask_b32_e64 v44, v44, v46, s[12:13]
	v_add_u32_e32 v46, 1, v43
	v_cndmask_b32_e64 v42, v48, v42, s[12:13]
	v_cndmask_b32_e64 v43, v43, v46, s[12:13]
	v_cmp_ge_i32_e64 s[14:15], v42, v15
	s_waitcnt lgkmcnt(0)
	v_cmp_lt_i16_sdwa s[16:17], sext(v47), sext(v45) src0_sel:BYTE_0 src1_sel:BYTE_0
	v_cmp_lt_i32_e64 s[12:13], v43, v16
	s_or_b64 s[14:15], s[14:15], s[16:17]
	s_and_b64 s[12:13], s[12:13], s[14:15]
	v_mov_b32_e32 v43, v35
	v_cndmask_b32_e64 v42, v45, v47, s[12:13]
	s_barrier
	ds_write_b8 v1, v44
	ds_write_b8 v1, v42 offset:1
	s_waitcnt lgkmcnt(0)
	s_barrier
	s_and_saveexec_b64 s[14:15], s[8:9]
	s_cbranch_execz .LBB52_46
; %bb.43:                               ;   in Loop: Header=BB52_2 Depth=1
	s_mov_b64 s[16:17], 0
	v_mov_b32_e32 v43, v35
	v_mov_b32_e32 v42, v36
.LBB52_44:                              ;   Parent Loop BB52_2 Depth=1
                                        ; =>  This Inner Loop Header: Depth=2
	v_sub_u32_e32 v44, v42, v43
	v_lshrrev_b32_e32 v44, 1, v44
	v_add_u32_e32 v44, v44, v43
	v_add_u32_e32 v45, v17, v44
	v_xad_u32 v46, v44, -1, v37
	ds_read_i8 v45, v45
	ds_read_i8 v46, v46
	v_add_u32_e32 v47, 1, v44
	s_waitcnt lgkmcnt(0)
	v_cmp_lt_i16_e64 s[12:13], v46, v45
	v_cndmask_b32_e64 v42, v42, v44, s[12:13]
	v_cndmask_b32_e64 v43, v47, v43, s[12:13]
	v_cmp_ge_i32_e64 s[12:13], v43, v42
	s_or_b64 s[16:17], s[12:13], s[16:17]
	s_andn2_b64 exec, exec, s[16:17]
	s_cbranch_execnz .LBB52_44
; %bb.45:                               ;   in Loop: Header=BB52_2 Depth=1
	s_or_b64 exec, exec, s[16:17]
.LBB52_46:                              ;   in Loop: Header=BB52_2 Depth=1
	s_or_b64 exec, exec, s[14:15]
	v_add_u32_e32 v42, v43, v17
	v_sub_u32_e32 v43, v37, v43
	ds_read_u8 v44, v42
	ds_read_u8 v45, v43
	v_cmp_le_i32_e64 s[14:15], v18, v42
	v_cmp_gt_i32_e64 s[12:13], v19, v43
	s_waitcnt lgkmcnt(1)
	v_bfe_i32 v44, v44, 0, 8
	s_waitcnt lgkmcnt(0)
	v_bfe_i32 v46, v45, 0, 8
	v_cmp_lt_i16_e64 s[16:17], v46, v44
	s_or_b64 s[14:15], s[14:15], s[16:17]
	s_and_b64 s[12:13], s[12:13], s[14:15]
	s_xor_b64 s[14:15], s[12:13], -1
                                        ; implicit-def: $vgpr45
	s_and_saveexec_b64 s[16:17], s[14:15]
	s_xor_b64 s[14:15], exec, s[16:17]
; %bb.47:                               ;   in Loop: Header=BB52_2 Depth=1
	ds_read_u8 v45, v42 offset:1
; %bb.48:                               ;   in Loop: Header=BB52_2 Depth=1
	s_or_saveexec_b64 s[14:15], s[14:15]
	v_mov_b32_e32 v47, v46
	s_xor_b64 exec, exec, s[14:15]
	s_cbranch_execz .LBB52_50
; %bb.49:                               ;   in Loop: Header=BB52_2 Depth=1
	ds_read_u8 v47, v43 offset:1
	s_waitcnt lgkmcnt(1)
	v_mov_b32_e32 v45, v44
.LBB52_50:                              ;   in Loop: Header=BB52_2 Depth=1
	s_or_b64 exec, exec, s[14:15]
	v_add_u32_e32 v48, 1, v42
	v_cndmask_b32_e64 v44, v44, v46, s[12:13]
	v_add_u32_e32 v46, 1, v43
	v_cndmask_b32_e64 v42, v48, v42, s[12:13]
	v_cndmask_b32_e64 v43, v43, v46, s[12:13]
	v_cmp_ge_i32_e64 s[14:15], v42, v18
	s_waitcnt lgkmcnt(0)
	v_cmp_lt_i16_sdwa s[16:17], sext(v47), sext(v45) src0_sel:BYTE_0 src1_sel:BYTE_0
	v_cmp_lt_i32_e64 s[12:13], v43, v19
	s_or_b64 s[14:15], s[14:15], s[16:17]
	s_and_b64 s[12:13], s[12:13], s[14:15]
	v_cndmask_b32_e64 v42, v45, v47, s[12:13]
	s_barrier
	ds_write_b8 v1, v44
	ds_write_b8 v1, v42 offset:1
	v_mov_b32_e32 v42, v39
	s_waitcnt lgkmcnt(0)
	s_barrier
	s_and_saveexec_b64 s[14:15], s[10:11]
	s_cbranch_execz .LBB52_54
; %bb.51:                               ;   in Loop: Header=BB52_2 Depth=1
	s_mov_b64 s[16:17], 0
	v_mov_b32_e32 v42, v39
	v_mov_b32_e32 v43, v40
.LBB52_52:                              ;   Parent Loop BB52_2 Depth=1
                                        ; =>  This Inner Loop Header: Depth=2
	v_sub_u32_e32 v44, v43, v42
	v_lshrrev_b32_e32 v44, 1, v44
	v_add_u32_e32 v44, v44, v42
	v_xad_u32 v45, v44, -1, v41
	ds_read_i8 v46, v44
	ds_read_i8 v45, v45
	v_add_u32_e32 v47, 1, v44
	s_waitcnt lgkmcnt(0)
	v_cmp_lt_i16_e64 s[12:13], v45, v46
	v_cndmask_b32_e64 v43, v43, v44, s[12:13]
	v_cndmask_b32_e64 v42, v47, v42, s[12:13]
	v_cmp_ge_i32_e64 s[12:13], v42, v43
	s_or_b64 s[16:17], s[12:13], s[16:17]
	s_andn2_b64 exec, exec, s[16:17]
	s_cbranch_execnz .LBB52_52
; %bb.53:                               ;   in Loop: Header=BB52_2 Depth=1
	s_or_b64 exec, exec, s[16:17]
.LBB52_54:                              ;   in Loop: Header=BB52_2 Depth=1
	s_or_b64 exec, exec, s[14:15]
	v_sub_u32_e32 v43, v41, v42
	ds_read_u8 v44, v42
	ds_read_u8 v45, v43
	v_cmp_le_i32_e64 s[14:15], v38, v42
	v_cmp_gt_i32_e64 s[12:13], s23, v43
                                        ; implicit-def: $vgpr46
                                        ; implicit-def: $vgpr47
	s_waitcnt lgkmcnt(1)
	v_bfe_i32 v44, v44, 0, 8
	s_waitcnt lgkmcnt(0)
	v_bfe_i32 v45, v45, 0, 8
	v_cmp_lt_i16_e64 s[16:17], v45, v44
	s_or_b64 s[14:15], s[14:15], s[16:17]
	s_and_b64 s[12:13], s[12:13], s[14:15]
	s_xor_b64 s[14:15], s[12:13], -1
	s_and_saveexec_b64 s[16:17], s[14:15]
	s_xor_b64 s[14:15], exec, s[16:17]
; %bb.55:                               ;   in Loop: Header=BB52_2 Depth=1
	ds_read_u8 v46, v42 offset:1
	v_add_u32_e32 v47, 1, v42
                                        ; implicit-def: $vgpr42
; %bb.56:                               ;   in Loop: Header=BB52_2 Depth=1
	s_or_saveexec_b64 s[14:15], s[14:15]
	v_mov_b32_e32 v48, v45
	s_xor_b64 exec, exec, s[14:15]
	s_cbranch_execz .LBB52_1
; %bb.57:                               ;   in Loop: Header=BB52_2 Depth=1
	ds_read_u8 v48, v43 offset:1
	v_add_u32_e32 v43, 1, v43
	v_mov_b32_e32 v47, v42
	s_waitcnt lgkmcnt(1)
	v_mov_b32_e32 v46, v44
	s_branch .LBB52_1
.LBB52_58:
	s_add_u32 s0, s18, s20
	s_addc_u32 s1, s19, 0
	v_mov_b32_e32 v1, s1
	v_add_co_u32_e32 v0, vcc, s0, v0
	v_addc_co_u32_e32 v1, vcc, 0, v1, vcc
	global_store_byte v[0:1], v42, off
	global_store_byte v[0:1], v43, off offset:128
	s_endpgm
	.section	.rodata,"a",@progbits
	.p2align	6, 0x0
	.amdhsa_kernel _Z16sort_keys_kernelIaLj128ELj2EN10test_utils4lessELj10EEvPKT_PS2_T2_
		.amdhsa_group_segment_fixed_size 257
		.amdhsa_private_segment_fixed_size 0
		.amdhsa_kernarg_size 20
		.amdhsa_user_sgpr_count 6
		.amdhsa_user_sgpr_private_segment_buffer 1
		.amdhsa_user_sgpr_dispatch_ptr 0
		.amdhsa_user_sgpr_queue_ptr 0
		.amdhsa_user_sgpr_kernarg_segment_ptr 1
		.amdhsa_user_sgpr_dispatch_id 0
		.amdhsa_user_sgpr_flat_scratch_init 0
		.amdhsa_user_sgpr_private_segment_size 0
		.amdhsa_uses_dynamic_stack 0
		.amdhsa_system_sgpr_private_segment_wavefront_offset 0
		.amdhsa_system_sgpr_workgroup_id_x 1
		.amdhsa_system_sgpr_workgroup_id_y 0
		.amdhsa_system_sgpr_workgroup_id_z 0
		.amdhsa_system_sgpr_workgroup_info 0
		.amdhsa_system_vgpr_workitem_id 0
		.amdhsa_next_free_vgpr 49
		.amdhsa_next_free_sgpr 24
		.amdhsa_reserve_vcc 1
		.amdhsa_reserve_flat_scratch 0
		.amdhsa_float_round_mode_32 0
		.amdhsa_float_round_mode_16_64 0
		.amdhsa_float_denorm_mode_32 3
		.amdhsa_float_denorm_mode_16_64 3
		.amdhsa_dx10_clamp 1
		.amdhsa_ieee_mode 1
		.amdhsa_fp16_overflow 0
		.amdhsa_exception_fp_ieee_invalid_op 0
		.amdhsa_exception_fp_denorm_src 0
		.amdhsa_exception_fp_ieee_div_zero 0
		.amdhsa_exception_fp_ieee_overflow 0
		.amdhsa_exception_fp_ieee_underflow 0
		.amdhsa_exception_fp_ieee_inexact 0
		.amdhsa_exception_int_div_zero 0
	.end_amdhsa_kernel
	.section	.text._Z16sort_keys_kernelIaLj128ELj2EN10test_utils4lessELj10EEvPKT_PS2_T2_,"axG",@progbits,_Z16sort_keys_kernelIaLj128ELj2EN10test_utils4lessELj10EEvPKT_PS2_T2_,comdat
.Lfunc_end52:
	.size	_Z16sort_keys_kernelIaLj128ELj2EN10test_utils4lessELj10EEvPKT_PS2_T2_, .Lfunc_end52-_Z16sort_keys_kernelIaLj128ELj2EN10test_utils4lessELj10EEvPKT_PS2_T2_
                                        ; -- End function
	.set _Z16sort_keys_kernelIaLj128ELj2EN10test_utils4lessELj10EEvPKT_PS2_T2_.num_vgpr, 49
	.set _Z16sort_keys_kernelIaLj128ELj2EN10test_utils4lessELj10EEvPKT_PS2_T2_.num_agpr, 0
	.set _Z16sort_keys_kernelIaLj128ELj2EN10test_utils4lessELj10EEvPKT_PS2_T2_.numbered_sgpr, 24
	.set _Z16sort_keys_kernelIaLj128ELj2EN10test_utils4lessELj10EEvPKT_PS2_T2_.num_named_barrier, 0
	.set _Z16sort_keys_kernelIaLj128ELj2EN10test_utils4lessELj10EEvPKT_PS2_T2_.private_seg_size, 0
	.set _Z16sort_keys_kernelIaLj128ELj2EN10test_utils4lessELj10EEvPKT_PS2_T2_.uses_vcc, 1
	.set _Z16sort_keys_kernelIaLj128ELj2EN10test_utils4lessELj10EEvPKT_PS2_T2_.uses_flat_scratch, 0
	.set _Z16sort_keys_kernelIaLj128ELj2EN10test_utils4lessELj10EEvPKT_PS2_T2_.has_dyn_sized_stack, 0
	.set _Z16sort_keys_kernelIaLj128ELj2EN10test_utils4lessELj10EEvPKT_PS2_T2_.has_recursion, 0
	.set _Z16sort_keys_kernelIaLj128ELj2EN10test_utils4lessELj10EEvPKT_PS2_T2_.has_indirect_call, 0
	.section	.AMDGPU.csdata,"",@progbits
; Kernel info:
; codeLenInByte = 3108
; TotalNumSgprs: 28
; NumVgprs: 49
; ScratchSize: 0
; MemoryBound: 0
; FloatMode: 240
; IeeeMode: 1
; LDSByteSize: 257 bytes/workgroup (compile time only)
; SGPRBlocks: 3
; VGPRBlocks: 12
; NumSGPRsForWavesPerEU: 28
; NumVGPRsForWavesPerEU: 49
; Occupancy: 4
; WaveLimiterHint : 1
; COMPUTE_PGM_RSRC2:SCRATCH_EN: 0
; COMPUTE_PGM_RSRC2:USER_SGPR: 6
; COMPUTE_PGM_RSRC2:TRAP_HANDLER: 0
; COMPUTE_PGM_RSRC2:TGID_X_EN: 1
; COMPUTE_PGM_RSRC2:TGID_Y_EN: 0
; COMPUTE_PGM_RSRC2:TGID_Z_EN: 0
; COMPUTE_PGM_RSRC2:TIDIG_COMP_CNT: 0
	.section	.text._Z17sort_pairs_kernelIaLj128ELj2EN10test_utils4lessELj10EEvPKT_PS2_T2_,"axG",@progbits,_Z17sort_pairs_kernelIaLj128ELj2EN10test_utils4lessELj10EEvPKT_PS2_T2_,comdat
	.protected	_Z17sort_pairs_kernelIaLj128ELj2EN10test_utils4lessELj10EEvPKT_PS2_T2_ ; -- Begin function _Z17sort_pairs_kernelIaLj128ELj2EN10test_utils4lessELj10EEvPKT_PS2_T2_
	.globl	_Z17sort_pairs_kernelIaLj128ELj2EN10test_utils4lessELj10EEvPKT_PS2_T2_
	.p2align	8
	.type	_Z17sort_pairs_kernelIaLj128ELj2EN10test_utils4lessELj10EEvPKT_PS2_T2_,@function
_Z17sort_pairs_kernelIaLj128ELj2EN10test_utils4lessELj10EEvPKT_PS2_T2_: ; @_Z17sort_pairs_kernelIaLj128ELj2EN10test_utils4lessELj10EEvPKT_PS2_T2_
; %bb.0:
	s_load_dwordx4 s[20:23], s[4:5], 0x0
	s_lshl_b32 s24, s6, 8
	v_lshlrev_b32_e32 v1, 1, v0
	v_and_b32_e32 v2, 0xfc, v1
	v_and_b32_e32 v5, 0xf8, v1
	s_waitcnt lgkmcnt(0)
	s_add_u32 s0, s20, s24
	s_addc_u32 s1, s21, 0
	global_load_ubyte v45, v0, s[0:1]
	global_load_ubyte v44, v0, s[0:1] offset:128
	v_and_b32_e32 v8, 0xf0, v1
	v_and_b32_e32 v11, 0xe0, v1
	;; [unrolled: 1-line block ×4, first 2 shown]
	v_or_b32_e32 v3, 2, v2
	v_add_u32_e32 v4, 4, v2
	v_or_b32_e32 v6, 4, v5
	v_add_u32_e32 v7, 8, v5
	;; [unrolled: 2-line block ×6, first 2 shown]
	v_and_b32_e32 v22, 2, v1
	v_sub_u32_e32 v20, v4, v3
	v_and_b32_e32 v25, 6, v1
	v_sub_u32_e32 v23, v7, v6
	;; [unrolled: 2-line block ×6, first 2 shown]
	v_sub_u32_e32 v21, v22, v20
	v_sub_u32_e32 v24, v25, v23
	;; [unrolled: 1-line block ×6, first 2 shown]
	v_cmp_ge_i32_e32 vcc, v22, v20
	v_cmp_ge_i32_e64 s[0:1], v25, v23
	v_cmp_ge_i32_e64 s[2:3], v28, v26
	;; [unrolled: 1-line block ×5, first 2 shown]
	v_cndmask_b32_e32 v20, 0, v21, vcc
	v_sub_u32_e32 v21, v3, v2
	v_cndmask_b32_e64 v23, 0, v24, s[0:1]
	v_sub_u32_e32 v24, v6, v5
	v_cndmask_b32_e64 v26, 0, v27, s[2:3]
	;; [unrolled: 2-line block ×5, first 2 shown]
	v_sub_u32_e32 v36, v18, v17
	v_mov_b32_e32 v38, 0x80
	v_min_i32_e32 v21, v22, v21
	v_min_i32_e32 v24, v25, v24
	;; [unrolled: 1-line block ×6, first 2 shown]
	v_sub_u32_e64 v39, v1, v38 clamp
	v_min_i32_e32 v40, 0x80, v1
	s_mov_b32 s20, 0
	v_cmp_lt_i32_e32 vcc, v20, v21
	v_add_u32_e32 v22, v3, v22
	v_cmp_lt_i32_e64 s[0:1], v23, v24
	v_add_u32_e32 v25, v6, v25
	v_cmp_lt_i32_e64 s[2:3], v26, v27
	v_add_u32_e32 v28, v9, v28
	v_cmp_lt_i32_e64 s[4:5], v29, v30
	v_add_u32_e32 v31, v12, v31
	v_cmp_lt_i32_e64 s[6:7], v32, v33
	v_add_u32_e32 v34, v15, v34
	v_cmp_lt_i32_e64 s[8:9], v35, v36
	v_add_u32_e32 v37, v18, v37
	v_cmp_lt_i32_e64 s[10:11], v39, v40
	s_mov_b32 s21, 0xc0c0004
	s_movk_i32 s25, 0x100
	v_add_u32_e32 v41, 0x80, v1
	s_waitcnt vmcnt(1)
	v_add_u16_e32 v42, 1, v45
	s_waitcnt vmcnt(0)
	v_add_u16_e32 v43, 1, v44
	s_branch .LBB53_2
.LBB53_1:                               ;   in Loop: Header=BB53_2 Depth=1
	s_or_b64 exec, exec, s[14:15]
	v_cmp_ge_i32_e64 s[16:17], v48, v38
	s_waitcnt lgkmcnt(0)
	v_cmp_lt_i16_sdwa s[18:19], sext(v51), sext(v49) src0_sel:BYTE_0 src1_sel:BYTE_0
	v_cmp_gt_i32_e64 s[14:15], s25, v47
	s_or_b64 s[16:17], s[16:17], s[18:19]
	s_and_b64 s[14:15], s[14:15], s[16:17]
	v_cndmask_b32_e64 v47, v48, v47, s[14:15]
	s_barrier
	ds_write_b8 v1, v42
	ds_write_b8 v1, v43 offset:1
	s_waitcnt lgkmcnt(0)
	s_barrier
	ds_read_u8 v42, v50
	ds_read_u8 v43, v47
	s_add_i32 s20, s20, 1
	v_cndmask_b32_e64 v44, v49, v51, s[14:15]
	s_cmp_eq_u32 s20, 10
	v_cndmask_b32_e64 v45, v45, v46, s[12:13]
	s_cbranch_scc1 .LBB53_58
.LBB53_2:                               ; =>This Loop Header: Depth=1
                                        ;     Child Loop BB53_4 Depth 2
                                        ;     Child Loop BB53_12 Depth 2
                                        ;     Child Loop BB53_20 Depth 2
                                        ;     Child Loop BB53_28 Depth 2
                                        ;     Child Loop BB53_36 Depth 2
                                        ;     Child Loop BB53_44 Depth 2
                                        ;     Child Loop BB53_52 Depth 2
	v_perm_b32 v46, v44, v45, s21
	v_perm_b32 v47, v45, v44, s21
	v_cmp_lt_i16_sdwa s[12:13], sext(v44), sext(v45) src0_sel:BYTE_0 src1_sel:BYTE_0
	v_cndmask_b32_e64 v44, v47, v46, s[12:13]
	s_waitcnt lgkmcnt(0)
	s_barrier
	ds_write_b8 v1, v44
	v_lshrrev_b16_e32 v44, 8, v44
	v_mov_b32_e32 v45, v20
	ds_write_b8 v1, v44 offset:1
	s_waitcnt lgkmcnt(0)
	s_barrier
	s_and_saveexec_b64 s[16:17], vcc
	s_cbranch_execz .LBB53_6
; %bb.3:                                ;   in Loop: Header=BB53_2 Depth=1
	s_mov_b64 s[18:19], 0
	v_mov_b32_e32 v45, v20
	v_mov_b32_e32 v44, v21
.LBB53_4:                               ;   Parent Loop BB53_2 Depth=1
                                        ; =>  This Inner Loop Header: Depth=2
	v_sub_u32_e32 v46, v44, v45
	v_lshrrev_b32_e32 v46, 1, v46
	v_add_u32_e32 v46, v46, v45
	v_add_u32_e32 v47, v2, v46
	v_xad_u32 v48, v46, -1, v22
	ds_read_i8 v47, v47
	ds_read_i8 v48, v48
	v_add_u32_e32 v49, 1, v46
	s_waitcnt lgkmcnt(0)
	v_cmp_lt_i16_e64 s[14:15], v48, v47
	v_cndmask_b32_e64 v44, v44, v46, s[14:15]
	v_cndmask_b32_e64 v45, v49, v45, s[14:15]
	v_cmp_ge_i32_e64 s[14:15], v45, v44
	s_or_b64 s[18:19], s[14:15], s[18:19]
	s_andn2_b64 exec, exec, s[18:19]
	s_cbranch_execnz .LBB53_4
; %bb.5:                                ;   in Loop: Header=BB53_2 Depth=1
	s_or_b64 exec, exec, s[18:19]
.LBB53_6:                               ;   in Loop: Header=BB53_2 Depth=1
	s_or_b64 exec, exec, s[16:17]
	v_add_u32_e32 v44, v45, v2
	v_sub_u32_e32 v45, v22, v45
	ds_read_u8 v46, v44
	ds_read_u8 v48, v45
	v_cmp_le_i32_e64 s[16:17], v3, v44
	v_cmp_gt_i32_e64 s[14:15], v4, v45
	s_waitcnt lgkmcnt(1)
	v_bfe_i32 v47, v46, 0, 8
	s_waitcnt lgkmcnt(0)
	v_bfe_i32 v48, v48, 0, 8
	v_cmp_lt_i16_e64 s[18:19], v48, v47
	s_or_b64 s[16:17], s[16:17], s[18:19]
	s_and_b64 s[14:15], s[14:15], s[16:17]
	s_xor_b64 s[16:17], s[14:15], -1
                                        ; implicit-def: $vgpr46
	s_and_saveexec_b64 s[18:19], s[16:17]
	s_xor_b64 s[16:17], exec, s[18:19]
; %bb.7:                                ;   in Loop: Header=BB53_2 Depth=1
	ds_read_u8 v46, v44 offset:1
; %bb.8:                                ;   in Loop: Header=BB53_2 Depth=1
	s_or_saveexec_b64 s[16:17], s[16:17]
	v_mov_b32_e32 v49, v48
	s_xor_b64 exec, exec, s[16:17]
	s_cbranch_execz .LBB53_10
; %bb.9:                                ;   in Loop: Header=BB53_2 Depth=1
	ds_read_u8 v49, v45 offset:1
	s_waitcnt lgkmcnt(1)
	v_mov_b32_e32 v46, v47
.LBB53_10:                              ;   in Loop: Header=BB53_2 Depth=1
	s_or_b64 exec, exec, s[16:17]
	v_add_u32_e32 v50, 1, v44
	v_cndmask_b32_e64 v47, v47, v48, s[14:15]
	v_add_u32_e32 v48, 1, v45
	v_cndmask_b32_e64 v50, v50, v44, s[14:15]
	v_cndmask_b32_e64 v48, v45, v48, s[14:15]
	;; [unrolled: 1-line block ×3, first 2 shown]
	v_perm_b32 v45, v43, v42, s21
	v_perm_b32 v42, v42, v43, s21
	v_cmp_ge_i32_e64 s[14:15], v50, v3
	s_waitcnt lgkmcnt(0)
	v_cmp_lt_i16_sdwa s[16:17], sext(v49), sext(v46) src0_sel:BYTE_0 src1_sel:BYTE_0
	v_cndmask_b32_e64 v42, v42, v45, s[12:13]
	v_cmp_lt_i32_e64 s[12:13], v48, v4
	s_or_b64 s[14:15], s[14:15], s[16:17]
	s_and_b64 s[12:13], s[12:13], s[14:15]
	v_cndmask_b32_e64 v43, v50, v48, s[12:13]
	s_barrier
	ds_write_b8 v1, v42
	v_lshrrev_b16_e32 v42, 8, v42
	ds_write_b8 v1, v42 offset:1
	s_waitcnt lgkmcnt(0)
	s_barrier
	ds_read_u8 v42, v44
	ds_read_u8 v43, v43
	v_cndmask_b32_e64 v45, v46, v49, s[12:13]
	s_waitcnt lgkmcnt(0)
	s_barrier
	ds_write_b8 v1, v47
	ds_write_b8 v1, v45 offset:1
	v_mov_b32_e32 v45, v23
	s_waitcnt lgkmcnt(0)
	s_barrier
	s_and_saveexec_b64 s[14:15], s[0:1]
	s_cbranch_execz .LBB53_14
; %bb.11:                               ;   in Loop: Header=BB53_2 Depth=1
	s_mov_b64 s[16:17], 0
	v_mov_b32_e32 v45, v23
	v_mov_b32_e32 v44, v24
.LBB53_12:                              ;   Parent Loop BB53_2 Depth=1
                                        ; =>  This Inner Loop Header: Depth=2
	v_sub_u32_e32 v46, v44, v45
	v_lshrrev_b32_e32 v46, 1, v46
	v_add_u32_e32 v46, v46, v45
	v_add_u32_e32 v47, v5, v46
	v_xad_u32 v48, v46, -1, v25
	ds_read_i8 v47, v47
	ds_read_i8 v48, v48
	v_add_u32_e32 v49, 1, v46
	s_waitcnt lgkmcnt(0)
	v_cmp_lt_i16_e64 s[12:13], v48, v47
	v_cndmask_b32_e64 v44, v44, v46, s[12:13]
	v_cndmask_b32_e64 v45, v49, v45, s[12:13]
	v_cmp_ge_i32_e64 s[12:13], v45, v44
	s_or_b64 s[16:17], s[12:13], s[16:17]
	s_andn2_b64 exec, exec, s[16:17]
	s_cbranch_execnz .LBB53_12
; %bb.13:                               ;   in Loop: Header=BB53_2 Depth=1
	s_or_b64 exec, exec, s[16:17]
.LBB53_14:                              ;   in Loop: Header=BB53_2 Depth=1
	s_or_b64 exec, exec, s[14:15]
	v_add_u32_e32 v44, v45, v5
	v_sub_u32_e32 v45, v25, v45
	ds_read_u8 v46, v44
	ds_read_u8 v48, v45
	v_cmp_le_i32_e64 s[14:15], v6, v44
	v_cmp_gt_i32_e64 s[12:13], v7, v45
	s_waitcnt lgkmcnt(1)
	v_bfe_i32 v47, v46, 0, 8
	s_waitcnt lgkmcnt(0)
	v_bfe_i32 v48, v48, 0, 8
	v_cmp_lt_i16_e64 s[16:17], v48, v47
	s_or_b64 s[14:15], s[14:15], s[16:17]
	s_and_b64 s[12:13], s[12:13], s[14:15]
	s_xor_b64 s[14:15], s[12:13], -1
                                        ; implicit-def: $vgpr46
	s_and_saveexec_b64 s[16:17], s[14:15]
	s_xor_b64 s[14:15], exec, s[16:17]
; %bb.15:                               ;   in Loop: Header=BB53_2 Depth=1
	ds_read_u8 v46, v44 offset:1
; %bb.16:                               ;   in Loop: Header=BB53_2 Depth=1
	s_or_saveexec_b64 s[14:15], s[14:15]
	v_mov_b32_e32 v49, v48
	s_xor_b64 exec, exec, s[14:15]
	s_cbranch_execz .LBB53_18
; %bb.17:                               ;   in Loop: Header=BB53_2 Depth=1
	ds_read_u8 v49, v45 offset:1
	s_waitcnt lgkmcnt(1)
	v_mov_b32_e32 v46, v47
.LBB53_18:                              ;   in Loop: Header=BB53_2 Depth=1
	s_or_b64 exec, exec, s[14:15]
	v_add_u32_e32 v50, 1, v44
	v_cndmask_b32_e64 v47, v47, v48, s[12:13]
	v_add_u32_e32 v48, 1, v45
	v_cndmask_b32_e64 v50, v50, v44, s[12:13]
	v_cndmask_b32_e64 v48, v45, v48, s[12:13]
	v_cmp_ge_i32_e64 s[14:15], v50, v6
	s_waitcnt lgkmcnt(0)
	v_cmp_lt_i16_sdwa s[16:17], sext(v49), sext(v46) src0_sel:BYTE_0 src1_sel:BYTE_0
	v_cndmask_b32_e64 v44, v44, v45, s[12:13]
	v_cmp_lt_i32_e64 s[12:13], v48, v7
	s_or_b64 s[14:15], s[14:15], s[16:17]
	s_and_b64 s[12:13], s[12:13], s[14:15]
	v_cndmask_b32_e64 v45, v46, v49, s[12:13]
	v_cndmask_b32_e64 v46, v50, v48, s[12:13]
	s_barrier
	ds_write_b8 v1, v42
	ds_write_b8 v1, v43 offset:1
	s_waitcnt lgkmcnt(0)
	s_barrier
	ds_read_u8 v42, v44
	ds_read_u8 v43, v46
	s_waitcnt lgkmcnt(0)
	s_barrier
	ds_write_b8 v1, v47
	ds_write_b8 v1, v45 offset:1
	v_mov_b32_e32 v45, v26
	s_waitcnt lgkmcnt(0)
	s_barrier
	s_and_saveexec_b64 s[14:15], s[2:3]
	s_cbranch_execz .LBB53_22
; %bb.19:                               ;   in Loop: Header=BB53_2 Depth=1
	s_mov_b64 s[16:17], 0
	v_mov_b32_e32 v45, v26
	v_mov_b32_e32 v44, v27
.LBB53_20:                              ;   Parent Loop BB53_2 Depth=1
                                        ; =>  This Inner Loop Header: Depth=2
	v_sub_u32_e32 v46, v44, v45
	v_lshrrev_b32_e32 v46, 1, v46
	v_add_u32_e32 v46, v46, v45
	v_add_u32_e32 v47, v8, v46
	v_xad_u32 v48, v46, -1, v28
	ds_read_i8 v47, v47
	ds_read_i8 v48, v48
	v_add_u32_e32 v49, 1, v46
	s_waitcnt lgkmcnt(0)
	v_cmp_lt_i16_e64 s[12:13], v48, v47
	v_cndmask_b32_e64 v44, v44, v46, s[12:13]
	v_cndmask_b32_e64 v45, v49, v45, s[12:13]
	v_cmp_ge_i32_e64 s[12:13], v45, v44
	s_or_b64 s[16:17], s[12:13], s[16:17]
	s_andn2_b64 exec, exec, s[16:17]
	s_cbranch_execnz .LBB53_20
; %bb.21:                               ;   in Loop: Header=BB53_2 Depth=1
	s_or_b64 exec, exec, s[16:17]
.LBB53_22:                              ;   in Loop: Header=BB53_2 Depth=1
	s_or_b64 exec, exec, s[14:15]
	v_add_u32_e32 v44, v45, v8
	v_sub_u32_e32 v45, v28, v45
	ds_read_u8 v46, v44
	ds_read_u8 v48, v45
	v_cmp_le_i32_e64 s[14:15], v9, v44
	v_cmp_gt_i32_e64 s[12:13], v10, v45
	s_waitcnt lgkmcnt(1)
	v_bfe_i32 v47, v46, 0, 8
	s_waitcnt lgkmcnt(0)
	v_bfe_i32 v48, v48, 0, 8
	v_cmp_lt_i16_e64 s[16:17], v48, v47
	s_or_b64 s[14:15], s[14:15], s[16:17]
	s_and_b64 s[12:13], s[12:13], s[14:15]
	s_xor_b64 s[14:15], s[12:13], -1
                                        ; implicit-def: $vgpr46
	s_and_saveexec_b64 s[16:17], s[14:15]
	s_xor_b64 s[14:15], exec, s[16:17]
; %bb.23:                               ;   in Loop: Header=BB53_2 Depth=1
	ds_read_u8 v46, v44 offset:1
; %bb.24:                               ;   in Loop: Header=BB53_2 Depth=1
	s_or_saveexec_b64 s[14:15], s[14:15]
	v_mov_b32_e32 v49, v48
	s_xor_b64 exec, exec, s[14:15]
	s_cbranch_execz .LBB53_26
; %bb.25:                               ;   in Loop: Header=BB53_2 Depth=1
	ds_read_u8 v49, v45 offset:1
	s_waitcnt lgkmcnt(1)
	v_mov_b32_e32 v46, v47
.LBB53_26:                              ;   in Loop: Header=BB53_2 Depth=1
	s_or_b64 exec, exec, s[14:15]
	v_add_u32_e32 v50, 1, v44
	v_cndmask_b32_e64 v47, v47, v48, s[12:13]
	v_add_u32_e32 v48, 1, v45
	v_cndmask_b32_e64 v50, v50, v44, s[12:13]
	v_cndmask_b32_e64 v48, v45, v48, s[12:13]
	v_cmp_ge_i32_e64 s[14:15], v50, v9
	s_waitcnt lgkmcnt(0)
	v_cmp_lt_i16_sdwa s[16:17], sext(v49), sext(v46) src0_sel:BYTE_0 src1_sel:BYTE_0
	v_cndmask_b32_e64 v44, v44, v45, s[12:13]
	v_cmp_lt_i32_e64 s[12:13], v48, v10
	s_or_b64 s[14:15], s[14:15], s[16:17]
	s_and_b64 s[12:13], s[12:13], s[14:15]
	v_cndmask_b32_e64 v45, v46, v49, s[12:13]
	v_cndmask_b32_e64 v46, v50, v48, s[12:13]
	s_barrier
	ds_write_b8 v1, v42
	ds_write_b8 v1, v43 offset:1
	s_waitcnt lgkmcnt(0)
	s_barrier
	ds_read_u8 v42, v44
	ds_read_u8 v43, v46
	s_waitcnt lgkmcnt(0)
	s_barrier
	ds_write_b8 v1, v47
	ds_write_b8 v1, v45 offset:1
	v_mov_b32_e32 v45, v29
	s_waitcnt lgkmcnt(0)
	s_barrier
	s_and_saveexec_b64 s[14:15], s[4:5]
	s_cbranch_execz .LBB53_30
; %bb.27:                               ;   in Loop: Header=BB53_2 Depth=1
	s_mov_b64 s[16:17], 0
	v_mov_b32_e32 v45, v29
	v_mov_b32_e32 v44, v30
.LBB53_28:                              ;   Parent Loop BB53_2 Depth=1
                                        ; =>  This Inner Loop Header: Depth=2
	v_sub_u32_e32 v46, v44, v45
	v_lshrrev_b32_e32 v46, 1, v46
	v_add_u32_e32 v46, v46, v45
	v_add_u32_e32 v47, v11, v46
	v_xad_u32 v48, v46, -1, v31
	ds_read_i8 v47, v47
	ds_read_i8 v48, v48
	v_add_u32_e32 v49, 1, v46
	s_waitcnt lgkmcnt(0)
	v_cmp_lt_i16_e64 s[12:13], v48, v47
	v_cndmask_b32_e64 v44, v44, v46, s[12:13]
	v_cndmask_b32_e64 v45, v49, v45, s[12:13]
	v_cmp_ge_i32_e64 s[12:13], v45, v44
	s_or_b64 s[16:17], s[12:13], s[16:17]
	s_andn2_b64 exec, exec, s[16:17]
	s_cbranch_execnz .LBB53_28
; %bb.29:                               ;   in Loop: Header=BB53_2 Depth=1
	s_or_b64 exec, exec, s[16:17]
.LBB53_30:                              ;   in Loop: Header=BB53_2 Depth=1
	s_or_b64 exec, exec, s[14:15]
	v_add_u32_e32 v44, v45, v11
	v_sub_u32_e32 v45, v31, v45
	ds_read_u8 v46, v44
	ds_read_u8 v48, v45
	v_cmp_le_i32_e64 s[14:15], v12, v44
	v_cmp_gt_i32_e64 s[12:13], v13, v45
	s_waitcnt lgkmcnt(1)
	v_bfe_i32 v47, v46, 0, 8
	s_waitcnt lgkmcnt(0)
	v_bfe_i32 v48, v48, 0, 8
	v_cmp_lt_i16_e64 s[16:17], v48, v47
	s_or_b64 s[14:15], s[14:15], s[16:17]
	s_and_b64 s[12:13], s[12:13], s[14:15]
	s_xor_b64 s[14:15], s[12:13], -1
                                        ; implicit-def: $vgpr46
	s_and_saveexec_b64 s[16:17], s[14:15]
	s_xor_b64 s[14:15], exec, s[16:17]
; %bb.31:                               ;   in Loop: Header=BB53_2 Depth=1
	ds_read_u8 v46, v44 offset:1
; %bb.32:                               ;   in Loop: Header=BB53_2 Depth=1
	s_or_saveexec_b64 s[14:15], s[14:15]
	v_mov_b32_e32 v49, v48
	s_xor_b64 exec, exec, s[14:15]
	s_cbranch_execz .LBB53_34
; %bb.33:                               ;   in Loop: Header=BB53_2 Depth=1
	ds_read_u8 v49, v45 offset:1
	s_waitcnt lgkmcnt(1)
	v_mov_b32_e32 v46, v47
.LBB53_34:                              ;   in Loop: Header=BB53_2 Depth=1
	s_or_b64 exec, exec, s[14:15]
	v_add_u32_e32 v50, 1, v44
	v_cndmask_b32_e64 v47, v47, v48, s[12:13]
	v_add_u32_e32 v48, 1, v45
	v_cndmask_b32_e64 v50, v50, v44, s[12:13]
	v_cndmask_b32_e64 v48, v45, v48, s[12:13]
	v_cmp_ge_i32_e64 s[14:15], v50, v12
	s_waitcnt lgkmcnt(0)
	v_cmp_lt_i16_sdwa s[16:17], sext(v49), sext(v46) src0_sel:BYTE_0 src1_sel:BYTE_0
	v_cndmask_b32_e64 v44, v44, v45, s[12:13]
	v_cmp_lt_i32_e64 s[12:13], v48, v13
	s_or_b64 s[14:15], s[14:15], s[16:17]
	s_and_b64 s[12:13], s[12:13], s[14:15]
	v_cndmask_b32_e64 v45, v46, v49, s[12:13]
	v_cndmask_b32_e64 v46, v50, v48, s[12:13]
	s_barrier
	ds_write_b8 v1, v42
	ds_write_b8 v1, v43 offset:1
	s_waitcnt lgkmcnt(0)
	s_barrier
	ds_read_u8 v42, v44
	ds_read_u8 v43, v46
	s_waitcnt lgkmcnt(0)
	s_barrier
	ds_write_b8 v1, v47
	ds_write_b8 v1, v45 offset:1
	v_mov_b32_e32 v45, v32
	s_waitcnt lgkmcnt(0)
	s_barrier
	s_and_saveexec_b64 s[14:15], s[6:7]
	s_cbranch_execz .LBB53_38
; %bb.35:                               ;   in Loop: Header=BB53_2 Depth=1
	s_mov_b64 s[16:17], 0
	v_mov_b32_e32 v45, v32
	v_mov_b32_e32 v44, v33
.LBB53_36:                              ;   Parent Loop BB53_2 Depth=1
                                        ; =>  This Inner Loop Header: Depth=2
	v_sub_u32_e32 v46, v44, v45
	v_lshrrev_b32_e32 v46, 1, v46
	v_add_u32_e32 v46, v46, v45
	v_add_u32_e32 v47, v14, v46
	v_xad_u32 v48, v46, -1, v34
	ds_read_i8 v47, v47
	ds_read_i8 v48, v48
	v_add_u32_e32 v49, 1, v46
	s_waitcnt lgkmcnt(0)
	v_cmp_lt_i16_e64 s[12:13], v48, v47
	v_cndmask_b32_e64 v44, v44, v46, s[12:13]
	v_cndmask_b32_e64 v45, v49, v45, s[12:13]
	v_cmp_ge_i32_e64 s[12:13], v45, v44
	s_or_b64 s[16:17], s[12:13], s[16:17]
	s_andn2_b64 exec, exec, s[16:17]
	s_cbranch_execnz .LBB53_36
; %bb.37:                               ;   in Loop: Header=BB53_2 Depth=1
	s_or_b64 exec, exec, s[16:17]
.LBB53_38:                              ;   in Loop: Header=BB53_2 Depth=1
	s_or_b64 exec, exec, s[14:15]
	v_add_u32_e32 v44, v45, v14
	v_sub_u32_e32 v45, v34, v45
	ds_read_u8 v46, v44
	ds_read_u8 v48, v45
	v_cmp_le_i32_e64 s[14:15], v15, v44
	v_cmp_gt_i32_e64 s[12:13], v16, v45
	s_waitcnt lgkmcnt(1)
	v_bfe_i32 v47, v46, 0, 8
	s_waitcnt lgkmcnt(0)
	v_bfe_i32 v48, v48, 0, 8
	v_cmp_lt_i16_e64 s[16:17], v48, v47
	s_or_b64 s[14:15], s[14:15], s[16:17]
	s_and_b64 s[12:13], s[12:13], s[14:15]
	s_xor_b64 s[14:15], s[12:13], -1
                                        ; implicit-def: $vgpr46
	s_and_saveexec_b64 s[16:17], s[14:15]
	s_xor_b64 s[14:15], exec, s[16:17]
; %bb.39:                               ;   in Loop: Header=BB53_2 Depth=1
	ds_read_u8 v46, v44 offset:1
; %bb.40:                               ;   in Loop: Header=BB53_2 Depth=1
	s_or_saveexec_b64 s[14:15], s[14:15]
	v_mov_b32_e32 v49, v48
	s_xor_b64 exec, exec, s[14:15]
	s_cbranch_execz .LBB53_42
; %bb.41:                               ;   in Loop: Header=BB53_2 Depth=1
	ds_read_u8 v49, v45 offset:1
	s_waitcnt lgkmcnt(1)
	v_mov_b32_e32 v46, v47
.LBB53_42:                              ;   in Loop: Header=BB53_2 Depth=1
	s_or_b64 exec, exec, s[14:15]
	v_add_u32_e32 v50, 1, v44
	v_cndmask_b32_e64 v47, v47, v48, s[12:13]
	v_add_u32_e32 v48, 1, v45
	v_cndmask_b32_e64 v50, v50, v44, s[12:13]
	v_cndmask_b32_e64 v48, v45, v48, s[12:13]
	v_cmp_ge_i32_e64 s[14:15], v50, v15
	s_waitcnt lgkmcnt(0)
	v_cmp_lt_i16_sdwa s[16:17], sext(v49), sext(v46) src0_sel:BYTE_0 src1_sel:BYTE_0
	v_cndmask_b32_e64 v44, v44, v45, s[12:13]
	v_cmp_lt_i32_e64 s[12:13], v48, v16
	s_or_b64 s[14:15], s[14:15], s[16:17]
	s_and_b64 s[12:13], s[12:13], s[14:15]
	v_cndmask_b32_e64 v45, v46, v49, s[12:13]
	v_cndmask_b32_e64 v46, v50, v48, s[12:13]
	s_barrier
	ds_write_b8 v1, v42
	ds_write_b8 v1, v43 offset:1
	s_waitcnt lgkmcnt(0)
	s_barrier
	ds_read_u8 v42, v44
	ds_read_u8 v43, v46
	s_waitcnt lgkmcnt(0)
	s_barrier
	ds_write_b8 v1, v47
	ds_write_b8 v1, v45 offset:1
	v_mov_b32_e32 v45, v35
	s_waitcnt lgkmcnt(0)
	s_barrier
	s_and_saveexec_b64 s[14:15], s[8:9]
	s_cbranch_execz .LBB53_46
; %bb.43:                               ;   in Loop: Header=BB53_2 Depth=1
	s_mov_b64 s[16:17], 0
	v_mov_b32_e32 v45, v35
	v_mov_b32_e32 v44, v36
.LBB53_44:                              ;   Parent Loop BB53_2 Depth=1
                                        ; =>  This Inner Loop Header: Depth=2
	v_sub_u32_e32 v46, v44, v45
	v_lshrrev_b32_e32 v46, 1, v46
	v_add_u32_e32 v46, v46, v45
	v_add_u32_e32 v47, v17, v46
	v_xad_u32 v48, v46, -1, v37
	ds_read_i8 v47, v47
	ds_read_i8 v48, v48
	v_add_u32_e32 v49, 1, v46
	s_waitcnt lgkmcnt(0)
	v_cmp_lt_i16_e64 s[12:13], v48, v47
	v_cndmask_b32_e64 v44, v44, v46, s[12:13]
	v_cndmask_b32_e64 v45, v49, v45, s[12:13]
	v_cmp_ge_i32_e64 s[12:13], v45, v44
	s_or_b64 s[16:17], s[12:13], s[16:17]
	s_andn2_b64 exec, exec, s[16:17]
	s_cbranch_execnz .LBB53_44
; %bb.45:                               ;   in Loop: Header=BB53_2 Depth=1
	s_or_b64 exec, exec, s[16:17]
.LBB53_46:                              ;   in Loop: Header=BB53_2 Depth=1
	s_or_b64 exec, exec, s[14:15]
	v_add_u32_e32 v44, v45, v17
	v_sub_u32_e32 v45, v37, v45
	ds_read_u8 v46, v44
	ds_read_u8 v48, v45
	v_cmp_le_i32_e64 s[14:15], v18, v44
	v_cmp_gt_i32_e64 s[12:13], v19, v45
	s_waitcnt lgkmcnt(1)
	v_bfe_i32 v47, v46, 0, 8
	s_waitcnt lgkmcnt(0)
	v_bfe_i32 v48, v48, 0, 8
	v_cmp_lt_i16_e64 s[16:17], v48, v47
	s_or_b64 s[14:15], s[14:15], s[16:17]
	s_and_b64 s[12:13], s[12:13], s[14:15]
	s_xor_b64 s[14:15], s[12:13], -1
                                        ; implicit-def: $vgpr46
	s_and_saveexec_b64 s[16:17], s[14:15]
	s_xor_b64 s[14:15], exec, s[16:17]
; %bb.47:                               ;   in Loop: Header=BB53_2 Depth=1
	ds_read_u8 v46, v44 offset:1
; %bb.48:                               ;   in Loop: Header=BB53_2 Depth=1
	s_or_saveexec_b64 s[14:15], s[14:15]
	v_mov_b32_e32 v49, v48
	s_xor_b64 exec, exec, s[14:15]
	s_cbranch_execz .LBB53_50
; %bb.49:                               ;   in Loop: Header=BB53_2 Depth=1
	ds_read_u8 v49, v45 offset:1
	s_waitcnt lgkmcnt(1)
	v_mov_b32_e32 v46, v47
.LBB53_50:                              ;   in Loop: Header=BB53_2 Depth=1
	s_or_b64 exec, exec, s[14:15]
	v_add_u32_e32 v50, 1, v44
	v_cndmask_b32_e64 v47, v47, v48, s[12:13]
	v_add_u32_e32 v48, 1, v45
	v_cndmask_b32_e64 v50, v50, v44, s[12:13]
	v_cndmask_b32_e64 v48, v45, v48, s[12:13]
	v_cmp_ge_i32_e64 s[14:15], v50, v18
	s_waitcnt lgkmcnt(0)
	v_cmp_lt_i16_sdwa s[16:17], sext(v49), sext(v46) src0_sel:BYTE_0 src1_sel:BYTE_0
	v_cndmask_b32_e64 v44, v44, v45, s[12:13]
	v_cmp_lt_i32_e64 s[12:13], v48, v19
	s_or_b64 s[14:15], s[14:15], s[16:17]
	s_and_b64 s[12:13], s[12:13], s[14:15]
	v_cndmask_b32_e64 v45, v46, v49, s[12:13]
	v_cndmask_b32_e64 v46, v50, v48, s[12:13]
	s_barrier
	ds_write_b8 v1, v42
	ds_write_b8 v1, v43 offset:1
	s_waitcnt lgkmcnt(0)
	s_barrier
	ds_read_u8 v42, v44
	ds_read_u8 v43, v46
	v_mov_b32_e32 v44, v39
	s_waitcnt lgkmcnt(0)
	s_barrier
	ds_write_b8 v1, v47
	ds_write_b8 v1, v45 offset:1
	s_waitcnt lgkmcnt(0)
	s_barrier
	s_and_saveexec_b64 s[14:15], s[10:11]
	s_cbranch_execz .LBB53_54
; %bb.51:                               ;   in Loop: Header=BB53_2 Depth=1
	s_mov_b64 s[16:17], 0
	v_mov_b32_e32 v44, v39
	v_mov_b32_e32 v45, v40
.LBB53_52:                              ;   Parent Loop BB53_2 Depth=1
                                        ; =>  This Inner Loop Header: Depth=2
	v_sub_u32_e32 v46, v45, v44
	v_lshrrev_b32_e32 v46, 1, v46
	v_add_u32_e32 v46, v46, v44
	v_xad_u32 v47, v46, -1, v41
	ds_read_i8 v48, v46
	ds_read_i8 v47, v47
	v_add_u32_e32 v49, 1, v46
	s_waitcnt lgkmcnt(0)
	v_cmp_lt_i16_e64 s[12:13], v47, v48
	v_cndmask_b32_e64 v45, v45, v46, s[12:13]
	v_cndmask_b32_e64 v44, v49, v44, s[12:13]
	v_cmp_ge_i32_e64 s[12:13], v44, v45
	s_or_b64 s[16:17], s[12:13], s[16:17]
	s_andn2_b64 exec, exec, s[16:17]
	s_cbranch_execnz .LBB53_52
; %bb.53:                               ;   in Loop: Header=BB53_2 Depth=1
	s_or_b64 exec, exec, s[16:17]
.LBB53_54:                              ;   in Loop: Header=BB53_2 Depth=1
	s_or_b64 exec, exec, s[14:15]
	v_sub_u32_e32 v47, v41, v44
	ds_read_u8 v45, v44
	ds_read_u8 v46, v47
	v_cmp_le_i32_e64 s[14:15], v38, v44
	v_cmp_gt_i32_e64 s[12:13], s25, v47
                                        ; implicit-def: $vgpr49
                                        ; implicit-def: $vgpr48
	s_waitcnt lgkmcnt(1)
	v_bfe_i32 v45, v45, 0, 8
	s_waitcnt lgkmcnt(0)
	v_bfe_i32 v46, v46, 0, 8
	v_cmp_lt_i16_e64 s[16:17], v46, v45
	s_or_b64 s[14:15], s[14:15], s[16:17]
	s_and_b64 s[12:13], s[12:13], s[14:15]
	s_xor_b64 s[14:15], s[12:13], -1
	s_and_saveexec_b64 s[16:17], s[14:15]
	s_xor_b64 s[14:15], exec, s[16:17]
; %bb.55:                               ;   in Loop: Header=BB53_2 Depth=1
	ds_read_u8 v49, v44 offset:1
	v_add_u32_e32 v48, 1, v44
; %bb.56:                               ;   in Loop: Header=BB53_2 Depth=1
	s_or_saveexec_b64 s[14:15], s[14:15]
	v_mov_b32_e32 v50, v44
	v_mov_b32_e32 v51, v46
	s_xor_b64 exec, exec, s[14:15]
	s_cbranch_execz .LBB53_1
; %bb.57:                               ;   in Loop: Header=BB53_2 Depth=1
	ds_read_u8 v51, v47 offset:1
	s_waitcnt lgkmcnt(1)
	v_add_u32_e32 v49, 1, v47
	v_mov_b32_e32 v50, v47
	v_mov_b32_e32 v48, v44
	;; [unrolled: 1-line block ×4, first 2 shown]
	s_branch .LBB53_1
.LBB53_58:
	s_add_u32 s0, s22, s24
	s_addc_u32 s1, s23, 0
	v_mov_b32_e32 v1, s1
	v_add_co_u32_e32 v0, vcc, s0, v0
	s_waitcnt lgkmcnt(1)
	v_add_u16_e32 v2, v45, v42
	v_addc_co_u32_e32 v1, vcc, 0, v1, vcc
	s_waitcnt lgkmcnt(0)
	v_add_u16_e32 v3, v44, v43
	global_store_byte v[0:1], v2, off
	global_store_byte v[0:1], v3, off offset:128
	s_endpgm
	.section	.rodata,"a",@progbits
	.p2align	6, 0x0
	.amdhsa_kernel _Z17sort_pairs_kernelIaLj128ELj2EN10test_utils4lessELj10EEvPKT_PS2_T2_
		.amdhsa_group_segment_fixed_size 257
		.amdhsa_private_segment_fixed_size 0
		.amdhsa_kernarg_size 20
		.amdhsa_user_sgpr_count 6
		.amdhsa_user_sgpr_private_segment_buffer 1
		.amdhsa_user_sgpr_dispatch_ptr 0
		.amdhsa_user_sgpr_queue_ptr 0
		.amdhsa_user_sgpr_kernarg_segment_ptr 1
		.amdhsa_user_sgpr_dispatch_id 0
		.amdhsa_user_sgpr_flat_scratch_init 0
		.amdhsa_user_sgpr_private_segment_size 0
		.amdhsa_uses_dynamic_stack 0
		.amdhsa_system_sgpr_private_segment_wavefront_offset 0
		.amdhsa_system_sgpr_workgroup_id_x 1
		.amdhsa_system_sgpr_workgroup_id_y 0
		.amdhsa_system_sgpr_workgroup_id_z 0
		.amdhsa_system_sgpr_workgroup_info 0
		.amdhsa_system_vgpr_workitem_id 0
		.amdhsa_next_free_vgpr 52
		.amdhsa_next_free_sgpr 26
		.amdhsa_reserve_vcc 1
		.amdhsa_reserve_flat_scratch 0
		.amdhsa_float_round_mode_32 0
		.amdhsa_float_round_mode_16_64 0
		.amdhsa_float_denorm_mode_32 3
		.amdhsa_float_denorm_mode_16_64 3
		.amdhsa_dx10_clamp 1
		.amdhsa_ieee_mode 1
		.amdhsa_fp16_overflow 0
		.amdhsa_exception_fp_ieee_invalid_op 0
		.amdhsa_exception_fp_denorm_src 0
		.amdhsa_exception_fp_ieee_div_zero 0
		.amdhsa_exception_fp_ieee_overflow 0
		.amdhsa_exception_fp_ieee_underflow 0
		.amdhsa_exception_fp_ieee_inexact 0
		.amdhsa_exception_int_div_zero 0
	.end_amdhsa_kernel
	.section	.text._Z17sort_pairs_kernelIaLj128ELj2EN10test_utils4lessELj10EEvPKT_PS2_T2_,"axG",@progbits,_Z17sort_pairs_kernelIaLj128ELj2EN10test_utils4lessELj10EEvPKT_PS2_T2_,comdat
.Lfunc_end53:
	.size	_Z17sort_pairs_kernelIaLj128ELj2EN10test_utils4lessELj10EEvPKT_PS2_T2_, .Lfunc_end53-_Z17sort_pairs_kernelIaLj128ELj2EN10test_utils4lessELj10EEvPKT_PS2_T2_
                                        ; -- End function
	.set _Z17sort_pairs_kernelIaLj128ELj2EN10test_utils4lessELj10EEvPKT_PS2_T2_.num_vgpr, 52
	.set _Z17sort_pairs_kernelIaLj128ELj2EN10test_utils4lessELj10EEvPKT_PS2_T2_.num_agpr, 0
	.set _Z17sort_pairs_kernelIaLj128ELj2EN10test_utils4lessELj10EEvPKT_PS2_T2_.numbered_sgpr, 26
	.set _Z17sort_pairs_kernelIaLj128ELj2EN10test_utils4lessELj10EEvPKT_PS2_T2_.num_named_barrier, 0
	.set _Z17sort_pairs_kernelIaLj128ELj2EN10test_utils4lessELj10EEvPKT_PS2_T2_.private_seg_size, 0
	.set _Z17sort_pairs_kernelIaLj128ELj2EN10test_utils4lessELj10EEvPKT_PS2_T2_.uses_vcc, 1
	.set _Z17sort_pairs_kernelIaLj128ELj2EN10test_utils4lessELj10EEvPKT_PS2_T2_.uses_flat_scratch, 0
	.set _Z17sort_pairs_kernelIaLj128ELj2EN10test_utils4lessELj10EEvPKT_PS2_T2_.has_dyn_sized_stack, 0
	.set _Z17sort_pairs_kernelIaLj128ELj2EN10test_utils4lessELj10EEvPKT_PS2_T2_.has_recursion, 0
	.set _Z17sort_pairs_kernelIaLj128ELj2EN10test_utils4lessELj10EEvPKT_PS2_T2_.has_indirect_call, 0
	.section	.AMDGPU.csdata,"",@progbits
; Kernel info:
; codeLenInByte = 3616
; TotalNumSgprs: 30
; NumVgprs: 52
; ScratchSize: 0
; MemoryBound: 0
; FloatMode: 240
; IeeeMode: 1
; LDSByteSize: 257 bytes/workgroup (compile time only)
; SGPRBlocks: 3
; VGPRBlocks: 12
; NumSGPRsForWavesPerEU: 30
; NumVGPRsForWavesPerEU: 52
; Occupancy: 4
; WaveLimiterHint : 1
; COMPUTE_PGM_RSRC2:SCRATCH_EN: 0
; COMPUTE_PGM_RSRC2:USER_SGPR: 6
; COMPUTE_PGM_RSRC2:TRAP_HANDLER: 0
; COMPUTE_PGM_RSRC2:TGID_X_EN: 1
; COMPUTE_PGM_RSRC2:TGID_Y_EN: 0
; COMPUTE_PGM_RSRC2:TGID_Z_EN: 0
; COMPUTE_PGM_RSRC2:TIDIG_COMP_CNT: 0
	.section	.text._Z16sort_keys_kernelIaLj128ELj3EN10test_utils4lessELj10EEvPKT_PS2_T2_,"axG",@progbits,_Z16sort_keys_kernelIaLj128ELj3EN10test_utils4lessELj10EEvPKT_PS2_T2_,comdat
	.protected	_Z16sort_keys_kernelIaLj128ELj3EN10test_utils4lessELj10EEvPKT_PS2_T2_ ; -- Begin function _Z16sort_keys_kernelIaLj128ELj3EN10test_utils4lessELj10EEvPKT_PS2_T2_
	.globl	_Z16sort_keys_kernelIaLj128ELj3EN10test_utils4lessELj10EEvPKT_PS2_T2_
	.p2align	8
	.type	_Z16sort_keys_kernelIaLj128ELj3EN10test_utils4lessELj10EEvPKT_PS2_T2_,@function
_Z16sort_keys_kernelIaLj128ELj3EN10test_utils4lessELj10EEvPKT_PS2_T2_: ; @_Z16sort_keys_kernelIaLj128ELj3EN10test_utils4lessELj10EEvPKT_PS2_T2_
; %bb.0:
	s_load_dwordx4 s[16:19], s[4:5], 0x0
	s_mul_i32 s20, s6, 0x180
	v_and_b32_e32 v1, 0x7e, v0
	v_and_b32_e32 v2, 1, v0
	;; [unrolled: 1-line block ×3, first 2 shown]
	s_waitcnt lgkmcnt(0)
	s_add_u32 s0, s16, s20
	s_addc_u32 s1, s17, 0
	global_load_ubyte v23, v0, s[0:1] offset:128
	global_load_ubyte v24, v0, s[0:1] offset:256
	global_load_ubyte v25, v0, s[0:1]
	v_and_b32_e32 v4, 0x78, v0
	v_and_b32_e32 v5, 0x70, v0
	;; [unrolled: 1-line block ×4, first 2 shown]
	v_mul_u32_u24_e32 v26, 3, v1
	v_cmp_eq_u32_e32 vcc, 1, v2
	v_mul_u32_u24_e32 v2, 3, v3
	v_mul_u32_u24_e32 v3, 3, v4
	;; [unrolled: 1-line block ×5, first 2 shown]
	s_mov_b32 s0, 0xc0c0004
	v_min_u32_e32 v29, 0x17d, v26
	v_min_u32_e32 v7, 0x17a, v26
	;; [unrolled: 1-line block ×12, first 2 shown]
	v_and_b32_e32 v30, 3, v0
	v_and_b32_e32 v33, 7, v0
	v_and_b32_e32 v36, 15, v0
	v_and_b32_e32 v39, 31, v0
	v_and_b32_e32 v42, 63, v0
	v_min_u32_e32 v1, 0x180, v2
	v_min_u32_e32 v2, 0x180, v3
	;; [unrolled: 1-line block ×5, first 2 shown]
	v_add_u32_e32 v6, 3, v29
	v_add_u32_e32 v7, 6, v7
	;; [unrolled: 1-line block ×12, first 2 shown]
	v_cndmask_b32_e64 v27, 0, 3, vcc
	v_mul_u32_u24_e32 v28, 3, v30
	v_mul_u32_u24_e32 v31, 3, v33
	;; [unrolled: 1-line block ×5, first 2 shown]
	v_sub_u32_e32 v44, v7, v6
	v_sub_u32_e32 v45, v9, v8
	;; [unrolled: 1-line block ×17, first 2 shown]
	v_cmp_ge_i32_e32 vcc, v27, v44
	v_cmp_ge_i32_e64 s[2:3], v31, v46
	v_cmp_ge_i32_e64 s[4:5], v34, v47
	;; [unrolled: 1-line block ×4, first 2 shown]
	v_mov_b32_e32 v44, 0xc0
	v_min_i32_e32 v18, v28, v18
	v_min_i32_e32 v19, v31, v19
	;; [unrolled: 1-line block ×4, first 2 shown]
	s_waitcnt vmcnt(0)
	v_perm_b32 v23, v25, v23, s0
	v_lshl_or_b32 v48, v24, 16, v23
	v_min_u32_e32 v23, 0x180, v26
	v_sub_u32_e32 v25, v6, v23
	v_add_u32_e32 v26, v29, v27
	v_cmp_ge_i32_e64 s[0:1], v28, v45
	v_mad_u32_u24 v29, v30, 3, v32
	v_mad_u32_u24 v32, v33, 3, v35
	;; [unrolled: 1-line block ×5, first 2 shown]
	v_mul_u32_u24_e32 v43, 3, v0
	v_min_i32_e32 v22, v40, v22
	v_cndmask_b32_e32 v24, 0, v51, vcc
	v_min_i32_e32 v25, v27, v25
	v_cndmask_b32_e64 v28, 0, v52, s[0:1]
	v_cndmask_b32_e64 v31, 0, v53, s[2:3]
	;; [unrolled: 1-line block ×5, first 2 shown]
	v_sub_u32_e64 v45, v43, v44 clamp
	v_min_i32_e32 v46, 0xc0, v43
	s_movk_i32 s21, 0x180
	s_mov_b32 s22, 0
	v_cmp_lt_i32_e32 vcc, v24, v25
	v_add_u32_e32 v27, v6, v27
	v_cmp_lt_i32_e64 s[0:1], v28, v18
	v_mad_u32_u24 v30, v30, 3, v8
	v_cmp_lt_i32_e64 s[2:3], v31, v19
	v_mad_u32_u24 v33, v33, 3, v10
	;; [unrolled: 2-line block ×5, first 2 shown]
	v_cmp_lt_i32_e64 s[10:11], v45, v46
	s_mov_b32 s23, 0x7060405
	s_mov_b32 s24, 0x7000604
	;; [unrolled: 1-line block ×3, first 2 shown]
	v_mad_u32_u24 v47, v0, 3, v44
	s_branch .LBB54_2
.LBB54_1:                               ;   in Loop: Header=BB54_2 Depth=1
	s_or_b64 exec, exec, s[16:17]
	v_cndmask_b32_e64 v51, v51, v52, s[14:15]
	v_cmp_ge_i32_e64 s[14:15], v54, v44
	s_waitcnt lgkmcnt(0)
	v_cmp_lt_i16_sdwa s[16:17], sext(v56), sext(v49) src0_sel:BYTE_0 src1_sel:BYTE_0
	v_cndmask_b32_e64 v50, v48, v50, s[12:13]
	v_cmp_gt_i32_e64 s[12:13], s21, v53
	s_or_b64 s[14:15], s[14:15], s[16:17]
	s_and_b64 s[12:13], s[12:13], s[14:15]
	v_cndmask_b32_e64 v49, v49, v56, s[12:13]
	v_lshlrev_b16_e32 v48, 8, v51
	v_and_b32_e32 v52, 0xff, v49
	v_or_b32_sdwa v48, v50, v48 dst_sel:DWORD dst_unused:UNUSED_PAD src0_sel:BYTE_0 src1_sel:DWORD
	v_lshlrev_b32_e32 v52, 16, v52
	s_add_i32 s22, s22, 1
	s_cmp_eq_u32 s22, 10
	v_or_b32_sdwa v48, v48, v52 dst_sel:DWORD dst_unused:UNUSED_PAD src0_sel:WORD_0 src1_sel:DWORD
	s_cbranch_scc1 .LBB54_86
.LBB54_2:                               ; =>This Loop Header: Depth=1
                                        ;     Child Loop BB54_4 Depth 2
                                        ;     Child Loop BB54_16 Depth 2
	;; [unrolled: 1-line block ×7, first 2 shown]
	v_lshrrev_b32_e32 v50, 8, v48
	v_perm_b32 v49, v48, v48, s23
	v_cmp_lt_i16_sdwa s[12:13], sext(v50), sext(v48) src0_sel:BYTE_0 src1_sel:BYTE_0
	v_cndmask_b32_e64 v49, v48, v49, s[12:13]
	v_lshrrev_b32_e32 v51, 16, v49
	v_min_i16_sdwa v52, sext(v50), sext(v48) dst_sel:DWORD dst_unused:UNUSED_PAD src0_sel:BYTE_0 src1_sel:BYTE_0
	v_max_i16_sdwa v48, sext(v50), sext(v48) dst_sel:DWORD dst_unused:UNUSED_PAD src0_sel:BYTE_0 src1_sel:BYTE_0
	v_perm_b32 v50, v49, v48, s24
	v_cmp_lt_i16_sdwa s[12:13], sext(v51), v48 src0_sel:BYTE_0 src1_sel:DWORD
	v_cndmask_b32_e64 v49, v49, v50, s[12:13]
	v_min_i16_sdwa v48, sext(v51), v48 dst_sel:DWORD dst_unused:UNUSED_PAD src0_sel:BYTE_0 src1_sel:DWORD
	v_lshlrev_b16_e32 v50, 8, v52
	v_or_b32_sdwa v48, v48, v50 dst_sel:DWORD dst_unused:UNUSED_PAD src0_sel:BYTE_0 src1_sel:DWORD
	v_and_b32_e32 v48, 0xffff, v48
	v_and_or_b32 v48, v49, s25, v48
	v_cmp_lt_i16_sdwa s[12:13], sext(v51), v52 src0_sel:BYTE_0 src1_sel:DWORD
	v_cndmask_b32_e64 v48, v49, v48, s[12:13]
	v_lshrrev_b32_e32 v49, 8, v48
	s_barrier
	ds_write_b8 v43, v48
	ds_write_b8 v43, v49 offset:1
	ds_write_b8_d16_hi v43, v48 offset:2
	v_mov_b32_e32 v48, v24
	s_waitcnt lgkmcnt(0)
	s_barrier
	s_and_saveexec_b64 s[14:15], vcc
	s_cbranch_execz .LBB54_6
; %bb.3:                                ;   in Loop: Header=BB54_2 Depth=1
	s_mov_b64 s[16:17], 0
	v_mov_b32_e32 v48, v24
	v_mov_b32_e32 v49, v25
.LBB54_4:                               ;   Parent Loop BB54_2 Depth=1
                                        ; =>  This Inner Loop Header: Depth=2
	v_sub_u32_e32 v50, v49, v48
	v_lshrrev_b32_e32 v50, 1, v50
	v_add_u32_e32 v50, v50, v48
	v_add_u32_e32 v51, v23, v50
	v_xad_u32 v52, v50, -1, v26
	ds_read_i8 v51, v51
	ds_read_i8 v52, v52 offset:3
	v_add_u32_e32 v53, 1, v50
	s_waitcnt lgkmcnt(0)
	v_cmp_lt_i16_e64 s[12:13], v52, v51
	v_cndmask_b32_e64 v49, v49, v50, s[12:13]
	v_cndmask_b32_e64 v48, v53, v48, s[12:13]
	v_cmp_ge_i32_e64 s[12:13], v48, v49
	s_or_b64 s[16:17], s[12:13], s[16:17]
	s_andn2_b64 exec, exec, s[16:17]
	s_cbranch_execnz .LBB54_4
; %bb.5:                                ;   in Loop: Header=BB54_2 Depth=1
	s_or_b64 exec, exec, s[16:17]
.LBB54_6:                               ;   in Loop: Header=BB54_2 Depth=1
	s_or_b64 exec, exec, s[14:15]
	v_add_u32_e32 v51, v48, v23
	v_sub_u32_e32 v54, v26, v48
	ds_read_u8 v49, v51
	ds_read_u8 v50, v54 offset:3
	v_sub_u32_e32 v53, v27, v48
	v_cmp_le_i32_e64 s[14:15], v6, v51
	v_cmp_gt_i32_e64 s[12:13], v7, v53
	s_waitcnt lgkmcnt(1)
	v_bfe_i32 v48, v49, 0, 8
	s_waitcnt lgkmcnt(0)
	v_bfe_i32 v49, v50, 0, 8
	v_cmp_lt_i16_e64 s[16:17], v49, v48
	s_or_b64 s[14:15], s[14:15], s[16:17]
	s_and_b64 s[12:13], s[12:13], s[14:15]
	s_xor_b64 s[14:15], s[12:13], -1
                                        ; implicit-def: $vgpr50
	s_and_saveexec_b64 s[16:17], s[14:15]
	s_xor_b64 s[14:15], exec, s[16:17]
; %bb.7:                                ;   in Loop: Header=BB54_2 Depth=1
	ds_read_u8 v50, v51 offset:1
                                        ; implicit-def: $vgpr54
; %bb.8:                                ;   in Loop: Header=BB54_2 Depth=1
	s_or_saveexec_b64 s[14:15], s[14:15]
	v_mov_b32_e32 v52, v49
	s_xor_b64 exec, exec, s[14:15]
	s_cbranch_execz .LBB54_10
; %bb.9:                                ;   in Loop: Header=BB54_2 Depth=1
	ds_read_u8 v52, v54 offset:4
	s_waitcnt lgkmcnt(1)
	v_mov_b32_e32 v50, v48
.LBB54_10:                              ;   in Loop: Header=BB54_2 Depth=1
	s_or_b64 exec, exec, s[14:15]
	v_add_u32_e32 v55, 1, v51
	v_add_u32_e32 v54, 1, v53
	v_cndmask_b32_e64 v51, v55, v51, s[12:13]
	v_cndmask_b32_e64 v53, v53, v54, s[12:13]
	v_cmp_ge_i32_e64 s[16:17], v51, v6
	s_waitcnt lgkmcnt(0)
	v_cmp_lt_i16_sdwa s[26:27], sext(v52), sext(v50) src0_sel:BYTE_0 src1_sel:BYTE_0
	v_cmp_lt_i32_e64 s[14:15], v53, v7
	s_or_b64 s[16:17], s[16:17], s[26:27]
	s_and_b64 s[14:15], s[14:15], s[16:17]
	s_xor_b64 s[16:17], s[14:15], -1
                                        ; implicit-def: $vgpr54
	s_and_saveexec_b64 s[26:27], s[16:17]
	s_xor_b64 s[16:17], exec, s[26:27]
; %bb.11:                               ;   in Loop: Header=BB54_2 Depth=1
	ds_read_u8 v54, v51 offset:1
; %bb.12:                               ;   in Loop: Header=BB54_2 Depth=1
	s_or_saveexec_b64 s[16:17], s[16:17]
	v_mov_b32_e32 v55, v52
	s_xor_b64 exec, exec, s[16:17]
	s_cbranch_execz .LBB54_14
; %bb.13:                               ;   in Loop: Header=BB54_2 Depth=1
	ds_read_u8 v55, v53 offset:1
	s_waitcnt lgkmcnt(1)
	v_mov_b32_e32 v54, v50
.LBB54_14:                              ;   in Loop: Header=BB54_2 Depth=1
	s_or_b64 exec, exec, s[16:17]
	v_add_u32_e32 v56, 1, v51
	v_cndmask_b32_e64 v50, v50, v52, s[14:15]
	v_add_u32_e32 v52, 1, v53
	v_cndmask_b32_e64 v51, v56, v51, s[14:15]
	v_cndmask_b32_e64 v52, v53, v52, s[14:15]
	v_cmp_ge_i32_e64 s[14:15], v51, v6
	s_waitcnt lgkmcnt(0)
	v_cmp_lt_i16_sdwa s[16:17], sext(v55), sext(v54) src0_sel:BYTE_0 src1_sel:BYTE_0
	v_cndmask_b32_e64 v48, v48, v49, s[12:13]
	v_cmp_lt_i32_e64 s[12:13], v52, v7
	s_or_b64 s[14:15], s[14:15], s[16:17]
	s_and_b64 s[12:13], s[12:13], s[14:15]
	v_cndmask_b32_e64 v49, v54, v55, s[12:13]
	s_barrier
	ds_write_b8 v43, v48
	ds_write_b8 v43, v50 offset:1
	ds_write_b8 v43, v49 offset:2
	v_mov_b32_e32 v48, v28
	s_waitcnt lgkmcnt(0)
	s_barrier
	s_and_saveexec_b64 s[14:15], s[0:1]
	s_cbranch_execz .LBB54_18
; %bb.15:                               ;   in Loop: Header=BB54_2 Depth=1
	s_mov_b64 s[16:17], 0
	v_mov_b32_e32 v48, v28
	v_mov_b32_e32 v49, v18
.LBB54_16:                              ;   Parent Loop BB54_2 Depth=1
                                        ; =>  This Inner Loop Header: Depth=2
	v_sub_u32_e32 v50, v49, v48
	v_lshrrev_b32_e32 v50, 1, v50
	v_add_u32_e32 v50, v50, v48
	v_add_u32_e32 v51, v1, v50
	v_xad_u32 v52, v50, -1, v29
	ds_read_i8 v51, v51
	ds_read_i8 v52, v52 offset:6
	v_add_u32_e32 v53, 1, v50
	s_waitcnt lgkmcnt(0)
	v_cmp_lt_i16_e64 s[12:13], v52, v51
	v_cndmask_b32_e64 v49, v49, v50, s[12:13]
	v_cndmask_b32_e64 v48, v53, v48, s[12:13]
	v_cmp_ge_i32_e64 s[12:13], v48, v49
	s_or_b64 s[16:17], s[12:13], s[16:17]
	s_andn2_b64 exec, exec, s[16:17]
	s_cbranch_execnz .LBB54_16
; %bb.17:                               ;   in Loop: Header=BB54_2 Depth=1
	s_or_b64 exec, exec, s[16:17]
.LBB54_18:                              ;   in Loop: Header=BB54_2 Depth=1
	s_or_b64 exec, exec, s[14:15]
	v_add_u32_e32 v51, v48, v1
	v_sub_u32_e32 v54, v29, v48
	ds_read_u8 v49, v51
	ds_read_u8 v50, v54 offset:6
	v_sub_u32_e32 v53, v30, v48
	v_cmp_le_i32_e64 s[14:15], v8, v51
	v_cmp_gt_i32_e64 s[12:13], v9, v53
	s_waitcnt lgkmcnt(1)
	v_bfe_i32 v48, v49, 0, 8
	s_waitcnt lgkmcnt(0)
	v_bfe_i32 v49, v50, 0, 8
	v_cmp_lt_i16_e64 s[16:17], v49, v48
	s_or_b64 s[14:15], s[14:15], s[16:17]
	s_and_b64 s[12:13], s[12:13], s[14:15]
	s_xor_b64 s[14:15], s[12:13], -1
                                        ; implicit-def: $vgpr50
	s_and_saveexec_b64 s[16:17], s[14:15]
	s_xor_b64 s[14:15], exec, s[16:17]
; %bb.19:                               ;   in Loop: Header=BB54_2 Depth=1
	ds_read_u8 v50, v51 offset:1
                                        ; implicit-def: $vgpr54
; %bb.20:                               ;   in Loop: Header=BB54_2 Depth=1
	s_or_saveexec_b64 s[14:15], s[14:15]
	v_mov_b32_e32 v52, v49
	s_xor_b64 exec, exec, s[14:15]
	s_cbranch_execz .LBB54_22
; %bb.21:                               ;   in Loop: Header=BB54_2 Depth=1
	ds_read_u8 v52, v54 offset:7
	s_waitcnt lgkmcnt(1)
	v_mov_b32_e32 v50, v48
.LBB54_22:                              ;   in Loop: Header=BB54_2 Depth=1
	s_or_b64 exec, exec, s[14:15]
	v_add_u32_e32 v55, 1, v51
	v_add_u32_e32 v54, 1, v53
	v_cndmask_b32_e64 v51, v55, v51, s[12:13]
	v_cndmask_b32_e64 v53, v53, v54, s[12:13]
	v_cmp_ge_i32_e64 s[16:17], v51, v8
	s_waitcnt lgkmcnt(0)
	v_cmp_lt_i16_sdwa s[26:27], sext(v52), sext(v50) src0_sel:BYTE_0 src1_sel:BYTE_0
	v_cmp_lt_i32_e64 s[14:15], v53, v9
	s_or_b64 s[16:17], s[16:17], s[26:27]
	s_and_b64 s[14:15], s[14:15], s[16:17]
	s_xor_b64 s[16:17], s[14:15], -1
                                        ; implicit-def: $vgpr54
	s_and_saveexec_b64 s[26:27], s[16:17]
	s_xor_b64 s[16:17], exec, s[26:27]
; %bb.23:                               ;   in Loop: Header=BB54_2 Depth=1
	ds_read_u8 v54, v51 offset:1
; %bb.24:                               ;   in Loop: Header=BB54_2 Depth=1
	s_or_saveexec_b64 s[16:17], s[16:17]
	v_mov_b32_e32 v55, v52
	s_xor_b64 exec, exec, s[16:17]
	s_cbranch_execz .LBB54_26
; %bb.25:                               ;   in Loop: Header=BB54_2 Depth=1
	ds_read_u8 v55, v53 offset:1
	s_waitcnt lgkmcnt(1)
	v_mov_b32_e32 v54, v50
.LBB54_26:                              ;   in Loop: Header=BB54_2 Depth=1
	s_or_b64 exec, exec, s[16:17]
	v_add_u32_e32 v56, 1, v51
	v_cndmask_b32_e64 v50, v50, v52, s[14:15]
	v_add_u32_e32 v52, 1, v53
	v_cndmask_b32_e64 v51, v56, v51, s[14:15]
	v_cndmask_b32_e64 v52, v53, v52, s[14:15]
	v_cmp_ge_i32_e64 s[14:15], v51, v8
	s_waitcnt lgkmcnt(0)
	v_cmp_lt_i16_sdwa s[16:17], sext(v55), sext(v54) src0_sel:BYTE_0 src1_sel:BYTE_0
	v_cndmask_b32_e64 v48, v48, v49, s[12:13]
	v_cmp_lt_i32_e64 s[12:13], v52, v9
	s_or_b64 s[14:15], s[14:15], s[16:17]
	s_and_b64 s[12:13], s[12:13], s[14:15]
	v_cndmask_b32_e64 v49, v54, v55, s[12:13]
	s_barrier
	ds_write_b8 v43, v48
	ds_write_b8 v43, v50 offset:1
	ds_write_b8 v43, v49 offset:2
	v_mov_b32_e32 v48, v31
	s_waitcnt lgkmcnt(0)
	s_barrier
	s_and_saveexec_b64 s[14:15], s[2:3]
	s_cbranch_execz .LBB54_30
; %bb.27:                               ;   in Loop: Header=BB54_2 Depth=1
	s_mov_b64 s[16:17], 0
	v_mov_b32_e32 v48, v31
	v_mov_b32_e32 v49, v19
.LBB54_28:                              ;   Parent Loop BB54_2 Depth=1
                                        ; =>  This Inner Loop Header: Depth=2
	v_sub_u32_e32 v50, v49, v48
	v_lshrrev_b32_e32 v50, 1, v50
	v_add_u32_e32 v50, v50, v48
	v_add_u32_e32 v51, v2, v50
	v_xad_u32 v52, v50, -1, v32
	ds_read_i8 v51, v51
	ds_read_i8 v52, v52 offset:12
	v_add_u32_e32 v53, 1, v50
	s_waitcnt lgkmcnt(0)
	v_cmp_lt_i16_e64 s[12:13], v52, v51
	v_cndmask_b32_e64 v49, v49, v50, s[12:13]
	v_cndmask_b32_e64 v48, v53, v48, s[12:13]
	v_cmp_ge_i32_e64 s[12:13], v48, v49
	s_or_b64 s[16:17], s[12:13], s[16:17]
	s_andn2_b64 exec, exec, s[16:17]
	s_cbranch_execnz .LBB54_28
; %bb.29:                               ;   in Loop: Header=BB54_2 Depth=1
	s_or_b64 exec, exec, s[16:17]
.LBB54_30:                              ;   in Loop: Header=BB54_2 Depth=1
	s_or_b64 exec, exec, s[14:15]
	v_add_u32_e32 v51, v48, v2
	v_sub_u32_e32 v54, v32, v48
	ds_read_u8 v49, v51
	ds_read_u8 v50, v54 offset:12
	v_sub_u32_e32 v53, v33, v48
	v_cmp_le_i32_e64 s[14:15], v10, v51
	v_cmp_gt_i32_e64 s[12:13], v11, v53
	s_waitcnt lgkmcnt(1)
	v_bfe_i32 v48, v49, 0, 8
	s_waitcnt lgkmcnt(0)
	v_bfe_i32 v49, v50, 0, 8
	v_cmp_lt_i16_e64 s[16:17], v49, v48
	s_or_b64 s[14:15], s[14:15], s[16:17]
	s_and_b64 s[12:13], s[12:13], s[14:15]
	s_xor_b64 s[14:15], s[12:13], -1
                                        ; implicit-def: $vgpr50
	s_and_saveexec_b64 s[16:17], s[14:15]
	s_xor_b64 s[14:15], exec, s[16:17]
; %bb.31:                               ;   in Loop: Header=BB54_2 Depth=1
	ds_read_u8 v50, v51 offset:1
                                        ; implicit-def: $vgpr54
; %bb.32:                               ;   in Loop: Header=BB54_2 Depth=1
	s_or_saveexec_b64 s[14:15], s[14:15]
	v_mov_b32_e32 v52, v49
	s_xor_b64 exec, exec, s[14:15]
	s_cbranch_execz .LBB54_34
; %bb.33:                               ;   in Loop: Header=BB54_2 Depth=1
	ds_read_u8 v52, v54 offset:13
	s_waitcnt lgkmcnt(1)
	v_mov_b32_e32 v50, v48
.LBB54_34:                              ;   in Loop: Header=BB54_2 Depth=1
	s_or_b64 exec, exec, s[14:15]
	v_add_u32_e32 v55, 1, v51
	v_add_u32_e32 v54, 1, v53
	v_cndmask_b32_e64 v51, v55, v51, s[12:13]
	v_cndmask_b32_e64 v53, v53, v54, s[12:13]
	v_cmp_ge_i32_e64 s[16:17], v51, v10
	s_waitcnt lgkmcnt(0)
	v_cmp_lt_i16_sdwa s[26:27], sext(v52), sext(v50) src0_sel:BYTE_0 src1_sel:BYTE_0
	v_cmp_lt_i32_e64 s[14:15], v53, v11
	s_or_b64 s[16:17], s[16:17], s[26:27]
	s_and_b64 s[14:15], s[14:15], s[16:17]
	s_xor_b64 s[16:17], s[14:15], -1
                                        ; implicit-def: $vgpr54
	s_and_saveexec_b64 s[26:27], s[16:17]
	s_xor_b64 s[16:17], exec, s[26:27]
; %bb.35:                               ;   in Loop: Header=BB54_2 Depth=1
	ds_read_u8 v54, v51 offset:1
; %bb.36:                               ;   in Loop: Header=BB54_2 Depth=1
	s_or_saveexec_b64 s[16:17], s[16:17]
	v_mov_b32_e32 v55, v52
	s_xor_b64 exec, exec, s[16:17]
	s_cbranch_execz .LBB54_38
; %bb.37:                               ;   in Loop: Header=BB54_2 Depth=1
	ds_read_u8 v55, v53 offset:1
	s_waitcnt lgkmcnt(1)
	v_mov_b32_e32 v54, v50
.LBB54_38:                              ;   in Loop: Header=BB54_2 Depth=1
	s_or_b64 exec, exec, s[16:17]
	v_add_u32_e32 v56, 1, v51
	v_cndmask_b32_e64 v50, v50, v52, s[14:15]
	v_add_u32_e32 v52, 1, v53
	v_cndmask_b32_e64 v51, v56, v51, s[14:15]
	v_cndmask_b32_e64 v52, v53, v52, s[14:15]
	v_cmp_ge_i32_e64 s[14:15], v51, v10
	s_waitcnt lgkmcnt(0)
	v_cmp_lt_i16_sdwa s[16:17], sext(v55), sext(v54) src0_sel:BYTE_0 src1_sel:BYTE_0
	v_cndmask_b32_e64 v48, v48, v49, s[12:13]
	v_cmp_lt_i32_e64 s[12:13], v52, v11
	s_or_b64 s[14:15], s[14:15], s[16:17]
	s_and_b64 s[12:13], s[12:13], s[14:15]
	v_cndmask_b32_e64 v49, v54, v55, s[12:13]
	s_barrier
	ds_write_b8 v43, v48
	ds_write_b8 v43, v50 offset:1
	ds_write_b8 v43, v49 offset:2
	v_mov_b32_e32 v48, v34
	s_waitcnt lgkmcnt(0)
	s_barrier
	s_and_saveexec_b64 s[14:15], s[4:5]
	s_cbranch_execz .LBB54_42
; %bb.39:                               ;   in Loop: Header=BB54_2 Depth=1
	s_mov_b64 s[16:17], 0
	v_mov_b32_e32 v48, v34
	v_mov_b32_e32 v49, v20
.LBB54_40:                              ;   Parent Loop BB54_2 Depth=1
                                        ; =>  This Inner Loop Header: Depth=2
	v_sub_u32_e32 v50, v49, v48
	v_lshrrev_b32_e32 v50, 1, v50
	v_add_u32_e32 v50, v50, v48
	v_add_u32_e32 v51, v3, v50
	v_xad_u32 v52, v50, -1, v35
	ds_read_i8 v51, v51
	ds_read_i8 v52, v52 offset:24
	v_add_u32_e32 v53, 1, v50
	s_waitcnt lgkmcnt(0)
	v_cmp_lt_i16_e64 s[12:13], v52, v51
	v_cndmask_b32_e64 v49, v49, v50, s[12:13]
	v_cndmask_b32_e64 v48, v53, v48, s[12:13]
	v_cmp_ge_i32_e64 s[12:13], v48, v49
	s_or_b64 s[16:17], s[12:13], s[16:17]
	s_andn2_b64 exec, exec, s[16:17]
	s_cbranch_execnz .LBB54_40
; %bb.41:                               ;   in Loop: Header=BB54_2 Depth=1
	s_or_b64 exec, exec, s[16:17]
.LBB54_42:                              ;   in Loop: Header=BB54_2 Depth=1
	s_or_b64 exec, exec, s[14:15]
	v_add_u32_e32 v51, v48, v3
	v_sub_u32_e32 v54, v35, v48
	ds_read_u8 v49, v51
	ds_read_u8 v50, v54 offset:24
	v_sub_u32_e32 v53, v36, v48
	v_cmp_le_i32_e64 s[14:15], v13, v51
	v_cmp_gt_i32_e64 s[12:13], v12, v53
	s_waitcnt lgkmcnt(1)
	v_bfe_i32 v48, v49, 0, 8
	s_waitcnt lgkmcnt(0)
	v_bfe_i32 v49, v50, 0, 8
	v_cmp_lt_i16_e64 s[16:17], v49, v48
	s_or_b64 s[14:15], s[14:15], s[16:17]
	s_and_b64 s[12:13], s[12:13], s[14:15]
	s_xor_b64 s[14:15], s[12:13], -1
                                        ; implicit-def: $vgpr50
	s_and_saveexec_b64 s[16:17], s[14:15]
	s_xor_b64 s[14:15], exec, s[16:17]
; %bb.43:                               ;   in Loop: Header=BB54_2 Depth=1
	ds_read_u8 v50, v51 offset:1
                                        ; implicit-def: $vgpr54
; %bb.44:                               ;   in Loop: Header=BB54_2 Depth=1
	s_or_saveexec_b64 s[14:15], s[14:15]
	v_mov_b32_e32 v52, v49
	s_xor_b64 exec, exec, s[14:15]
	s_cbranch_execz .LBB54_46
; %bb.45:                               ;   in Loop: Header=BB54_2 Depth=1
	ds_read_u8 v52, v54 offset:25
	s_waitcnt lgkmcnt(1)
	v_mov_b32_e32 v50, v48
.LBB54_46:                              ;   in Loop: Header=BB54_2 Depth=1
	s_or_b64 exec, exec, s[14:15]
	v_add_u32_e32 v55, 1, v51
	v_add_u32_e32 v54, 1, v53
	v_cndmask_b32_e64 v51, v55, v51, s[12:13]
	v_cndmask_b32_e64 v53, v53, v54, s[12:13]
	v_cmp_ge_i32_e64 s[16:17], v51, v13
	s_waitcnt lgkmcnt(0)
	v_cmp_lt_i16_sdwa s[26:27], sext(v52), sext(v50) src0_sel:BYTE_0 src1_sel:BYTE_0
	v_cmp_lt_i32_e64 s[14:15], v53, v12
	s_or_b64 s[16:17], s[16:17], s[26:27]
	s_and_b64 s[14:15], s[14:15], s[16:17]
	s_xor_b64 s[16:17], s[14:15], -1
                                        ; implicit-def: $vgpr54
	s_and_saveexec_b64 s[26:27], s[16:17]
	s_xor_b64 s[16:17], exec, s[26:27]
; %bb.47:                               ;   in Loop: Header=BB54_2 Depth=1
	ds_read_u8 v54, v51 offset:1
; %bb.48:                               ;   in Loop: Header=BB54_2 Depth=1
	s_or_saveexec_b64 s[16:17], s[16:17]
	v_mov_b32_e32 v55, v52
	s_xor_b64 exec, exec, s[16:17]
	s_cbranch_execz .LBB54_50
; %bb.49:                               ;   in Loop: Header=BB54_2 Depth=1
	ds_read_u8 v55, v53 offset:1
	s_waitcnt lgkmcnt(1)
	v_mov_b32_e32 v54, v50
.LBB54_50:                              ;   in Loop: Header=BB54_2 Depth=1
	s_or_b64 exec, exec, s[16:17]
	v_add_u32_e32 v56, 1, v51
	v_cndmask_b32_e64 v50, v50, v52, s[14:15]
	v_add_u32_e32 v52, 1, v53
	v_cndmask_b32_e64 v51, v56, v51, s[14:15]
	v_cndmask_b32_e64 v52, v53, v52, s[14:15]
	v_cmp_ge_i32_e64 s[14:15], v51, v13
	s_waitcnt lgkmcnt(0)
	v_cmp_lt_i16_sdwa s[16:17], sext(v55), sext(v54) src0_sel:BYTE_0 src1_sel:BYTE_0
	v_cndmask_b32_e64 v48, v48, v49, s[12:13]
	v_cmp_lt_i32_e64 s[12:13], v52, v12
	s_or_b64 s[14:15], s[14:15], s[16:17]
	s_and_b64 s[12:13], s[12:13], s[14:15]
	v_cndmask_b32_e64 v49, v54, v55, s[12:13]
	s_barrier
	ds_write_b8 v43, v48
	ds_write_b8 v43, v50 offset:1
	ds_write_b8 v43, v49 offset:2
	v_mov_b32_e32 v48, v37
	s_waitcnt lgkmcnt(0)
	s_barrier
	s_and_saveexec_b64 s[14:15], s[6:7]
	s_cbranch_execz .LBB54_54
; %bb.51:                               ;   in Loop: Header=BB54_2 Depth=1
	s_mov_b64 s[16:17], 0
	v_mov_b32_e32 v48, v37
	v_mov_b32_e32 v49, v21
.LBB54_52:                              ;   Parent Loop BB54_2 Depth=1
                                        ; =>  This Inner Loop Header: Depth=2
	v_sub_u32_e32 v50, v49, v48
	v_lshrrev_b32_e32 v50, 1, v50
	v_add_u32_e32 v50, v50, v48
	v_add_u32_e32 v51, v4, v50
	v_xad_u32 v52, v50, -1, v38
	ds_read_i8 v51, v51
	ds_read_i8 v52, v52 offset:48
	v_add_u32_e32 v53, 1, v50
	s_waitcnt lgkmcnt(0)
	v_cmp_lt_i16_e64 s[12:13], v52, v51
	v_cndmask_b32_e64 v49, v49, v50, s[12:13]
	v_cndmask_b32_e64 v48, v53, v48, s[12:13]
	v_cmp_ge_i32_e64 s[12:13], v48, v49
	s_or_b64 s[16:17], s[12:13], s[16:17]
	s_andn2_b64 exec, exec, s[16:17]
	s_cbranch_execnz .LBB54_52
; %bb.53:                               ;   in Loop: Header=BB54_2 Depth=1
	s_or_b64 exec, exec, s[16:17]
.LBB54_54:                              ;   in Loop: Header=BB54_2 Depth=1
	s_or_b64 exec, exec, s[14:15]
	v_add_u32_e32 v51, v48, v4
	v_sub_u32_e32 v54, v38, v48
	ds_read_u8 v49, v51
	ds_read_u8 v50, v54 offset:48
	v_sub_u32_e32 v53, v39, v48
	v_cmp_le_i32_e64 s[14:15], v15, v51
	v_cmp_gt_i32_e64 s[12:13], v14, v53
	s_waitcnt lgkmcnt(1)
	v_bfe_i32 v48, v49, 0, 8
	s_waitcnt lgkmcnt(0)
	v_bfe_i32 v49, v50, 0, 8
	v_cmp_lt_i16_e64 s[16:17], v49, v48
	s_or_b64 s[14:15], s[14:15], s[16:17]
	s_and_b64 s[12:13], s[12:13], s[14:15]
	s_xor_b64 s[14:15], s[12:13], -1
                                        ; implicit-def: $vgpr50
	s_and_saveexec_b64 s[16:17], s[14:15]
	s_xor_b64 s[14:15], exec, s[16:17]
; %bb.55:                               ;   in Loop: Header=BB54_2 Depth=1
	ds_read_u8 v50, v51 offset:1
                                        ; implicit-def: $vgpr54
; %bb.56:                               ;   in Loop: Header=BB54_2 Depth=1
	s_or_saveexec_b64 s[14:15], s[14:15]
	v_mov_b32_e32 v52, v49
	s_xor_b64 exec, exec, s[14:15]
	s_cbranch_execz .LBB54_58
; %bb.57:                               ;   in Loop: Header=BB54_2 Depth=1
	ds_read_u8 v52, v54 offset:49
	s_waitcnt lgkmcnt(1)
	v_mov_b32_e32 v50, v48
.LBB54_58:                              ;   in Loop: Header=BB54_2 Depth=1
	s_or_b64 exec, exec, s[14:15]
	v_add_u32_e32 v55, 1, v51
	v_add_u32_e32 v54, 1, v53
	v_cndmask_b32_e64 v51, v55, v51, s[12:13]
	v_cndmask_b32_e64 v53, v53, v54, s[12:13]
	v_cmp_ge_i32_e64 s[16:17], v51, v15
	s_waitcnt lgkmcnt(0)
	v_cmp_lt_i16_sdwa s[26:27], sext(v52), sext(v50) src0_sel:BYTE_0 src1_sel:BYTE_0
	v_cmp_lt_i32_e64 s[14:15], v53, v14
	s_or_b64 s[16:17], s[16:17], s[26:27]
	s_and_b64 s[14:15], s[14:15], s[16:17]
	s_xor_b64 s[16:17], s[14:15], -1
                                        ; implicit-def: $vgpr54
	s_and_saveexec_b64 s[26:27], s[16:17]
	s_xor_b64 s[16:17], exec, s[26:27]
; %bb.59:                               ;   in Loop: Header=BB54_2 Depth=1
	ds_read_u8 v54, v51 offset:1
; %bb.60:                               ;   in Loop: Header=BB54_2 Depth=1
	s_or_saveexec_b64 s[16:17], s[16:17]
	v_mov_b32_e32 v55, v52
	s_xor_b64 exec, exec, s[16:17]
	s_cbranch_execz .LBB54_62
; %bb.61:                               ;   in Loop: Header=BB54_2 Depth=1
	ds_read_u8 v55, v53 offset:1
	s_waitcnt lgkmcnt(1)
	v_mov_b32_e32 v54, v50
.LBB54_62:                              ;   in Loop: Header=BB54_2 Depth=1
	s_or_b64 exec, exec, s[16:17]
	v_add_u32_e32 v56, 1, v51
	v_cndmask_b32_e64 v50, v50, v52, s[14:15]
	v_add_u32_e32 v52, 1, v53
	v_cndmask_b32_e64 v51, v56, v51, s[14:15]
	v_cndmask_b32_e64 v52, v53, v52, s[14:15]
	v_cmp_ge_i32_e64 s[14:15], v51, v15
	s_waitcnt lgkmcnt(0)
	v_cmp_lt_i16_sdwa s[16:17], sext(v55), sext(v54) src0_sel:BYTE_0 src1_sel:BYTE_0
	v_cndmask_b32_e64 v48, v48, v49, s[12:13]
	v_cmp_lt_i32_e64 s[12:13], v52, v14
	s_or_b64 s[14:15], s[14:15], s[16:17]
	s_and_b64 s[12:13], s[12:13], s[14:15]
	v_cndmask_b32_e64 v49, v54, v55, s[12:13]
	s_barrier
	ds_write_b8 v43, v48
	ds_write_b8 v43, v50 offset:1
	ds_write_b8 v43, v49 offset:2
	v_mov_b32_e32 v48, v40
	s_waitcnt lgkmcnt(0)
	s_barrier
	s_and_saveexec_b64 s[14:15], s[8:9]
	s_cbranch_execz .LBB54_66
; %bb.63:                               ;   in Loop: Header=BB54_2 Depth=1
	s_mov_b64 s[16:17], 0
	v_mov_b32_e32 v48, v40
	v_mov_b32_e32 v49, v22
.LBB54_64:                              ;   Parent Loop BB54_2 Depth=1
                                        ; =>  This Inner Loop Header: Depth=2
	v_sub_u32_e32 v50, v49, v48
	v_lshrrev_b32_e32 v50, 1, v50
	v_add_u32_e32 v50, v50, v48
	v_add_u32_e32 v51, v5, v50
	v_xad_u32 v52, v50, -1, v41
	ds_read_i8 v51, v51
	ds_read_i8 v52, v52 offset:96
	v_add_u32_e32 v53, 1, v50
	s_waitcnt lgkmcnt(0)
	v_cmp_lt_i16_e64 s[12:13], v52, v51
	v_cndmask_b32_e64 v49, v49, v50, s[12:13]
	v_cndmask_b32_e64 v48, v53, v48, s[12:13]
	v_cmp_ge_i32_e64 s[12:13], v48, v49
	s_or_b64 s[16:17], s[12:13], s[16:17]
	s_andn2_b64 exec, exec, s[16:17]
	s_cbranch_execnz .LBB54_64
; %bb.65:                               ;   in Loop: Header=BB54_2 Depth=1
	s_or_b64 exec, exec, s[16:17]
.LBB54_66:                              ;   in Loop: Header=BB54_2 Depth=1
	s_or_b64 exec, exec, s[14:15]
	v_add_u32_e32 v51, v48, v5
	v_sub_u32_e32 v54, v41, v48
	ds_read_u8 v49, v51
	ds_read_u8 v50, v54 offset:96
	v_sub_u32_e32 v53, v42, v48
	v_cmp_le_i32_e64 s[14:15], v17, v51
	v_cmp_gt_i32_e64 s[12:13], v16, v53
	s_waitcnt lgkmcnt(1)
	v_bfe_i32 v48, v49, 0, 8
	s_waitcnt lgkmcnt(0)
	v_bfe_i32 v49, v50, 0, 8
	v_cmp_lt_i16_e64 s[16:17], v49, v48
	s_or_b64 s[14:15], s[14:15], s[16:17]
	s_and_b64 s[12:13], s[12:13], s[14:15]
	s_xor_b64 s[14:15], s[12:13], -1
                                        ; implicit-def: $vgpr50
	s_and_saveexec_b64 s[16:17], s[14:15]
	s_xor_b64 s[14:15], exec, s[16:17]
; %bb.67:                               ;   in Loop: Header=BB54_2 Depth=1
	ds_read_u8 v50, v51 offset:1
                                        ; implicit-def: $vgpr54
; %bb.68:                               ;   in Loop: Header=BB54_2 Depth=1
	s_or_saveexec_b64 s[14:15], s[14:15]
	v_mov_b32_e32 v52, v49
	s_xor_b64 exec, exec, s[14:15]
	s_cbranch_execz .LBB54_70
; %bb.69:                               ;   in Loop: Header=BB54_2 Depth=1
	ds_read_u8 v52, v54 offset:97
	s_waitcnt lgkmcnt(1)
	v_mov_b32_e32 v50, v48
.LBB54_70:                              ;   in Loop: Header=BB54_2 Depth=1
	s_or_b64 exec, exec, s[14:15]
	v_add_u32_e32 v55, 1, v51
	v_add_u32_e32 v54, 1, v53
	v_cndmask_b32_e64 v51, v55, v51, s[12:13]
	v_cndmask_b32_e64 v53, v53, v54, s[12:13]
	v_cmp_ge_i32_e64 s[16:17], v51, v17
	s_waitcnt lgkmcnt(0)
	v_cmp_lt_i16_sdwa s[26:27], sext(v52), sext(v50) src0_sel:BYTE_0 src1_sel:BYTE_0
	v_cmp_lt_i32_e64 s[14:15], v53, v16
	s_or_b64 s[16:17], s[16:17], s[26:27]
	s_and_b64 s[14:15], s[14:15], s[16:17]
	s_xor_b64 s[16:17], s[14:15], -1
                                        ; implicit-def: $vgpr54
	s_and_saveexec_b64 s[26:27], s[16:17]
	s_xor_b64 s[16:17], exec, s[26:27]
; %bb.71:                               ;   in Loop: Header=BB54_2 Depth=1
	ds_read_u8 v54, v51 offset:1
; %bb.72:                               ;   in Loop: Header=BB54_2 Depth=1
	s_or_saveexec_b64 s[16:17], s[16:17]
	v_mov_b32_e32 v55, v52
	s_xor_b64 exec, exec, s[16:17]
	s_cbranch_execz .LBB54_74
; %bb.73:                               ;   in Loop: Header=BB54_2 Depth=1
	ds_read_u8 v55, v53 offset:1
	s_waitcnt lgkmcnt(1)
	v_mov_b32_e32 v54, v50
.LBB54_74:                              ;   in Loop: Header=BB54_2 Depth=1
	s_or_b64 exec, exec, s[16:17]
	v_add_u32_e32 v56, 1, v51
	v_cndmask_b32_e64 v50, v50, v52, s[14:15]
	v_add_u32_e32 v52, 1, v53
	v_cndmask_b32_e64 v51, v56, v51, s[14:15]
	v_cndmask_b32_e64 v52, v53, v52, s[14:15]
	v_cmp_ge_i32_e64 s[14:15], v51, v17
	s_waitcnt lgkmcnt(0)
	v_cmp_lt_i16_sdwa s[16:17], sext(v55), sext(v54) src0_sel:BYTE_0 src1_sel:BYTE_0
	v_cndmask_b32_e64 v48, v48, v49, s[12:13]
	v_cmp_lt_i32_e64 s[12:13], v52, v16
	s_or_b64 s[14:15], s[14:15], s[16:17]
	s_and_b64 s[12:13], s[12:13], s[14:15]
	v_cndmask_b32_e64 v49, v54, v55, s[12:13]
	s_barrier
	ds_write_b8 v43, v48
	ds_write_b8 v43, v50 offset:1
	ds_write_b8 v43, v49 offset:2
	v_mov_b32_e32 v49, v45
	s_waitcnt lgkmcnt(0)
	s_barrier
	s_and_saveexec_b64 s[14:15], s[10:11]
	s_cbranch_execz .LBB54_78
; %bb.75:                               ;   in Loop: Header=BB54_2 Depth=1
	s_mov_b64 s[16:17], 0
	v_mov_b32_e32 v49, v45
	v_mov_b32_e32 v48, v46
.LBB54_76:                              ;   Parent Loop BB54_2 Depth=1
                                        ; =>  This Inner Loop Header: Depth=2
	v_sub_u32_e32 v50, v48, v49
	v_lshrrev_b32_e32 v50, 1, v50
	v_add_u32_e32 v50, v50, v49
	v_xad_u32 v51, v50, -1, v43
	ds_read_i8 v52, v50
	ds_read_i8 v51, v51 offset:192
	v_add_u32_e32 v53, 1, v50
	s_waitcnt lgkmcnt(0)
	v_cmp_lt_i16_e64 s[12:13], v51, v52
	v_cndmask_b32_e64 v48, v48, v50, s[12:13]
	v_cndmask_b32_e64 v49, v53, v49, s[12:13]
	v_cmp_ge_i32_e64 s[12:13], v49, v48
	s_or_b64 s[16:17], s[12:13], s[16:17]
	s_andn2_b64 exec, exec, s[16:17]
	s_cbranch_execnz .LBB54_76
; %bb.77:                               ;   in Loop: Header=BB54_2 Depth=1
	s_or_b64 exec, exec, s[16:17]
.LBB54_78:                              ;   in Loop: Header=BB54_2 Depth=1
	s_or_b64 exec, exec, s[14:15]
	v_sub_u32_e32 v54, v43, v49
	ds_read_u8 v48, v49
	ds_read_u8 v50, v54 offset:192
	v_sub_u32_e32 v53, v47, v49
	v_cmp_le_i32_e64 s[14:15], v44, v49
	v_cmp_gt_i32_e64 s[12:13], s21, v53
	s_waitcnt lgkmcnt(1)
	v_bfe_i32 v48, v48, 0, 8
	s_waitcnt lgkmcnt(0)
	v_bfe_i32 v50, v50, 0, 8
	v_cmp_lt_i16_e64 s[16:17], v50, v48
	s_or_b64 s[14:15], s[14:15], s[16:17]
	s_and_b64 s[12:13], s[12:13], s[14:15]
	s_xor_b64 s[14:15], s[12:13], -1
                                        ; implicit-def: $vgpr51
	s_and_saveexec_b64 s[16:17], s[14:15]
	s_xor_b64 s[14:15], exec, s[16:17]
; %bb.79:                               ;   in Loop: Header=BB54_2 Depth=1
	ds_read_u8 v51, v49 offset:1
                                        ; implicit-def: $vgpr54
; %bb.80:                               ;   in Loop: Header=BB54_2 Depth=1
	s_or_saveexec_b64 s[14:15], s[14:15]
	v_mov_b32_e32 v52, v50
	s_xor_b64 exec, exec, s[14:15]
	s_cbranch_execz .LBB54_82
; %bb.81:                               ;   in Loop: Header=BB54_2 Depth=1
	ds_read_u8 v52, v54 offset:193
	s_waitcnt lgkmcnt(1)
	v_mov_b32_e32 v51, v48
.LBB54_82:                              ;   in Loop: Header=BB54_2 Depth=1
	s_or_b64 exec, exec, s[14:15]
	v_add_u32_e32 v55, 1, v49
	v_add_u32_e32 v54, 1, v53
	v_cndmask_b32_e64 v55, v55, v49, s[12:13]
	v_cndmask_b32_e64 v53, v53, v54, s[12:13]
	v_cmp_ge_i32_e64 s[16:17], v55, v44
	s_waitcnt lgkmcnt(0)
	v_cmp_lt_i16_sdwa s[26:27], sext(v52), sext(v51) src0_sel:BYTE_0 src1_sel:BYTE_0
	v_cmp_gt_i32_e64 s[14:15], s21, v53
	s_or_b64 s[16:17], s[16:17], s[26:27]
	s_and_b64 s[14:15], s[14:15], s[16:17]
	s_xor_b64 s[16:17], s[14:15], -1
                                        ; implicit-def: $vgpr49
                                        ; implicit-def: $vgpr54
	s_and_saveexec_b64 s[26:27], s[16:17]
	s_xor_b64 s[16:17], exec, s[26:27]
; %bb.83:                               ;   in Loop: Header=BB54_2 Depth=1
	ds_read_u8 v49, v55 offset:1
	v_add_u32_e32 v54, 1, v55
                                        ; implicit-def: $vgpr55
; %bb.84:                               ;   in Loop: Header=BB54_2 Depth=1
	s_or_saveexec_b64 s[16:17], s[16:17]
	v_mov_b32_e32 v56, v52
	s_xor_b64 exec, exec, s[16:17]
	s_cbranch_execz .LBB54_1
; %bb.85:                               ;   in Loop: Header=BB54_2 Depth=1
	ds_read_u8 v56, v53 offset:1
	v_add_u32_e32 v53, 1, v53
	v_mov_b32_e32 v54, v55
	s_waitcnt lgkmcnt(1)
	v_mov_b32_e32 v49, v51
	s_branch .LBB54_1
.LBB54_86:
	s_add_u32 s0, s18, s20
	s_addc_u32 s1, s19, 0
	v_mov_b32_e32 v1, s1
	v_add_co_u32_e32 v0, vcc, s0, v0
	v_addc_co_u32_e32 v1, vcc, 0, v1, vcc
	global_store_byte v[0:1], v50, off
	global_store_byte v[0:1], v51, off offset:128
	global_store_byte v[0:1], v49, off offset:256
	s_endpgm
	.section	.rodata,"a",@progbits
	.p2align	6, 0x0
	.amdhsa_kernel _Z16sort_keys_kernelIaLj128ELj3EN10test_utils4lessELj10EEvPKT_PS2_T2_
		.amdhsa_group_segment_fixed_size 385
		.amdhsa_private_segment_fixed_size 0
		.amdhsa_kernarg_size 20
		.amdhsa_user_sgpr_count 6
		.amdhsa_user_sgpr_private_segment_buffer 1
		.amdhsa_user_sgpr_dispatch_ptr 0
		.amdhsa_user_sgpr_queue_ptr 0
		.amdhsa_user_sgpr_kernarg_segment_ptr 1
		.amdhsa_user_sgpr_dispatch_id 0
		.amdhsa_user_sgpr_flat_scratch_init 0
		.amdhsa_user_sgpr_private_segment_size 0
		.amdhsa_uses_dynamic_stack 0
		.amdhsa_system_sgpr_private_segment_wavefront_offset 0
		.amdhsa_system_sgpr_workgroup_id_x 1
		.amdhsa_system_sgpr_workgroup_id_y 0
		.amdhsa_system_sgpr_workgroup_id_z 0
		.amdhsa_system_sgpr_workgroup_info 0
		.amdhsa_system_vgpr_workitem_id 0
		.amdhsa_next_free_vgpr 57
		.amdhsa_next_free_sgpr 28
		.amdhsa_reserve_vcc 1
		.amdhsa_reserve_flat_scratch 0
		.amdhsa_float_round_mode_32 0
		.amdhsa_float_round_mode_16_64 0
		.amdhsa_float_denorm_mode_32 3
		.amdhsa_float_denorm_mode_16_64 3
		.amdhsa_dx10_clamp 1
		.amdhsa_ieee_mode 1
		.amdhsa_fp16_overflow 0
		.amdhsa_exception_fp_ieee_invalid_op 0
		.amdhsa_exception_fp_denorm_src 0
		.amdhsa_exception_fp_ieee_div_zero 0
		.amdhsa_exception_fp_ieee_overflow 0
		.amdhsa_exception_fp_ieee_underflow 0
		.amdhsa_exception_fp_ieee_inexact 0
		.amdhsa_exception_int_div_zero 0
	.end_amdhsa_kernel
	.section	.text._Z16sort_keys_kernelIaLj128ELj3EN10test_utils4lessELj10EEvPKT_PS2_T2_,"axG",@progbits,_Z16sort_keys_kernelIaLj128ELj3EN10test_utils4lessELj10EEvPKT_PS2_T2_,comdat
.Lfunc_end54:
	.size	_Z16sort_keys_kernelIaLj128ELj3EN10test_utils4lessELj10EEvPKT_PS2_T2_, .Lfunc_end54-_Z16sort_keys_kernelIaLj128ELj3EN10test_utils4lessELj10EEvPKT_PS2_T2_
                                        ; -- End function
	.set _Z16sort_keys_kernelIaLj128ELj3EN10test_utils4lessELj10EEvPKT_PS2_T2_.num_vgpr, 57
	.set _Z16sort_keys_kernelIaLj128ELj3EN10test_utils4lessELj10EEvPKT_PS2_T2_.num_agpr, 0
	.set _Z16sort_keys_kernelIaLj128ELj3EN10test_utils4lessELj10EEvPKT_PS2_T2_.numbered_sgpr, 28
	.set _Z16sort_keys_kernelIaLj128ELj3EN10test_utils4lessELj10EEvPKT_PS2_T2_.num_named_barrier, 0
	.set _Z16sort_keys_kernelIaLj128ELj3EN10test_utils4lessELj10EEvPKT_PS2_T2_.private_seg_size, 0
	.set _Z16sort_keys_kernelIaLj128ELj3EN10test_utils4lessELj10EEvPKT_PS2_T2_.uses_vcc, 1
	.set _Z16sort_keys_kernelIaLj128ELj3EN10test_utils4lessELj10EEvPKT_PS2_T2_.uses_flat_scratch, 0
	.set _Z16sort_keys_kernelIaLj128ELj3EN10test_utils4lessELj10EEvPKT_PS2_T2_.has_dyn_sized_stack, 0
	.set _Z16sort_keys_kernelIaLj128ELj3EN10test_utils4lessELj10EEvPKT_PS2_T2_.has_recursion, 0
	.set _Z16sort_keys_kernelIaLj128ELj3EN10test_utils4lessELj10EEvPKT_PS2_T2_.has_indirect_call, 0
	.section	.AMDGPU.csdata,"",@progbits
; Kernel info:
; codeLenInByte = 4508
; TotalNumSgprs: 32
; NumVgprs: 57
; ScratchSize: 0
; MemoryBound: 0
; FloatMode: 240
; IeeeMode: 1
; LDSByteSize: 385 bytes/workgroup (compile time only)
; SGPRBlocks: 3
; VGPRBlocks: 14
; NumSGPRsForWavesPerEU: 32
; NumVGPRsForWavesPerEU: 57
; Occupancy: 4
; WaveLimiterHint : 1
; COMPUTE_PGM_RSRC2:SCRATCH_EN: 0
; COMPUTE_PGM_RSRC2:USER_SGPR: 6
; COMPUTE_PGM_RSRC2:TRAP_HANDLER: 0
; COMPUTE_PGM_RSRC2:TGID_X_EN: 1
; COMPUTE_PGM_RSRC2:TGID_Y_EN: 0
; COMPUTE_PGM_RSRC2:TGID_Z_EN: 0
; COMPUTE_PGM_RSRC2:TIDIG_COMP_CNT: 0
	.section	.text._Z17sort_pairs_kernelIaLj128ELj3EN10test_utils4lessELj10EEvPKT_PS2_T2_,"axG",@progbits,_Z17sort_pairs_kernelIaLj128ELj3EN10test_utils4lessELj10EEvPKT_PS2_T2_,comdat
	.protected	_Z17sort_pairs_kernelIaLj128ELj3EN10test_utils4lessELj10EEvPKT_PS2_T2_ ; -- Begin function _Z17sort_pairs_kernelIaLj128ELj3EN10test_utils4lessELj10EEvPKT_PS2_T2_
	.globl	_Z17sort_pairs_kernelIaLj128ELj3EN10test_utils4lessELj10EEvPKT_PS2_T2_
	.p2align	8
	.type	_Z17sort_pairs_kernelIaLj128ELj3EN10test_utils4lessELj10EEvPKT_PS2_T2_,@function
_Z17sort_pairs_kernelIaLj128ELj3EN10test_utils4lessELj10EEvPKT_PS2_T2_: ; @_Z17sort_pairs_kernelIaLj128ELj3EN10test_utils4lessELj10EEvPKT_PS2_T2_
; %bb.0:
	s_load_dwordx4 s[24:27], s[4:5], 0x0
	s_mul_i32 s28, s6, 0x180
	v_and_b32_e32 v2, 0x7c, v0
	v_and_b32_e32 v3, 0x78, v0
	;; [unrolled: 1-line block ×3, first 2 shown]
	s_waitcnt lgkmcnt(0)
	s_add_u32 s0, s24, s28
	s_addc_u32 s1, s25, 0
	global_load_ubyte v23, v0, s[0:1]
	global_load_ubyte v24, v0, s[0:1] offset:128
	global_load_ubyte v25, v0, s[0:1] offset:256
	v_and_b32_e32 v5, 0x60, v0
	v_and_b32_e32 v6, 64, v0
	;; [unrolled: 1-line block ×3, first 2 shown]
	v_mul_u32_u24_e32 v2, 3, v2
	v_mul_u32_u24_e32 v3, 3, v3
	;; [unrolled: 1-line block ×6, first 2 shown]
	s_mov_b32 s24, 0xc0c0004
	v_and_b32_e32 v1, 1, v0
	v_min_u32_e32 v29, 0x17a, v2
	v_min_u32_e32 v7, 0x174, v2
	;; [unrolled: 1-line block ×12, first 2 shown]
	v_and_b32_e32 v30, 3, v0
	v_and_b32_e32 v33, 7, v0
	;; [unrolled: 1-line block ×5, first 2 shown]
	v_cmp_eq_u32_e32 vcc, 1, v1
	v_min_u32_e32 v1, 0x180, v2
	v_min_u32_e32 v2, 0x180, v3
	;; [unrolled: 1-line block ×5, first 2 shown]
	v_add_u32_e32 v6, 6, v29
	v_add_u32_e32 v7, 12, v7
	;; [unrolled: 1-line block ×12, first 2 shown]
	v_mul_u32_u24_e32 v28, 3, v30
	v_mul_u32_u24_e32 v31, 3, v33
	;; [unrolled: 1-line block ×5, first 2 shown]
	v_cndmask_b32_e64 v27, 0, 3, vcc
	v_sub_u32_e32 v44, v7, v6
	v_sub_u32_e32 v45, v9, v8
	;; [unrolled: 1-line block ×17, first 2 shown]
	v_cmp_ge_i32_e32 vcc, v27, v53
	v_cmp_ge_i32_e64 s[0:1], v28, v44
	v_cmp_ge_i32_e64 s[2:3], v31, v45
	;; [unrolled: 1-line block ×5, first 2 shown]
	v_mov_b32_e32 v44, 0xc0
	v_min_i32_e32 v18, v28, v18
	v_min_i32_e32 v19, v31, v19
	s_waitcnt vmcnt(1)
	v_perm_b32 v48, v23, v24, s24
	s_waitcnt vmcnt(0)
	v_lshlrev_b32_e32 v49, 16, v25
	v_or_b32_e32 v51, v48, v49
	v_add_u16_e32 v49, 1, v23
	v_min_u32_e32 v23, 0x180, v26
	v_add_u16_e32 v48, 1, v25
	v_sub_u32_e32 v25, v17, v23
	v_add_u32_e32 v26, v43, v27
	v_mul_u32_u24_e32 v43, 3, v0
	v_min_i32_e32 v20, v34, v20
	v_min_i32_e32 v21, v37, v21
	;; [unrolled: 1-line block ×3, first 2 shown]
	v_add_u16_e32 v50, 1, v24
	v_cndmask_b32_e32 v24, 0, v59, vcc
	v_min_i32_e32 v25, v27, v25
	v_cndmask_b32_e64 v28, 0, v54, s[0:1]
	v_cndmask_b32_e64 v31, 0, v55, s[2:3]
	;; [unrolled: 1-line block ×5, first 2 shown]
	v_sub_u32_e64 v45, v43, v44 clamp
	v_min_i32_e32 v46, 0xc0, v43
	s_movk_i32 s25, 0x180
	s_mov_b32 s29, 0
	v_cmp_lt_i32_e32 vcc, v24, v25
	v_add_u32_e32 v27, v17, v27
	v_cmp_lt_i32_e64 s[0:1], v28, v18
	v_mad_u32_u24 v29, v30, 3, v29
	v_mad_u32_u24 v30, v30, 3, v6
	v_cmp_lt_i32_e64 s[2:3], v31, v19
	v_mad_u32_u24 v32, v33, 3, v32
	v_mad_u32_u24 v33, v33, 3, v8
	;; [unrolled: 3-line block ×5, first 2 shown]
	v_cmp_lt_i32_e64 s[10:11], v45, v46
	s_mov_b32 s30, 0x7060405
	s_mov_b32 s31, 0x7000604
	;; [unrolled: 1-line block ×5, first 2 shown]
	v_mad_u32_u24 v47, v0, 3, v44
	s_branch .LBB55_2
.LBB55_1:                               ;   in Loop: Header=BB55_2 Depth=1
	s_or_b64 exec, exec, s[16:17]
	v_cndmask_b32_e64 v53, v53, v54, s[12:13]
	v_cndmask_b32_e64 v54, v55, v56, s[14:15]
	v_cmp_ge_i32_e64 s[14:15], v58, v44
	s_waitcnt lgkmcnt(0)
	v_cmp_lt_i16_sdwa s[16:17], sext(v62), sext(v60) src0_sel:BYTE_0 src1_sel:BYTE_0
	v_cndmask_b32_e64 v51, v51, v52, s[12:13]
	v_cmp_gt_i32_e64 s[12:13], s25, v57
	s_or_b64 s[14:15], s[14:15], s[16:17]
	s_and_b64 s[12:13], s[12:13], s[14:15]
	v_cndmask_b32_e64 v57, v58, v57, s[12:13]
	s_barrier
	ds_write_b8 v43, v48
	ds_write_b8 v43, v50 offset:1
	ds_write_b8 v43, v49 offset:2
	s_waitcnt lgkmcnt(0)
	s_barrier
	ds_read_u8 v49, v51
	ds_read_u8 v50, v59
	;; [unrolled: 1-line block ×3, first 2 shown]
	v_cndmask_b32_e64 v52, v60, v62, s[12:13]
	v_lshlrev_b16_e32 v55, 8, v54
	v_and_b32_e32 v56, 0xff, v52
	v_or_b32_sdwa v55, v53, v55 dst_sel:DWORD dst_unused:UNUSED_PAD src0_sel:BYTE_0 src1_sel:DWORD
	v_lshlrev_b32_e32 v51, 16, v56
	s_add_i32 s29, s29, 1
	s_cmp_eq_u32 s29, 10
	v_or_b32_sdwa v51, v55, v51 dst_sel:DWORD dst_unused:UNUSED_PAD src0_sel:WORD_0 src1_sel:DWORD
	s_cbranch_scc1 .LBB55_86
.LBB55_2:                               ; =>This Loop Header: Depth=1
                                        ;     Child Loop BB55_4 Depth 2
                                        ;     Child Loop BB55_16 Depth 2
	;; [unrolled: 1-line block ×7, first 2 shown]
	v_lshrrev_b32_e32 v53, 8, v51
	v_perm_b32 v52, v51, v51, s30
	v_cmp_lt_i16_sdwa s[12:13], sext(v53), sext(v51) src0_sel:BYTE_0 src1_sel:BYTE_0
	v_cndmask_b32_e64 v52, v51, v52, s[12:13]
	v_lshrrev_b32_e32 v54, 16, v52
	v_max_i16_sdwa v51, sext(v53), sext(v51) dst_sel:DWORD dst_unused:UNUSED_PAD src0_sel:BYTE_0 src1_sel:BYTE_0
	v_perm_b32 v53, v52, v51, s31
	v_cmp_lt_i16_sdwa s[14:15], sext(v54), v51 src0_sel:BYTE_0 src1_sel:DWORD
	v_cndmask_b32_e64 v52, v52, v53, s[14:15]
	v_lshlrev_b16_e32 v53, 8, v52
	v_min_i16_sdwa v51, sext(v54), v51 dst_sel:DWORD dst_unused:UNUSED_PAD src0_sel:BYTE_0 src1_sel:DWORD
	v_or_b32_sdwa v53, v51, v53 dst_sel:DWORD dst_unused:UNUSED_PAD src0_sel:BYTE_0 src1_sel:DWORD
	v_and_b32_e32 v53, 0xffff, v53
	v_and_or_b32 v53, v52, s33, v53
	v_cmp_lt_i16_sdwa s[16:17], v51, sext(v52) src0_sel:DWORD src1_sel:BYTE_0
	v_cndmask_b32_e64 v51, v52, v53, s[16:17]
	v_lshrrev_b32_e32 v52, 8, v51
	s_waitcnt lgkmcnt(0)
	s_barrier
	ds_write_b8 v43, v51
	ds_write_b8 v43, v52 offset:1
	ds_write_b8_d16_hi v43, v51 offset:2
	v_mov_b32_e32 v52, v24
	s_waitcnt lgkmcnt(0)
	s_barrier
	s_and_saveexec_b64 s[20:21], vcc
	s_cbranch_execz .LBB55_6
; %bb.3:                                ;   in Loop: Header=BB55_2 Depth=1
	s_mov_b64 s[22:23], 0
	v_mov_b32_e32 v52, v24
	v_mov_b32_e32 v51, v25
.LBB55_4:                               ;   Parent Loop BB55_2 Depth=1
                                        ; =>  This Inner Loop Header: Depth=2
	v_sub_u32_e32 v53, v51, v52
	v_lshrrev_b32_e32 v53, 1, v53
	v_add_u32_e32 v53, v53, v52
	v_add_u32_e32 v54, v23, v53
	v_xad_u32 v55, v53, -1, v26
	ds_read_i8 v54, v54
	ds_read_i8 v55, v55 offset:3
	v_add_u32_e32 v56, 1, v53
	s_waitcnt lgkmcnt(0)
	v_cmp_lt_i16_e64 s[18:19], v55, v54
	v_cndmask_b32_e64 v51, v51, v53, s[18:19]
	v_cndmask_b32_e64 v52, v56, v52, s[18:19]
	v_cmp_ge_i32_e64 s[18:19], v52, v51
	s_or_b64 s[22:23], s[18:19], s[22:23]
	s_andn2_b64 exec, exec, s[22:23]
	s_cbranch_execnz .LBB55_4
; %bb.5:                                ;   in Loop: Header=BB55_2 Depth=1
	s_or_b64 exec, exec, s[22:23]
.LBB55_6:                               ;   in Loop: Header=BB55_2 Depth=1
	s_or_b64 exec, exec, s[20:21]
	v_add_u32_e32 v51, v52, v23
	v_sub_u32_e32 v56, v26, v52
	ds_read_u8 v53, v51
	ds_read_u8 v54, v56 offset:3
	v_sub_u32_e32 v52, v27, v52
	v_cmp_le_i32_e64 s[20:21], v17, v51
	v_cmp_gt_i32_e64 s[18:19], v16, v52
	s_waitcnt lgkmcnt(1)
	v_bfe_i32 v53, v53, 0, 8
	s_waitcnt lgkmcnt(0)
	v_bfe_i32 v54, v54, 0, 8
	v_cmp_lt_i16_e64 s[22:23], v54, v53
	s_or_b64 s[20:21], s[20:21], s[22:23]
	s_and_b64 s[18:19], s[18:19], s[20:21]
	s_xor_b64 s[20:21], s[18:19], -1
                                        ; implicit-def: $vgpr55
	s_and_saveexec_b64 s[22:23], s[20:21]
	s_xor_b64 s[20:21], exec, s[22:23]
; %bb.7:                                ;   in Loop: Header=BB55_2 Depth=1
	ds_read_u8 v55, v51 offset:1
                                        ; implicit-def: $vgpr56
; %bb.8:                                ;   in Loop: Header=BB55_2 Depth=1
	s_or_saveexec_b64 s[20:21], s[20:21]
	v_mov_b32_e32 v57, v54
	s_xor_b64 exec, exec, s[20:21]
	s_cbranch_execz .LBB55_10
; %bb.9:                                ;   in Loop: Header=BB55_2 Depth=1
	ds_read_u8 v57, v56 offset:4
	s_waitcnt lgkmcnt(1)
	v_mov_b32_e32 v55, v53
.LBB55_10:                              ;   in Loop: Header=BB55_2 Depth=1
	s_or_b64 exec, exec, s[20:21]
	v_add_u32_e32 v59, 1, v51
	v_add_u32_e32 v56, 1, v52
	v_cndmask_b32_e64 v59, v59, v51, s[18:19]
	v_cndmask_b32_e64 v58, v52, v56, s[18:19]
	v_cmp_ge_i32_e64 s[22:23], v59, v17
	s_waitcnt lgkmcnt(0)
	v_cmp_lt_i16_sdwa s[36:37], sext(v57), sext(v55) src0_sel:BYTE_0 src1_sel:BYTE_0
	v_cmp_lt_i32_e64 s[20:21], v58, v16
	s_or_b64 s[22:23], s[22:23], s[36:37]
	s_and_b64 s[20:21], s[20:21], s[22:23]
	s_xor_b64 s[22:23], s[20:21], -1
                                        ; implicit-def: $vgpr56
	s_and_saveexec_b64 s[36:37], s[22:23]
	s_xor_b64 s[22:23], exec, s[36:37]
; %bb.11:                               ;   in Loop: Header=BB55_2 Depth=1
	ds_read_u8 v56, v59 offset:1
; %bb.12:                               ;   in Loop: Header=BB55_2 Depth=1
	s_or_saveexec_b64 s[22:23], s[22:23]
	v_mov_b32_e32 v60, v57
	s_xor_b64 exec, exec, s[22:23]
	s_cbranch_execz .LBB55_14
; %bb.13:                               ;   in Loop: Header=BB55_2 Depth=1
	ds_read_u8 v60, v58 offset:1
	s_waitcnt lgkmcnt(1)
	v_mov_b32_e32 v56, v55
.LBB55_14:                              ;   in Loop: Header=BB55_2 Depth=1
	s_or_b64 exec, exec, s[22:23]
	v_cndmask_b32_e64 v51, v51, v52, s[18:19]
	v_perm_b32 v52, v50, v49, s24
	v_perm_b32 v49, v49, v50, s24
	v_and_b32_e32 v50, 0xff, v48
	v_cndmask_b32_e64 v49, v49, v52, s[12:13]
	v_lshlrev_b32_e32 v50, 16, v50
	v_lshrrev_b16_e32 v52, 8, v49
	v_or_b32_e32 v50, v49, v50
	v_perm_b32 v48, v49, v48, s24
	v_lshlrev_b32_e32 v49, 16, v52
	v_or_b32_e32 v48, v48, v49
	v_cndmask_b32_e64 v48, v50, v48, s[14:15]
	v_add_u32_e32 v61, 1, v59
	v_perm_b32 v49, 0, v48, s34
	v_cndmask_b32_e64 v55, v55, v57, s[20:21]
	v_add_u32_e32 v57, 1, v58
	v_cndmask_b32_e64 v61, v61, v59, s[20:21]
	v_and_or_b32 v49, v48, s35, v49
	v_cndmask_b32_e64 v57, v58, v57, s[20:21]
	v_cndmask_b32_e64 v48, v48, v49, s[16:17]
	v_cmp_ge_i32_e64 s[14:15], v61, v17
	s_waitcnt lgkmcnt(0)
	v_cmp_lt_i16_sdwa s[16:17], sext(v60), sext(v56) src0_sel:BYTE_0 src1_sel:BYTE_0
	v_cmp_lt_i32_e64 s[12:13], v57, v16
	s_or_b64 s[14:15], s[14:15], s[16:17]
	s_and_b64 s[12:13], s[12:13], s[14:15]
	v_cndmask_b32_e64 v49, v61, v57, s[12:13]
	v_lshrrev_b32_e32 v50, 8, v48
	v_cndmask_b32_e64 v58, v59, v58, s[20:21]
	s_barrier
	ds_write_b8 v43, v48
	ds_write_b8 v43, v50 offset:1
	ds_write_b8_d16_hi v43, v48 offset:2
	s_waitcnt lgkmcnt(0)
	s_barrier
	ds_read_u8 v48, v51
	ds_read_u8 v49, v49
	;; [unrolled: 1-line block ×3, first 2 shown]
	v_cndmask_b32_e64 v53, v53, v54, s[18:19]
	v_cndmask_b32_e64 v52, v56, v60, s[12:13]
	s_waitcnt lgkmcnt(0)
	s_barrier
	ds_write_b8 v43, v53
	ds_write_b8 v43, v55 offset:1
	ds_write_b8 v43, v52 offset:2
	v_mov_b32_e32 v52, v28
	s_waitcnt lgkmcnt(0)
	s_barrier
	s_and_saveexec_b64 s[14:15], s[0:1]
	s_cbranch_execz .LBB55_18
; %bb.15:                               ;   in Loop: Header=BB55_2 Depth=1
	s_mov_b64 s[16:17], 0
	v_mov_b32_e32 v52, v28
	v_mov_b32_e32 v51, v18
.LBB55_16:                              ;   Parent Loop BB55_2 Depth=1
                                        ; =>  This Inner Loop Header: Depth=2
	v_sub_u32_e32 v53, v51, v52
	v_lshrrev_b32_e32 v53, 1, v53
	v_add_u32_e32 v53, v53, v52
	v_add_u32_e32 v54, v1, v53
	v_xad_u32 v55, v53, -1, v29
	ds_read_i8 v54, v54
	ds_read_i8 v55, v55 offset:6
	v_add_u32_e32 v56, 1, v53
	s_waitcnt lgkmcnt(0)
	v_cmp_lt_i16_e64 s[12:13], v55, v54
	v_cndmask_b32_e64 v51, v51, v53, s[12:13]
	v_cndmask_b32_e64 v52, v56, v52, s[12:13]
	v_cmp_ge_i32_e64 s[12:13], v52, v51
	s_or_b64 s[16:17], s[12:13], s[16:17]
	s_andn2_b64 exec, exec, s[16:17]
	s_cbranch_execnz .LBB55_16
; %bb.17:                               ;   in Loop: Header=BB55_2 Depth=1
	s_or_b64 exec, exec, s[16:17]
.LBB55_18:                              ;   in Loop: Header=BB55_2 Depth=1
	s_or_b64 exec, exec, s[14:15]
	v_add_u32_e32 v51, v52, v1
	v_sub_u32_e32 v57, v29, v52
	ds_read_u8 v53, v51
	ds_read_u8 v54, v57 offset:6
	v_sub_u32_e32 v52, v30, v52
	v_cmp_le_i32_e64 s[14:15], v6, v51
	v_cmp_gt_i32_e64 s[12:13], v7, v52
	s_waitcnt lgkmcnt(1)
	v_bfe_i32 v53, v53, 0, 8
	s_waitcnt lgkmcnt(0)
	v_bfe_i32 v54, v54, 0, 8
	v_cmp_lt_i16_e64 s[16:17], v54, v53
	s_or_b64 s[14:15], s[14:15], s[16:17]
	s_and_b64 s[12:13], s[12:13], s[14:15]
	s_xor_b64 s[14:15], s[12:13], -1
                                        ; implicit-def: $vgpr55
	s_and_saveexec_b64 s[16:17], s[14:15]
	s_xor_b64 s[14:15], exec, s[16:17]
; %bb.19:                               ;   in Loop: Header=BB55_2 Depth=1
	ds_read_u8 v55, v51 offset:1
                                        ; implicit-def: $vgpr57
; %bb.20:                               ;   in Loop: Header=BB55_2 Depth=1
	s_or_saveexec_b64 s[14:15], s[14:15]
	v_mov_b32_e32 v56, v54
	s_xor_b64 exec, exec, s[14:15]
	s_cbranch_execz .LBB55_22
; %bb.21:                               ;   in Loop: Header=BB55_2 Depth=1
	ds_read_u8 v56, v57 offset:7
	s_waitcnt lgkmcnt(1)
	v_mov_b32_e32 v55, v53
.LBB55_22:                              ;   in Loop: Header=BB55_2 Depth=1
	s_or_b64 exec, exec, s[14:15]
	v_add_u32_e32 v58, 1, v51
	v_add_u32_e32 v57, 1, v52
	v_cndmask_b32_e64 v58, v58, v51, s[12:13]
	v_cndmask_b32_e64 v57, v52, v57, s[12:13]
	v_cmp_ge_i32_e64 s[16:17], v58, v6
	s_waitcnt lgkmcnt(0)
	v_cmp_lt_i16_sdwa s[18:19], sext(v56), sext(v55) src0_sel:BYTE_0 src1_sel:BYTE_0
	v_cmp_lt_i32_e64 s[14:15], v57, v7
	s_or_b64 s[16:17], s[16:17], s[18:19]
	s_and_b64 s[14:15], s[14:15], s[16:17]
	s_xor_b64 s[16:17], s[14:15], -1
                                        ; implicit-def: $vgpr59
	s_and_saveexec_b64 s[18:19], s[16:17]
	s_xor_b64 s[16:17], exec, s[18:19]
; %bb.23:                               ;   in Loop: Header=BB55_2 Depth=1
	ds_read_u8 v59, v58 offset:1
; %bb.24:                               ;   in Loop: Header=BB55_2 Depth=1
	s_or_saveexec_b64 s[16:17], s[16:17]
	v_mov_b32_e32 v60, v56
	s_xor_b64 exec, exec, s[16:17]
	s_cbranch_execz .LBB55_26
; %bb.25:                               ;   in Loop: Header=BB55_2 Depth=1
	ds_read_u8 v60, v57 offset:1
	s_waitcnt lgkmcnt(1)
	v_mov_b32_e32 v59, v55
.LBB55_26:                              ;   in Loop: Header=BB55_2 Depth=1
	s_or_b64 exec, exec, s[16:17]
	v_add_u32_e32 v61, 1, v58
	v_cndmask_b32_e64 v55, v55, v56, s[14:15]
	v_add_u32_e32 v56, 1, v57
	v_cndmask_b32_e64 v61, v61, v58, s[14:15]
	v_cndmask_b32_e64 v56, v57, v56, s[14:15]
	;; [unrolled: 1-line block ×3, first 2 shown]
	v_cmp_ge_i32_e64 s[14:15], v61, v6
	s_waitcnt lgkmcnt(0)
	v_cmp_lt_i16_sdwa s[16:17], sext(v60), sext(v59) src0_sel:BYTE_0 src1_sel:BYTE_0
	v_cndmask_b32_e64 v53, v53, v54, s[12:13]
	v_cndmask_b32_e64 v51, v51, v52, s[12:13]
	v_cmp_lt_i32_e64 s[12:13], v56, v7
	s_or_b64 s[14:15], s[14:15], s[16:17]
	s_and_b64 s[12:13], s[12:13], s[14:15]
	v_cndmask_b32_e64 v54, v61, v56, s[12:13]
	s_barrier
	ds_write_b8 v43, v48
	ds_write_b8 v43, v50 offset:1
	ds_write_b8 v43, v49 offset:2
	s_waitcnt lgkmcnt(0)
	s_barrier
	ds_read_u8 v48, v51
	ds_read_u8 v49, v54
	;; [unrolled: 1-line block ×3, first 2 shown]
	v_cndmask_b32_e64 v52, v59, v60, s[12:13]
	s_waitcnt lgkmcnt(0)
	s_barrier
	ds_write_b8 v43, v53
	ds_write_b8 v43, v55 offset:1
	ds_write_b8 v43, v52 offset:2
	v_mov_b32_e32 v52, v31
	s_waitcnt lgkmcnt(0)
	s_barrier
	s_and_saveexec_b64 s[14:15], s[2:3]
	s_cbranch_execz .LBB55_30
; %bb.27:                               ;   in Loop: Header=BB55_2 Depth=1
	s_mov_b64 s[16:17], 0
	v_mov_b32_e32 v52, v31
	v_mov_b32_e32 v51, v19
.LBB55_28:                              ;   Parent Loop BB55_2 Depth=1
                                        ; =>  This Inner Loop Header: Depth=2
	v_sub_u32_e32 v53, v51, v52
	v_lshrrev_b32_e32 v53, 1, v53
	v_add_u32_e32 v53, v53, v52
	v_add_u32_e32 v54, v2, v53
	v_xad_u32 v55, v53, -1, v32
	ds_read_i8 v54, v54
	ds_read_i8 v55, v55 offset:12
	v_add_u32_e32 v56, 1, v53
	s_waitcnt lgkmcnt(0)
	v_cmp_lt_i16_e64 s[12:13], v55, v54
	v_cndmask_b32_e64 v51, v51, v53, s[12:13]
	v_cndmask_b32_e64 v52, v56, v52, s[12:13]
	v_cmp_ge_i32_e64 s[12:13], v52, v51
	s_or_b64 s[16:17], s[12:13], s[16:17]
	s_andn2_b64 exec, exec, s[16:17]
	s_cbranch_execnz .LBB55_28
; %bb.29:                               ;   in Loop: Header=BB55_2 Depth=1
	s_or_b64 exec, exec, s[16:17]
.LBB55_30:                              ;   in Loop: Header=BB55_2 Depth=1
	s_or_b64 exec, exec, s[14:15]
	v_add_u32_e32 v51, v52, v2
	v_sub_u32_e32 v57, v32, v52
	ds_read_u8 v53, v51
	ds_read_u8 v54, v57 offset:12
	v_sub_u32_e32 v52, v33, v52
	v_cmp_le_i32_e64 s[14:15], v8, v51
	v_cmp_gt_i32_e64 s[12:13], v9, v52
	s_waitcnt lgkmcnt(1)
	v_bfe_i32 v53, v53, 0, 8
	s_waitcnt lgkmcnt(0)
	v_bfe_i32 v54, v54, 0, 8
	v_cmp_lt_i16_e64 s[16:17], v54, v53
	s_or_b64 s[14:15], s[14:15], s[16:17]
	s_and_b64 s[12:13], s[12:13], s[14:15]
	s_xor_b64 s[14:15], s[12:13], -1
                                        ; implicit-def: $vgpr55
	s_and_saveexec_b64 s[16:17], s[14:15]
	s_xor_b64 s[14:15], exec, s[16:17]
; %bb.31:                               ;   in Loop: Header=BB55_2 Depth=1
	ds_read_u8 v55, v51 offset:1
                                        ; implicit-def: $vgpr57
; %bb.32:                               ;   in Loop: Header=BB55_2 Depth=1
	s_or_saveexec_b64 s[14:15], s[14:15]
	v_mov_b32_e32 v56, v54
	s_xor_b64 exec, exec, s[14:15]
	s_cbranch_execz .LBB55_34
; %bb.33:                               ;   in Loop: Header=BB55_2 Depth=1
	ds_read_u8 v56, v57 offset:13
	s_waitcnt lgkmcnt(1)
	v_mov_b32_e32 v55, v53
.LBB55_34:                              ;   in Loop: Header=BB55_2 Depth=1
	s_or_b64 exec, exec, s[14:15]
	v_add_u32_e32 v58, 1, v51
	v_add_u32_e32 v57, 1, v52
	v_cndmask_b32_e64 v58, v58, v51, s[12:13]
	v_cndmask_b32_e64 v57, v52, v57, s[12:13]
	v_cmp_ge_i32_e64 s[16:17], v58, v8
	s_waitcnt lgkmcnt(0)
	v_cmp_lt_i16_sdwa s[18:19], sext(v56), sext(v55) src0_sel:BYTE_0 src1_sel:BYTE_0
	v_cmp_lt_i32_e64 s[14:15], v57, v9
	s_or_b64 s[16:17], s[16:17], s[18:19]
	s_and_b64 s[14:15], s[14:15], s[16:17]
	s_xor_b64 s[16:17], s[14:15], -1
                                        ; implicit-def: $vgpr59
	s_and_saveexec_b64 s[18:19], s[16:17]
	s_xor_b64 s[16:17], exec, s[18:19]
; %bb.35:                               ;   in Loop: Header=BB55_2 Depth=1
	ds_read_u8 v59, v58 offset:1
; %bb.36:                               ;   in Loop: Header=BB55_2 Depth=1
	s_or_saveexec_b64 s[16:17], s[16:17]
	v_mov_b32_e32 v60, v56
	s_xor_b64 exec, exec, s[16:17]
	s_cbranch_execz .LBB55_38
; %bb.37:                               ;   in Loop: Header=BB55_2 Depth=1
	ds_read_u8 v60, v57 offset:1
	s_waitcnt lgkmcnt(1)
	v_mov_b32_e32 v59, v55
.LBB55_38:                              ;   in Loop: Header=BB55_2 Depth=1
	s_or_b64 exec, exec, s[16:17]
	v_add_u32_e32 v61, 1, v58
	v_cndmask_b32_e64 v55, v55, v56, s[14:15]
	v_add_u32_e32 v56, 1, v57
	v_cndmask_b32_e64 v61, v61, v58, s[14:15]
	v_cndmask_b32_e64 v56, v57, v56, s[14:15]
	;; [unrolled: 1-line block ×3, first 2 shown]
	v_cmp_ge_i32_e64 s[14:15], v61, v8
	s_waitcnt lgkmcnt(0)
	v_cmp_lt_i16_sdwa s[16:17], sext(v60), sext(v59) src0_sel:BYTE_0 src1_sel:BYTE_0
	v_cndmask_b32_e64 v53, v53, v54, s[12:13]
	v_cndmask_b32_e64 v51, v51, v52, s[12:13]
	v_cmp_lt_i32_e64 s[12:13], v56, v9
	s_or_b64 s[14:15], s[14:15], s[16:17]
	s_and_b64 s[12:13], s[12:13], s[14:15]
	v_cndmask_b32_e64 v54, v61, v56, s[12:13]
	s_barrier
	ds_write_b8 v43, v48
	ds_write_b8 v43, v50 offset:1
	ds_write_b8 v43, v49 offset:2
	s_waitcnt lgkmcnt(0)
	s_barrier
	ds_read_u8 v48, v51
	ds_read_u8 v49, v54
	;; [unrolled: 1-line block ×3, first 2 shown]
	v_cndmask_b32_e64 v52, v59, v60, s[12:13]
	s_waitcnt lgkmcnt(0)
	s_barrier
	ds_write_b8 v43, v53
	ds_write_b8 v43, v55 offset:1
	ds_write_b8 v43, v52 offset:2
	v_mov_b32_e32 v52, v34
	s_waitcnt lgkmcnt(0)
	s_barrier
	s_and_saveexec_b64 s[14:15], s[4:5]
	s_cbranch_execz .LBB55_42
; %bb.39:                               ;   in Loop: Header=BB55_2 Depth=1
	s_mov_b64 s[16:17], 0
	v_mov_b32_e32 v52, v34
	v_mov_b32_e32 v51, v20
.LBB55_40:                              ;   Parent Loop BB55_2 Depth=1
                                        ; =>  This Inner Loop Header: Depth=2
	v_sub_u32_e32 v53, v51, v52
	v_lshrrev_b32_e32 v53, 1, v53
	v_add_u32_e32 v53, v53, v52
	v_add_u32_e32 v54, v3, v53
	v_xad_u32 v55, v53, -1, v35
	ds_read_i8 v54, v54
	ds_read_i8 v55, v55 offset:24
	v_add_u32_e32 v56, 1, v53
	s_waitcnt lgkmcnt(0)
	v_cmp_lt_i16_e64 s[12:13], v55, v54
	v_cndmask_b32_e64 v51, v51, v53, s[12:13]
	v_cndmask_b32_e64 v52, v56, v52, s[12:13]
	v_cmp_ge_i32_e64 s[12:13], v52, v51
	s_or_b64 s[16:17], s[12:13], s[16:17]
	s_andn2_b64 exec, exec, s[16:17]
	s_cbranch_execnz .LBB55_40
; %bb.41:                               ;   in Loop: Header=BB55_2 Depth=1
	s_or_b64 exec, exec, s[16:17]
.LBB55_42:                              ;   in Loop: Header=BB55_2 Depth=1
	s_or_b64 exec, exec, s[14:15]
	v_add_u32_e32 v51, v52, v3
	v_sub_u32_e32 v57, v35, v52
	ds_read_u8 v53, v51
	ds_read_u8 v54, v57 offset:24
	v_sub_u32_e32 v52, v36, v52
	v_cmp_le_i32_e64 s[14:15], v11, v51
	v_cmp_gt_i32_e64 s[12:13], v10, v52
	s_waitcnt lgkmcnt(1)
	v_bfe_i32 v53, v53, 0, 8
	s_waitcnt lgkmcnt(0)
	v_bfe_i32 v54, v54, 0, 8
	v_cmp_lt_i16_e64 s[16:17], v54, v53
	s_or_b64 s[14:15], s[14:15], s[16:17]
	s_and_b64 s[12:13], s[12:13], s[14:15]
	s_xor_b64 s[14:15], s[12:13], -1
                                        ; implicit-def: $vgpr55
	s_and_saveexec_b64 s[16:17], s[14:15]
	s_xor_b64 s[14:15], exec, s[16:17]
; %bb.43:                               ;   in Loop: Header=BB55_2 Depth=1
	ds_read_u8 v55, v51 offset:1
                                        ; implicit-def: $vgpr57
; %bb.44:                               ;   in Loop: Header=BB55_2 Depth=1
	s_or_saveexec_b64 s[14:15], s[14:15]
	v_mov_b32_e32 v56, v54
	s_xor_b64 exec, exec, s[14:15]
	s_cbranch_execz .LBB55_46
; %bb.45:                               ;   in Loop: Header=BB55_2 Depth=1
	ds_read_u8 v56, v57 offset:25
	s_waitcnt lgkmcnt(1)
	v_mov_b32_e32 v55, v53
.LBB55_46:                              ;   in Loop: Header=BB55_2 Depth=1
	s_or_b64 exec, exec, s[14:15]
	v_add_u32_e32 v58, 1, v51
	v_add_u32_e32 v57, 1, v52
	v_cndmask_b32_e64 v58, v58, v51, s[12:13]
	v_cndmask_b32_e64 v57, v52, v57, s[12:13]
	v_cmp_ge_i32_e64 s[16:17], v58, v11
	s_waitcnt lgkmcnt(0)
	v_cmp_lt_i16_sdwa s[18:19], sext(v56), sext(v55) src0_sel:BYTE_0 src1_sel:BYTE_0
	v_cmp_lt_i32_e64 s[14:15], v57, v10
	s_or_b64 s[16:17], s[16:17], s[18:19]
	s_and_b64 s[14:15], s[14:15], s[16:17]
	s_xor_b64 s[16:17], s[14:15], -1
                                        ; implicit-def: $vgpr59
	s_and_saveexec_b64 s[18:19], s[16:17]
	s_xor_b64 s[16:17], exec, s[18:19]
; %bb.47:                               ;   in Loop: Header=BB55_2 Depth=1
	ds_read_u8 v59, v58 offset:1
; %bb.48:                               ;   in Loop: Header=BB55_2 Depth=1
	s_or_saveexec_b64 s[16:17], s[16:17]
	v_mov_b32_e32 v60, v56
	s_xor_b64 exec, exec, s[16:17]
	s_cbranch_execz .LBB55_50
; %bb.49:                               ;   in Loop: Header=BB55_2 Depth=1
	ds_read_u8 v60, v57 offset:1
	s_waitcnt lgkmcnt(1)
	v_mov_b32_e32 v59, v55
.LBB55_50:                              ;   in Loop: Header=BB55_2 Depth=1
	s_or_b64 exec, exec, s[16:17]
	v_add_u32_e32 v61, 1, v58
	v_cndmask_b32_e64 v55, v55, v56, s[14:15]
	v_add_u32_e32 v56, 1, v57
	v_cndmask_b32_e64 v61, v61, v58, s[14:15]
	v_cndmask_b32_e64 v56, v57, v56, s[14:15]
	;; [unrolled: 1-line block ×3, first 2 shown]
	v_cmp_ge_i32_e64 s[14:15], v61, v11
	s_waitcnt lgkmcnt(0)
	v_cmp_lt_i16_sdwa s[16:17], sext(v60), sext(v59) src0_sel:BYTE_0 src1_sel:BYTE_0
	v_cndmask_b32_e64 v53, v53, v54, s[12:13]
	v_cndmask_b32_e64 v51, v51, v52, s[12:13]
	v_cmp_lt_i32_e64 s[12:13], v56, v10
	s_or_b64 s[14:15], s[14:15], s[16:17]
	s_and_b64 s[12:13], s[12:13], s[14:15]
	v_cndmask_b32_e64 v54, v61, v56, s[12:13]
	s_barrier
	ds_write_b8 v43, v48
	ds_write_b8 v43, v50 offset:1
	ds_write_b8 v43, v49 offset:2
	s_waitcnt lgkmcnt(0)
	s_barrier
	ds_read_u8 v48, v51
	ds_read_u8 v49, v54
	;; [unrolled: 1-line block ×3, first 2 shown]
	v_cndmask_b32_e64 v52, v59, v60, s[12:13]
	s_waitcnt lgkmcnt(0)
	s_barrier
	ds_write_b8 v43, v53
	ds_write_b8 v43, v55 offset:1
	ds_write_b8 v43, v52 offset:2
	v_mov_b32_e32 v52, v37
	s_waitcnt lgkmcnt(0)
	s_barrier
	s_and_saveexec_b64 s[14:15], s[6:7]
	s_cbranch_execz .LBB55_54
; %bb.51:                               ;   in Loop: Header=BB55_2 Depth=1
	s_mov_b64 s[16:17], 0
	v_mov_b32_e32 v52, v37
	v_mov_b32_e32 v51, v21
.LBB55_52:                              ;   Parent Loop BB55_2 Depth=1
                                        ; =>  This Inner Loop Header: Depth=2
	v_sub_u32_e32 v53, v51, v52
	v_lshrrev_b32_e32 v53, 1, v53
	v_add_u32_e32 v53, v53, v52
	v_add_u32_e32 v54, v4, v53
	v_xad_u32 v55, v53, -1, v38
	ds_read_i8 v54, v54
	ds_read_i8 v55, v55 offset:48
	v_add_u32_e32 v56, 1, v53
	s_waitcnt lgkmcnt(0)
	v_cmp_lt_i16_e64 s[12:13], v55, v54
	v_cndmask_b32_e64 v51, v51, v53, s[12:13]
	v_cndmask_b32_e64 v52, v56, v52, s[12:13]
	v_cmp_ge_i32_e64 s[12:13], v52, v51
	s_or_b64 s[16:17], s[12:13], s[16:17]
	s_andn2_b64 exec, exec, s[16:17]
	s_cbranch_execnz .LBB55_52
; %bb.53:                               ;   in Loop: Header=BB55_2 Depth=1
	s_or_b64 exec, exec, s[16:17]
.LBB55_54:                              ;   in Loop: Header=BB55_2 Depth=1
	s_or_b64 exec, exec, s[14:15]
	v_add_u32_e32 v51, v52, v4
	v_sub_u32_e32 v57, v38, v52
	ds_read_u8 v53, v51
	ds_read_u8 v54, v57 offset:48
	v_sub_u32_e32 v52, v39, v52
	v_cmp_le_i32_e64 s[14:15], v13, v51
	v_cmp_gt_i32_e64 s[12:13], v12, v52
	s_waitcnt lgkmcnt(1)
	v_bfe_i32 v53, v53, 0, 8
	s_waitcnt lgkmcnt(0)
	v_bfe_i32 v54, v54, 0, 8
	v_cmp_lt_i16_e64 s[16:17], v54, v53
	s_or_b64 s[14:15], s[14:15], s[16:17]
	s_and_b64 s[12:13], s[12:13], s[14:15]
	s_xor_b64 s[14:15], s[12:13], -1
                                        ; implicit-def: $vgpr55
	s_and_saveexec_b64 s[16:17], s[14:15]
	s_xor_b64 s[14:15], exec, s[16:17]
; %bb.55:                               ;   in Loop: Header=BB55_2 Depth=1
	ds_read_u8 v55, v51 offset:1
                                        ; implicit-def: $vgpr57
; %bb.56:                               ;   in Loop: Header=BB55_2 Depth=1
	s_or_saveexec_b64 s[14:15], s[14:15]
	v_mov_b32_e32 v56, v54
	s_xor_b64 exec, exec, s[14:15]
	s_cbranch_execz .LBB55_58
; %bb.57:                               ;   in Loop: Header=BB55_2 Depth=1
	ds_read_u8 v56, v57 offset:49
	s_waitcnt lgkmcnt(1)
	v_mov_b32_e32 v55, v53
.LBB55_58:                              ;   in Loop: Header=BB55_2 Depth=1
	s_or_b64 exec, exec, s[14:15]
	v_add_u32_e32 v58, 1, v51
	v_add_u32_e32 v57, 1, v52
	v_cndmask_b32_e64 v58, v58, v51, s[12:13]
	v_cndmask_b32_e64 v57, v52, v57, s[12:13]
	v_cmp_ge_i32_e64 s[16:17], v58, v13
	s_waitcnt lgkmcnt(0)
	v_cmp_lt_i16_sdwa s[18:19], sext(v56), sext(v55) src0_sel:BYTE_0 src1_sel:BYTE_0
	v_cmp_lt_i32_e64 s[14:15], v57, v12
	s_or_b64 s[16:17], s[16:17], s[18:19]
	s_and_b64 s[14:15], s[14:15], s[16:17]
	s_xor_b64 s[16:17], s[14:15], -1
                                        ; implicit-def: $vgpr59
	s_and_saveexec_b64 s[18:19], s[16:17]
	s_xor_b64 s[16:17], exec, s[18:19]
; %bb.59:                               ;   in Loop: Header=BB55_2 Depth=1
	ds_read_u8 v59, v58 offset:1
; %bb.60:                               ;   in Loop: Header=BB55_2 Depth=1
	s_or_saveexec_b64 s[16:17], s[16:17]
	v_mov_b32_e32 v60, v56
	s_xor_b64 exec, exec, s[16:17]
	s_cbranch_execz .LBB55_62
; %bb.61:                               ;   in Loop: Header=BB55_2 Depth=1
	ds_read_u8 v60, v57 offset:1
	s_waitcnt lgkmcnt(1)
	v_mov_b32_e32 v59, v55
.LBB55_62:                              ;   in Loop: Header=BB55_2 Depth=1
	s_or_b64 exec, exec, s[16:17]
	v_add_u32_e32 v61, 1, v58
	v_cndmask_b32_e64 v55, v55, v56, s[14:15]
	v_add_u32_e32 v56, 1, v57
	v_cndmask_b32_e64 v61, v61, v58, s[14:15]
	v_cndmask_b32_e64 v56, v57, v56, s[14:15]
	;; [unrolled: 1-line block ×3, first 2 shown]
	v_cmp_ge_i32_e64 s[14:15], v61, v13
	s_waitcnt lgkmcnt(0)
	v_cmp_lt_i16_sdwa s[16:17], sext(v60), sext(v59) src0_sel:BYTE_0 src1_sel:BYTE_0
	v_cndmask_b32_e64 v53, v53, v54, s[12:13]
	v_cndmask_b32_e64 v51, v51, v52, s[12:13]
	v_cmp_lt_i32_e64 s[12:13], v56, v12
	s_or_b64 s[14:15], s[14:15], s[16:17]
	s_and_b64 s[12:13], s[12:13], s[14:15]
	v_cndmask_b32_e64 v54, v61, v56, s[12:13]
	s_barrier
	ds_write_b8 v43, v48
	ds_write_b8 v43, v50 offset:1
	ds_write_b8 v43, v49 offset:2
	s_waitcnt lgkmcnt(0)
	s_barrier
	ds_read_u8 v48, v51
	ds_read_u8 v49, v54
	;; [unrolled: 1-line block ×3, first 2 shown]
	v_cndmask_b32_e64 v52, v59, v60, s[12:13]
	s_waitcnt lgkmcnt(0)
	s_barrier
	ds_write_b8 v43, v53
	ds_write_b8 v43, v55 offset:1
	ds_write_b8 v43, v52 offset:2
	v_mov_b32_e32 v52, v40
	s_waitcnt lgkmcnt(0)
	s_barrier
	s_and_saveexec_b64 s[14:15], s[8:9]
	s_cbranch_execz .LBB55_66
; %bb.63:                               ;   in Loop: Header=BB55_2 Depth=1
	s_mov_b64 s[16:17], 0
	v_mov_b32_e32 v52, v40
	v_mov_b32_e32 v51, v22
.LBB55_64:                              ;   Parent Loop BB55_2 Depth=1
                                        ; =>  This Inner Loop Header: Depth=2
	v_sub_u32_e32 v53, v51, v52
	v_lshrrev_b32_e32 v53, 1, v53
	v_add_u32_e32 v53, v53, v52
	v_add_u32_e32 v54, v5, v53
	v_xad_u32 v55, v53, -1, v41
	ds_read_i8 v54, v54
	ds_read_i8 v55, v55 offset:96
	v_add_u32_e32 v56, 1, v53
	s_waitcnt lgkmcnt(0)
	v_cmp_lt_i16_e64 s[12:13], v55, v54
	v_cndmask_b32_e64 v51, v51, v53, s[12:13]
	v_cndmask_b32_e64 v52, v56, v52, s[12:13]
	v_cmp_ge_i32_e64 s[12:13], v52, v51
	s_or_b64 s[16:17], s[12:13], s[16:17]
	s_andn2_b64 exec, exec, s[16:17]
	s_cbranch_execnz .LBB55_64
; %bb.65:                               ;   in Loop: Header=BB55_2 Depth=1
	s_or_b64 exec, exec, s[16:17]
.LBB55_66:                              ;   in Loop: Header=BB55_2 Depth=1
	s_or_b64 exec, exec, s[14:15]
	v_add_u32_e32 v51, v52, v5
	v_sub_u32_e32 v57, v41, v52
	ds_read_u8 v53, v51
	ds_read_u8 v54, v57 offset:96
	v_sub_u32_e32 v52, v42, v52
	v_cmp_le_i32_e64 s[14:15], v15, v51
	v_cmp_gt_i32_e64 s[12:13], v14, v52
	s_waitcnt lgkmcnt(1)
	v_bfe_i32 v53, v53, 0, 8
	s_waitcnt lgkmcnt(0)
	v_bfe_i32 v54, v54, 0, 8
	v_cmp_lt_i16_e64 s[16:17], v54, v53
	s_or_b64 s[14:15], s[14:15], s[16:17]
	s_and_b64 s[12:13], s[12:13], s[14:15]
	s_xor_b64 s[14:15], s[12:13], -1
                                        ; implicit-def: $vgpr55
	s_and_saveexec_b64 s[16:17], s[14:15]
	s_xor_b64 s[14:15], exec, s[16:17]
; %bb.67:                               ;   in Loop: Header=BB55_2 Depth=1
	ds_read_u8 v55, v51 offset:1
                                        ; implicit-def: $vgpr57
; %bb.68:                               ;   in Loop: Header=BB55_2 Depth=1
	s_or_saveexec_b64 s[14:15], s[14:15]
	v_mov_b32_e32 v56, v54
	s_xor_b64 exec, exec, s[14:15]
	s_cbranch_execz .LBB55_70
; %bb.69:                               ;   in Loop: Header=BB55_2 Depth=1
	ds_read_u8 v56, v57 offset:97
	s_waitcnt lgkmcnt(1)
	v_mov_b32_e32 v55, v53
.LBB55_70:                              ;   in Loop: Header=BB55_2 Depth=1
	s_or_b64 exec, exec, s[14:15]
	v_add_u32_e32 v58, 1, v51
	v_add_u32_e32 v57, 1, v52
	v_cndmask_b32_e64 v58, v58, v51, s[12:13]
	v_cndmask_b32_e64 v57, v52, v57, s[12:13]
	v_cmp_ge_i32_e64 s[16:17], v58, v15
	s_waitcnt lgkmcnt(0)
	v_cmp_lt_i16_sdwa s[18:19], sext(v56), sext(v55) src0_sel:BYTE_0 src1_sel:BYTE_0
	v_cmp_lt_i32_e64 s[14:15], v57, v14
	s_or_b64 s[16:17], s[16:17], s[18:19]
	s_and_b64 s[14:15], s[14:15], s[16:17]
	s_xor_b64 s[16:17], s[14:15], -1
                                        ; implicit-def: $vgpr59
	s_and_saveexec_b64 s[18:19], s[16:17]
	s_xor_b64 s[16:17], exec, s[18:19]
; %bb.71:                               ;   in Loop: Header=BB55_2 Depth=1
	ds_read_u8 v59, v58 offset:1
; %bb.72:                               ;   in Loop: Header=BB55_2 Depth=1
	s_or_saveexec_b64 s[16:17], s[16:17]
	v_mov_b32_e32 v60, v56
	s_xor_b64 exec, exec, s[16:17]
	s_cbranch_execz .LBB55_74
; %bb.73:                               ;   in Loop: Header=BB55_2 Depth=1
	ds_read_u8 v60, v57 offset:1
	s_waitcnt lgkmcnt(1)
	v_mov_b32_e32 v59, v55
.LBB55_74:                              ;   in Loop: Header=BB55_2 Depth=1
	s_or_b64 exec, exec, s[16:17]
	v_add_u32_e32 v61, 1, v58
	v_cndmask_b32_e64 v55, v55, v56, s[14:15]
	v_add_u32_e32 v56, 1, v57
	v_cndmask_b32_e64 v61, v61, v58, s[14:15]
	v_cndmask_b32_e64 v56, v57, v56, s[14:15]
	;; [unrolled: 1-line block ×3, first 2 shown]
	v_cmp_ge_i32_e64 s[14:15], v61, v15
	s_waitcnt lgkmcnt(0)
	v_cmp_lt_i16_sdwa s[16:17], sext(v60), sext(v59) src0_sel:BYTE_0 src1_sel:BYTE_0
	v_cndmask_b32_e64 v53, v53, v54, s[12:13]
	v_cndmask_b32_e64 v51, v51, v52, s[12:13]
	v_cmp_lt_i32_e64 s[12:13], v56, v14
	s_or_b64 s[14:15], s[14:15], s[16:17]
	s_and_b64 s[12:13], s[12:13], s[14:15]
	v_cndmask_b32_e64 v54, v61, v56, s[12:13]
	s_barrier
	ds_write_b8 v43, v48
	ds_write_b8 v43, v50 offset:1
	ds_write_b8 v43, v49 offset:2
	s_waitcnt lgkmcnt(0)
	s_barrier
	ds_read_u8 v48, v51
	ds_read_u8 v49, v54
	;; [unrolled: 1-line block ×3, first 2 shown]
	v_mov_b32_e32 v51, v45
	v_cndmask_b32_e64 v52, v59, v60, s[12:13]
	s_waitcnt lgkmcnt(0)
	s_barrier
	ds_write_b8 v43, v53
	ds_write_b8 v43, v55 offset:1
	ds_write_b8 v43, v52 offset:2
	s_waitcnt lgkmcnt(0)
	s_barrier
	s_and_saveexec_b64 s[14:15], s[10:11]
	s_cbranch_execz .LBB55_78
; %bb.75:                               ;   in Loop: Header=BB55_2 Depth=1
	s_mov_b64 s[16:17], 0
	v_mov_b32_e32 v51, v45
	v_mov_b32_e32 v52, v46
.LBB55_76:                              ;   Parent Loop BB55_2 Depth=1
                                        ; =>  This Inner Loop Header: Depth=2
	v_sub_u32_e32 v53, v52, v51
	v_lshrrev_b32_e32 v53, 1, v53
	v_add_u32_e32 v53, v53, v51
	v_xad_u32 v54, v53, -1, v43
	ds_read_i8 v55, v53
	ds_read_i8 v54, v54 offset:192
	v_add_u32_e32 v56, 1, v53
	s_waitcnt lgkmcnt(0)
	v_cmp_lt_i16_e64 s[12:13], v54, v55
	v_cndmask_b32_e64 v52, v52, v53, s[12:13]
	v_cndmask_b32_e64 v51, v56, v51, s[12:13]
	v_cmp_ge_i32_e64 s[12:13], v51, v52
	s_or_b64 s[16:17], s[12:13], s[16:17]
	s_andn2_b64 exec, exec, s[16:17]
	s_cbranch_execnz .LBB55_76
; %bb.77:                               ;   in Loop: Header=BB55_2 Depth=1
	s_or_b64 exec, exec, s[16:17]
.LBB55_78:                              ;   in Loop: Header=BB55_2 Depth=1
	s_or_b64 exec, exec, s[14:15]
	v_sub_u32_e32 v57, v43, v51
	ds_read_u8 v53, v51
	ds_read_u8 v54, v57 offset:192
	v_sub_u32_e32 v52, v47, v51
	v_cmp_le_i32_e64 s[14:15], v44, v51
	v_cmp_gt_i32_e64 s[12:13], s25, v52
	s_waitcnt lgkmcnt(1)
	v_bfe_i32 v53, v53, 0, 8
	s_waitcnt lgkmcnt(0)
	v_bfe_i32 v54, v54, 0, 8
	v_cmp_lt_i16_e64 s[16:17], v54, v53
	s_or_b64 s[14:15], s[14:15], s[16:17]
	s_and_b64 s[12:13], s[12:13], s[14:15]
	s_xor_b64 s[14:15], s[12:13], -1
                                        ; implicit-def: $vgpr55
	s_and_saveexec_b64 s[16:17], s[14:15]
	s_xor_b64 s[14:15], exec, s[16:17]
; %bb.79:                               ;   in Loop: Header=BB55_2 Depth=1
	ds_read_u8 v55, v51 offset:1
                                        ; implicit-def: $vgpr57
; %bb.80:                               ;   in Loop: Header=BB55_2 Depth=1
	s_or_saveexec_b64 s[14:15], s[14:15]
	v_mov_b32_e32 v56, v54
	s_xor_b64 exec, exec, s[14:15]
	s_cbranch_execz .LBB55_82
; %bb.81:                               ;   in Loop: Header=BB55_2 Depth=1
	ds_read_u8 v56, v57 offset:193
	s_waitcnt lgkmcnt(1)
	v_mov_b32_e32 v55, v53
.LBB55_82:                              ;   in Loop: Header=BB55_2 Depth=1
	s_or_b64 exec, exec, s[14:15]
	v_add_u32_e32 v58, 1, v51
	v_add_u32_e32 v57, 1, v52
	v_cndmask_b32_e64 v61, v58, v51, s[12:13]
	v_cndmask_b32_e64 v57, v52, v57, s[12:13]
	v_cmp_ge_i32_e64 s[16:17], v61, v44
	s_waitcnt lgkmcnt(0)
	v_cmp_lt_i16_sdwa s[18:19], sext(v56), sext(v55) src0_sel:BYTE_0 src1_sel:BYTE_0
	v_cmp_gt_i32_e64 s[14:15], s25, v57
	s_or_b64 s[16:17], s[16:17], s[18:19]
	s_and_b64 s[14:15], s[14:15], s[16:17]
	s_xor_b64 s[16:17], s[14:15], -1
                                        ; implicit-def: $vgpr60
                                        ; implicit-def: $vgpr58
	s_and_saveexec_b64 s[18:19], s[16:17]
	s_xor_b64 s[16:17], exec, s[18:19]
; %bb.83:                               ;   in Loop: Header=BB55_2 Depth=1
	ds_read_u8 v60, v61 offset:1
	v_add_u32_e32 v58, 1, v61
; %bb.84:                               ;   in Loop: Header=BB55_2 Depth=1
	s_or_saveexec_b64 s[16:17], s[16:17]
	v_mov_b32_e32 v59, v61
	v_mov_b32_e32 v62, v56
	s_xor_b64 exec, exec, s[16:17]
	s_cbranch_execz .LBB55_1
; %bb.85:                               ;   in Loop: Header=BB55_2 Depth=1
	ds_read_u8 v62, v57 offset:1
	s_waitcnt lgkmcnt(1)
	v_add_u32_e32 v60, 1, v57
	v_mov_b32_e32 v59, v57
	v_mov_b32_e32 v58, v61
	;; [unrolled: 1-line block ×4, first 2 shown]
	s_branch .LBB55_1
.LBB55_86:
	s_add_u32 s0, s26, s28
	s_addc_u32 s1, s27, 0
	v_mov_b32_e32 v1, s1
	v_add_co_u32_e32 v0, vcc, s0, v0
	s_waitcnt lgkmcnt(2)
	v_add_u16_e32 v2, v53, v49
	v_addc_co_u32_e32 v1, vcc, 0, v1, vcc
	s_waitcnt lgkmcnt(1)
	v_add_u16_e32 v3, v54, v50
	s_waitcnt lgkmcnt(0)
	v_add_u16_e32 v4, v52, v48
	global_store_byte v[0:1], v2, off
	global_store_byte v[0:1], v3, off offset:128
	global_store_byte v[0:1], v4, off offset:256
	s_endpgm
	.section	.rodata,"a",@progbits
	.p2align	6, 0x0
	.amdhsa_kernel _Z17sort_pairs_kernelIaLj128ELj3EN10test_utils4lessELj10EEvPKT_PS2_T2_
		.amdhsa_group_segment_fixed_size 385
		.amdhsa_private_segment_fixed_size 0
		.amdhsa_kernarg_size 20
		.amdhsa_user_sgpr_count 6
		.amdhsa_user_sgpr_private_segment_buffer 1
		.amdhsa_user_sgpr_dispatch_ptr 0
		.amdhsa_user_sgpr_queue_ptr 0
		.amdhsa_user_sgpr_kernarg_segment_ptr 1
		.amdhsa_user_sgpr_dispatch_id 0
		.amdhsa_user_sgpr_flat_scratch_init 0
		.amdhsa_user_sgpr_private_segment_size 0
		.amdhsa_uses_dynamic_stack 0
		.amdhsa_system_sgpr_private_segment_wavefront_offset 0
		.amdhsa_system_sgpr_workgroup_id_x 1
		.amdhsa_system_sgpr_workgroup_id_y 0
		.amdhsa_system_sgpr_workgroup_id_z 0
		.amdhsa_system_sgpr_workgroup_info 0
		.amdhsa_system_vgpr_workitem_id 0
		.amdhsa_next_free_vgpr 63
		.amdhsa_next_free_sgpr 38
		.amdhsa_reserve_vcc 1
		.amdhsa_reserve_flat_scratch 0
		.amdhsa_float_round_mode_32 0
		.amdhsa_float_round_mode_16_64 0
		.amdhsa_float_denorm_mode_32 3
		.amdhsa_float_denorm_mode_16_64 3
		.amdhsa_dx10_clamp 1
		.amdhsa_ieee_mode 1
		.amdhsa_fp16_overflow 0
		.amdhsa_exception_fp_ieee_invalid_op 0
		.amdhsa_exception_fp_denorm_src 0
		.amdhsa_exception_fp_ieee_div_zero 0
		.amdhsa_exception_fp_ieee_overflow 0
		.amdhsa_exception_fp_ieee_underflow 0
		.amdhsa_exception_fp_ieee_inexact 0
		.amdhsa_exception_int_div_zero 0
	.end_amdhsa_kernel
	.section	.text._Z17sort_pairs_kernelIaLj128ELj3EN10test_utils4lessELj10EEvPKT_PS2_T2_,"axG",@progbits,_Z17sort_pairs_kernelIaLj128ELj3EN10test_utils4lessELj10EEvPKT_PS2_T2_,comdat
.Lfunc_end55:
	.size	_Z17sort_pairs_kernelIaLj128ELj3EN10test_utils4lessELj10EEvPKT_PS2_T2_, .Lfunc_end55-_Z17sort_pairs_kernelIaLj128ELj3EN10test_utils4lessELj10EEvPKT_PS2_T2_
                                        ; -- End function
	.set _Z17sort_pairs_kernelIaLj128ELj3EN10test_utils4lessELj10EEvPKT_PS2_T2_.num_vgpr, 63
	.set _Z17sort_pairs_kernelIaLj128ELj3EN10test_utils4lessELj10EEvPKT_PS2_T2_.num_agpr, 0
	.set _Z17sort_pairs_kernelIaLj128ELj3EN10test_utils4lessELj10EEvPKT_PS2_T2_.numbered_sgpr, 38
	.set _Z17sort_pairs_kernelIaLj128ELj3EN10test_utils4lessELj10EEvPKT_PS2_T2_.num_named_barrier, 0
	.set _Z17sort_pairs_kernelIaLj128ELj3EN10test_utils4lessELj10EEvPKT_PS2_T2_.private_seg_size, 0
	.set _Z17sort_pairs_kernelIaLj128ELj3EN10test_utils4lessELj10EEvPKT_PS2_T2_.uses_vcc, 1
	.set _Z17sort_pairs_kernelIaLj128ELj3EN10test_utils4lessELj10EEvPKT_PS2_T2_.uses_flat_scratch, 0
	.set _Z17sort_pairs_kernelIaLj128ELj3EN10test_utils4lessELj10EEvPKT_PS2_T2_.has_dyn_sized_stack, 0
	.set _Z17sort_pairs_kernelIaLj128ELj3EN10test_utils4lessELj10EEvPKT_PS2_T2_.has_recursion, 0
	.set _Z17sort_pairs_kernelIaLj128ELj3EN10test_utils4lessELj10EEvPKT_PS2_T2_.has_indirect_call, 0
	.section	.AMDGPU.csdata,"",@progbits
; Kernel info:
; codeLenInByte = 5272
; TotalNumSgprs: 42
; NumVgprs: 63
; ScratchSize: 0
; MemoryBound: 0
; FloatMode: 240
; IeeeMode: 1
; LDSByteSize: 385 bytes/workgroup (compile time only)
; SGPRBlocks: 5
; VGPRBlocks: 15
; NumSGPRsForWavesPerEU: 42
; NumVGPRsForWavesPerEU: 63
; Occupancy: 4
; WaveLimiterHint : 1
; COMPUTE_PGM_RSRC2:SCRATCH_EN: 0
; COMPUTE_PGM_RSRC2:USER_SGPR: 6
; COMPUTE_PGM_RSRC2:TRAP_HANDLER: 0
; COMPUTE_PGM_RSRC2:TGID_X_EN: 1
; COMPUTE_PGM_RSRC2:TGID_Y_EN: 0
; COMPUTE_PGM_RSRC2:TGID_Z_EN: 0
; COMPUTE_PGM_RSRC2:TIDIG_COMP_CNT: 0
	.section	.text._Z16sort_keys_kernelIaLj128ELj4EN10test_utils4lessELj10EEvPKT_PS2_T2_,"axG",@progbits,_Z16sort_keys_kernelIaLj128ELj4EN10test_utils4lessELj10EEvPKT_PS2_T2_,comdat
	.protected	_Z16sort_keys_kernelIaLj128ELj4EN10test_utils4lessELj10EEvPKT_PS2_T2_ ; -- Begin function _Z16sort_keys_kernelIaLj128ELj4EN10test_utils4lessELj10EEvPKT_PS2_T2_
	.globl	_Z16sort_keys_kernelIaLj128ELj4EN10test_utils4lessELj10EEvPKT_PS2_T2_
	.p2align	8
	.type	_Z16sort_keys_kernelIaLj128ELj4EN10test_utils4lessELj10EEvPKT_PS2_T2_,@function
_Z16sort_keys_kernelIaLj128ELj4EN10test_utils4lessELj10EEvPKT_PS2_T2_: ; @_Z16sort_keys_kernelIaLj128ELj4EN10test_utils4lessELj10EEvPKT_PS2_T2_
; %bb.0:
	s_load_dwordx4 s[20:23], s[4:5], 0x0
	s_lshl_b32 s24, s6, 9
	v_lshlrev_b32_e32 v2, 2, v0
	v_and_b32_e32 v3, 0x1f8, v2
	v_and_b32_e32 v4, 0x1f0, v2
	s_waitcnt lgkmcnt(0)
	s_add_u32 s0, s20, s24
	s_addc_u32 s1, s21, 0
	global_load_ubyte v39, v0, s[0:1] offset:128
	global_load_ubyte v40, v0, s[0:1] offset:256
	;; [unrolled: 1-line block ×3, first 2 shown]
	global_load_ubyte v42, v0, s[0:1]
	v_or_b32_e32 v9, 4, v3
	v_add_u32_e32 v10, 8, v3
	v_and_b32_e32 v33, 4, v2
	v_and_b32_e32 v5, 0x1e0, v2
	v_or_b32_e32 v11, 8, v4
	v_add_u32_e32 v12, 16, v4
	v_sub_u32_e32 v43, v10, v9
	v_and_b32_e32 v34, 12, v2
	v_and_b32_e32 v6, 0x1c0, v2
	v_or_b32_e32 v13, 16, v5
	v_add_u32_e32 v14, 32, v5
	v_sub_u32_e32 v44, v12, v11
	v_sub_u32_e32 v27, v9, v3
	;; [unrolled: 1-line block ×3, first 2 shown]
	v_cmp_ge_i32_e32 vcc, v33, v43
	v_and_b32_e32 v35, 28, v2
	v_and_b32_e32 v7, 0x180, v2
	v_or_b32_e32 v15, 32, v6
	v_add_u32_e32 v16, 64, v6
	v_sub_u32_e32 v45, v14, v13
	v_add_u32_e32 v21, v9, v33
	v_sub_u32_e32 v28, v11, v4
	v_sub_u32_e32 v50, v34, v44
	v_min_i32_e32 v27, v33, v27
	v_cndmask_b32_e32 v33, 0, v49, vcc
	v_cmp_ge_i32_e32 vcc, v34, v44
	v_and_b32_e32 v36, 60, v2
	v_and_b32_e32 v8, 0x100, v2
	v_or_b32_e32 v17, 64, v7
	v_add_u32_e32 v18, 0x80, v7
	v_sub_u32_e32 v46, v16, v15
	v_add_u32_e32 v22, v11, v34
	v_sub_u32_e32 v29, v13, v5
	v_sub_u32_e32 v51, v35, v45
	v_min_i32_e32 v28, v34, v28
	v_cndmask_b32_e32 v34, 0, v50, vcc
	v_cmp_ge_i32_e32 vcc, v35, v45
	v_and_b32_e32 v37, 0x7c, v2
	v_or_b32_e32 v19, 0x80, v8
	v_add_u32_e32 v20, 0x100, v8
	v_sub_u32_e32 v47, v18, v17
	v_add_u32_e32 v23, v13, v35
	v_sub_u32_e32 v30, v15, v6
	v_sub_u32_e32 v52, v36, v46
	v_min_i32_e32 v29, v35, v29
	v_cndmask_b32_e32 v35, 0, v51, vcc
	v_cmp_ge_i32_e32 vcc, v36, v46
	s_mov_b32 s10, 0xc0c0004
	v_and_b32_e32 v38, 0xfc, v2
	v_sub_u32_e32 v48, v20, v19
	v_add_u32_e32 v24, v15, v36
	v_sub_u32_e32 v31, v17, v7
	v_sub_u32_e32 v53, v37, v47
	v_min_i32_e32 v30, v36, v30
	v_cndmask_b32_e32 v36, 0, v52, vcc
	v_cmp_ge_i32_e32 vcc, v37, v47
	v_mov_b32_e32 v1, 0x100
	v_add_u32_e32 v25, v17, v37
	v_sub_u32_e32 v32, v19, v8
	v_sub_u32_e32 v54, v38, v48
	v_min_i32_e32 v31, v37, v31
	v_cndmask_b32_e32 v37, 0, v53, vcc
	v_cmp_ge_i32_e32 vcc, v38, v48
	v_add_u32_e32 v26, v19, v38
	v_min_i32_e32 v32, v38, v32
	v_cndmask_b32_e32 v38, 0, v54, vcc
	s_mov_b32 s20, 0
	v_cmp_lt_i32_e32 vcc, v33, v27
	v_cmp_lt_i32_e64 s[0:1], v34, v28
	v_cmp_lt_i32_e64 s[2:3], v35, v29
	v_cmp_lt_i32_e64 s[4:5], v36, v30
	v_cmp_lt_i32_e64 s[6:7], v37, v31
	v_cmp_lt_i32_e64 s[8:9], v38, v32
	s_mov_b32 s21, 0x7060405
	s_mov_b32 s25, 0xc0c0001
	s_mov_b32 s26, 0xffff
	s_mov_b32 s27, 0xc0c0304
	s_mov_b32 s28, 0xffff0000
	s_waitcnt vmcnt(1)
	v_perm_b32 v40, v40, v41, s10
	s_waitcnt vmcnt(0)
	v_perm_b32 v39, v42, v39, s10
	v_lshl_or_b32 v45, v40, 16, v39
	v_sub_u32_e64 v39, v2, v1 clamp
	v_min_i32_e32 v40, 0x100, v2
	v_cmp_lt_i32_e64 s[10:11], v39, v40
	s_movk_i32 s29, 0x200
	v_add_u32_e32 v41, 0x100, v2
	s_branch .LBB56_2
.LBB56_1:                               ;   in Loop: Header=BB56_2 Depth=1
	s_or_b64 exec, exec, s[18:19]
	v_cndmask_b32_e64 v42, v42, v43, s[12:13]
	v_cndmask_b32_e64 v43, v44, v45, s[14:15]
	;; [unrolled: 1-line block ×3, first 2 shown]
	v_cmp_ge_i32_e64 s[14:15], v50, v1
	s_waitcnt lgkmcnt(0)
	v_cmp_lt_i16_sdwa s[16:17], sext(v52), sext(v49) src0_sel:BYTE_0 src1_sel:BYTE_0
	v_cmp_gt_i32_e64 s[12:13], s29, v48
	s_or_b64 s[14:15], s[14:15], s[16:17]
	s_and_b64 s[12:13], s[12:13], s[14:15]
	v_cndmask_b32_e64 v46, v49, v52, s[12:13]
	v_lshlrev_b16_e32 v45, 8, v43
	v_lshlrev_b16_e32 v47, 8, v46
	v_or_b32_sdwa v45, v42, v45 dst_sel:DWORD dst_unused:UNUSED_PAD src0_sel:BYTE_0 src1_sel:DWORD
	v_or_b32_sdwa v47, v44, v47 dst_sel:WORD_1 dst_unused:UNUSED_PAD src0_sel:BYTE_0 src1_sel:DWORD
	s_add_i32 s20, s20, 1
	s_cmp_eq_u32 s20, 10
	v_or_b32_sdwa v45, v45, v47 dst_sel:DWORD dst_unused:UNUSED_PAD src0_sel:WORD_0 src1_sel:DWORD
	s_cbranch_scc1 .LBB56_114
.LBB56_2:                               ; =>This Loop Header: Depth=1
                                        ;     Child Loop BB56_4 Depth 2
                                        ;     Child Loop BB56_20 Depth 2
	;; [unrolled: 1-line block ×7, first 2 shown]
	v_lshrrev_b32_e32 v43, 8, v45
	v_perm_b32 v42, v45, v45, s21
	v_cmp_lt_i16_sdwa s[12:13], sext(v43), sext(v45) src0_sel:BYTE_0 src1_sel:BYTE_0
	v_cndmask_b32_e64 v42, v45, v42, s[12:13]
	v_lshrrev_b32_e32 v44, 16, v42
	v_perm_b32 v46, 0, v44, s25
	v_min_i16_sdwa v47, sext(v43), sext(v45) dst_sel:DWORD dst_unused:UNUSED_PAD src0_sel:BYTE_0 src1_sel:BYTE_0
	v_max_i16_sdwa v43, sext(v43), sext(v45) dst_sel:DWORD dst_unused:UNUSED_PAD src0_sel:BYTE_0 src1_sel:BYTE_0
	v_lshrrev_b32_e32 v45, 24, v42
	v_lshlrev_b32_e32 v46, 16, v46
	v_and_or_b32 v46, v42, s26, v46
	v_cmp_lt_i16_sdwa s[12:13], sext(v45), sext(v44) src0_sel:BYTE_0 src1_sel:BYTE_0
	v_cndmask_b32_e64 v42, v42, v46, s[12:13]
	v_max_i16_sdwa v46, sext(v45), sext(v44) dst_sel:DWORD dst_unused:UNUSED_PAD src0_sel:BYTE_0 src1_sel:BYTE_0
	v_min_i16_sdwa v44, sext(v45), sext(v44) dst_sel:DWORD dst_unused:UNUSED_PAD src0_sel:BYTE_0 src1_sel:BYTE_0
	v_lshlrev_b16_e32 v45, 8, v44
	v_or_b32_sdwa v45, v42, v45 dst_sel:DWORD dst_unused:UNUSED_PAD src0_sel:BYTE_0 src1_sel:DWORD
	v_and_b32_e32 v45, 0xffff, v45
	v_perm_b32 v48, v43, v42, s27
	v_lshl_or_b32 v45, v48, 16, v45
	v_cmp_lt_i16_e64 s[12:13], v44, v43
	v_cndmask_b32_e64 v42, v42, v45, s[12:13]
	v_min_i16_e32 v45, v44, v43
	v_lshlrev_b16_e32 v48, 8, v47
	v_or_b32_sdwa v48, v45, v48 dst_sel:DWORD dst_unused:UNUSED_PAD src0_sel:BYTE_0 src1_sel:DWORD
	v_and_b32_e32 v48, 0xffff, v48
	v_max_i16_e32 v49, v44, v43
	v_cmp_lt_i16_e64 s[12:13], v44, v47
	v_and_or_b32 v48, v42, s28, v48
	v_cndmask_b32_e64 v44, v45, v47, s[12:13]
	v_lshlrev_b16_e32 v45, 8, v49
	v_cndmask_b32_e64 v42, v42, v48, s[12:13]
	v_or_b32_sdwa v45, v46, v45 dst_sel:WORD_1 dst_unused:UNUSED_PAD src0_sel:BYTE_0 src1_sel:DWORD
	v_cmp_gt_i16_e64 s[12:13], v43, v46
	v_and_or_b32 v45, v42, s26, v45
	v_cndmask_b32_e64 v43, v49, v46, s[12:13]
	v_cndmask_b32_e64 v42, v42, v45, s[12:13]
	v_lshlrev_b16_e32 v45, 8, v43
	v_or_b32_sdwa v45, v42, v45 dst_sel:DWORD dst_unused:UNUSED_PAD src0_sel:BYTE_0 src1_sel:DWORD
	v_and_b32_e32 v45, 0xffff, v45
	v_perm_b32 v46, v44, v42, s27
	v_lshl_or_b32 v45, v46, 16, v45
	v_cmp_lt_i16_e64 s[12:13], v43, v44
	v_cndmask_b32_e64 v42, v42, v45, s[12:13]
	s_barrier
	ds_write_b32 v2, v42
	v_mov_b32_e32 v42, v33
	s_waitcnt lgkmcnt(0)
	s_barrier
	s_and_saveexec_b64 s[14:15], vcc
	s_cbranch_execz .LBB56_6
; %bb.3:                                ;   in Loop: Header=BB56_2 Depth=1
	s_mov_b64 s[16:17], 0
	v_mov_b32_e32 v42, v33
	v_mov_b32_e32 v43, v27
.LBB56_4:                               ;   Parent Loop BB56_2 Depth=1
                                        ; =>  This Inner Loop Header: Depth=2
	v_sub_u32_e32 v44, v43, v42
	v_lshrrev_b32_e32 v44, 1, v44
	v_add_u32_e32 v44, v44, v42
	v_add_u32_e32 v45, v3, v44
	v_xad_u32 v46, v44, -1, v21
	ds_read_i8 v45, v45
	ds_read_i8 v46, v46
	v_add_u32_e32 v47, 1, v44
	s_waitcnt lgkmcnt(0)
	v_cmp_lt_i16_e64 s[12:13], v46, v45
	v_cndmask_b32_e64 v43, v43, v44, s[12:13]
	v_cndmask_b32_e64 v42, v47, v42, s[12:13]
	v_cmp_ge_i32_e64 s[12:13], v42, v43
	s_or_b64 s[16:17], s[12:13], s[16:17]
	s_andn2_b64 exec, exec, s[16:17]
	s_cbranch_execnz .LBB56_4
; %bb.5:                                ;   in Loop: Header=BB56_2 Depth=1
	s_or_b64 exec, exec, s[16:17]
.LBB56_6:                               ;   in Loop: Header=BB56_2 Depth=1
	s_or_b64 exec, exec, s[14:15]
	v_add_u32_e32 v46, v42, v3
	v_sub_u32_e32 v47, v21, v42
	ds_read_u8 v42, v46
	ds_read_u8 v43, v47
	v_cmp_le_i32_e64 s[14:15], v9, v46
	v_cmp_gt_i32_e64 s[12:13], v10, v47
                                        ; implicit-def: $vgpr44
	s_waitcnt lgkmcnt(1)
	v_bfe_i32 v42, v42, 0, 8
	s_waitcnt lgkmcnt(0)
	v_bfe_i32 v43, v43, 0, 8
	v_cmp_lt_i16_e64 s[16:17], v43, v42
	s_or_b64 s[14:15], s[14:15], s[16:17]
	s_and_b64 s[12:13], s[12:13], s[14:15]
	s_xor_b64 s[14:15], s[12:13], -1
	s_and_saveexec_b64 s[16:17], s[14:15]
	s_xor_b64 s[14:15], exec, s[16:17]
; %bb.7:                                ;   in Loop: Header=BB56_2 Depth=1
	ds_read_u8 v44, v46 offset:1
; %bb.8:                                ;   in Loop: Header=BB56_2 Depth=1
	s_or_saveexec_b64 s[14:15], s[14:15]
	v_mov_b32_e32 v45, v43
	s_xor_b64 exec, exec, s[14:15]
	s_cbranch_execz .LBB56_10
; %bb.9:                                ;   in Loop: Header=BB56_2 Depth=1
	ds_read_u8 v45, v47 offset:1
	s_waitcnt lgkmcnt(1)
	v_mov_b32_e32 v44, v42
.LBB56_10:                              ;   in Loop: Header=BB56_2 Depth=1
	s_or_b64 exec, exec, s[14:15]
	v_add_u32_e32 v49, 1, v46
	v_add_u32_e32 v48, 1, v47
	v_cndmask_b32_e64 v49, v49, v46, s[12:13]
	v_cndmask_b32_e64 v48, v47, v48, s[12:13]
	v_cmp_ge_i32_e64 s[16:17], v49, v9
	s_waitcnt lgkmcnt(0)
	v_cmp_lt_i16_sdwa s[18:19], sext(v45), sext(v44) src0_sel:BYTE_0 src1_sel:BYTE_0
	v_cmp_lt_i32_e64 s[14:15], v48, v10
	s_or_b64 s[16:17], s[16:17], s[18:19]
	s_and_b64 s[14:15], s[14:15], s[16:17]
	s_xor_b64 s[16:17], s[14:15], -1
                                        ; implicit-def: $vgpr46
	s_and_saveexec_b64 s[18:19], s[16:17]
	s_xor_b64 s[16:17], exec, s[18:19]
; %bb.11:                               ;   in Loop: Header=BB56_2 Depth=1
	ds_read_u8 v46, v49 offset:1
; %bb.12:                               ;   in Loop: Header=BB56_2 Depth=1
	s_or_saveexec_b64 s[16:17], s[16:17]
	v_mov_b32_e32 v47, v45
	s_xor_b64 exec, exec, s[16:17]
	s_cbranch_execz .LBB56_14
; %bb.13:                               ;   in Loop: Header=BB56_2 Depth=1
	ds_read_u8 v47, v48 offset:1
	s_waitcnt lgkmcnt(1)
	v_mov_b32_e32 v46, v44
.LBB56_14:                              ;   in Loop: Header=BB56_2 Depth=1
	s_or_b64 exec, exec, s[16:17]
	v_add_u32_e32 v51, 1, v49
	v_add_u32_e32 v50, 1, v48
	v_cndmask_b32_e64 v49, v51, v49, s[14:15]
	v_cndmask_b32_e64 v48, v48, v50, s[14:15]
	v_cmp_ge_i32_e64 s[18:19], v49, v9
	s_waitcnt lgkmcnt(0)
	v_cmp_lt_i16_sdwa s[30:31], sext(v47), sext(v46) src0_sel:BYTE_0 src1_sel:BYTE_0
	v_cmp_lt_i32_e64 s[16:17], v48, v10
	s_or_b64 s[18:19], s[18:19], s[30:31]
	s_and_b64 s[16:17], s[16:17], s[18:19]
	s_xor_b64 s[18:19], s[16:17], -1
                                        ; implicit-def: $vgpr50
	s_and_saveexec_b64 s[30:31], s[18:19]
	s_xor_b64 s[18:19], exec, s[30:31]
; %bb.15:                               ;   in Loop: Header=BB56_2 Depth=1
	ds_read_u8 v50, v49 offset:1
; %bb.16:                               ;   in Loop: Header=BB56_2 Depth=1
	s_or_saveexec_b64 s[18:19], s[18:19]
	v_mov_b32_e32 v51, v47
	s_xor_b64 exec, exec, s[18:19]
	s_cbranch_execz .LBB56_18
; %bb.17:                               ;   in Loop: Header=BB56_2 Depth=1
	ds_read_u8 v51, v48 offset:1
	s_waitcnt lgkmcnt(1)
	v_mov_b32_e32 v50, v46
.LBB56_18:                              ;   in Loop: Header=BB56_2 Depth=1
	s_or_b64 exec, exec, s[18:19]
	v_cndmask_b32_e64 v46, v46, v47, s[16:17]
	v_add_u32_e32 v47, 1, v48
	v_add_u32_e32 v52, 1, v49
	v_cndmask_b32_e64 v47, v48, v47, s[16:17]
	v_cndmask_b32_e64 v48, v52, v49, s[16:17]
	;; [unrolled: 1-line block ×3, first 2 shown]
	v_cmp_ge_i32_e64 s[14:15], v48, v9
	s_waitcnt lgkmcnt(0)
	v_cmp_lt_i16_sdwa s[16:17], sext(v51), sext(v50) src0_sel:BYTE_0 src1_sel:BYTE_0
	v_cndmask_b32_e64 v42, v42, v43, s[12:13]
	v_cmp_lt_i32_e64 s[12:13], v47, v10
	s_or_b64 s[14:15], s[14:15], s[16:17]
	s_and_b64 s[12:13], s[12:13], s[14:15]
	v_cndmask_b32_e64 v43, v50, v51, s[12:13]
	s_barrier
	ds_write_b8 v2, v42
	ds_write_b8 v2, v44 offset:1
	ds_write_b8 v2, v46 offset:2
	;; [unrolled: 1-line block ×3, first 2 shown]
	v_mov_b32_e32 v42, v34
	s_waitcnt lgkmcnt(0)
	s_barrier
	s_and_saveexec_b64 s[14:15], s[0:1]
	s_cbranch_execz .LBB56_22
; %bb.19:                               ;   in Loop: Header=BB56_2 Depth=1
	s_mov_b64 s[16:17], 0
	v_mov_b32_e32 v42, v34
	v_mov_b32_e32 v43, v28
.LBB56_20:                              ;   Parent Loop BB56_2 Depth=1
                                        ; =>  This Inner Loop Header: Depth=2
	v_sub_u32_e32 v44, v43, v42
	v_lshrrev_b32_e32 v44, 1, v44
	v_add_u32_e32 v44, v44, v42
	v_add_u32_e32 v45, v4, v44
	v_xad_u32 v46, v44, -1, v22
	ds_read_i8 v45, v45
	ds_read_i8 v46, v46
	v_add_u32_e32 v47, 1, v44
	s_waitcnt lgkmcnt(0)
	v_cmp_lt_i16_e64 s[12:13], v46, v45
	v_cndmask_b32_e64 v43, v43, v44, s[12:13]
	v_cndmask_b32_e64 v42, v47, v42, s[12:13]
	v_cmp_ge_i32_e64 s[12:13], v42, v43
	s_or_b64 s[16:17], s[12:13], s[16:17]
	s_andn2_b64 exec, exec, s[16:17]
	s_cbranch_execnz .LBB56_20
; %bb.21:                               ;   in Loop: Header=BB56_2 Depth=1
	s_or_b64 exec, exec, s[16:17]
.LBB56_22:                              ;   in Loop: Header=BB56_2 Depth=1
	s_or_b64 exec, exec, s[14:15]
	v_add_u32_e32 v46, v42, v4
	v_sub_u32_e32 v47, v22, v42
	ds_read_u8 v42, v46
	ds_read_u8 v43, v47
	v_cmp_le_i32_e64 s[14:15], v11, v46
	v_cmp_gt_i32_e64 s[12:13], v12, v47
                                        ; implicit-def: $vgpr44
	s_waitcnt lgkmcnt(1)
	v_bfe_i32 v42, v42, 0, 8
	s_waitcnt lgkmcnt(0)
	v_bfe_i32 v43, v43, 0, 8
	v_cmp_lt_i16_e64 s[16:17], v43, v42
	s_or_b64 s[14:15], s[14:15], s[16:17]
	s_and_b64 s[12:13], s[12:13], s[14:15]
	s_xor_b64 s[14:15], s[12:13], -1
	s_and_saveexec_b64 s[16:17], s[14:15]
	s_xor_b64 s[14:15], exec, s[16:17]
; %bb.23:                               ;   in Loop: Header=BB56_2 Depth=1
	ds_read_u8 v44, v46 offset:1
; %bb.24:                               ;   in Loop: Header=BB56_2 Depth=1
	s_or_saveexec_b64 s[14:15], s[14:15]
	v_mov_b32_e32 v45, v43
	s_xor_b64 exec, exec, s[14:15]
	s_cbranch_execz .LBB56_26
; %bb.25:                               ;   in Loop: Header=BB56_2 Depth=1
	ds_read_u8 v45, v47 offset:1
	s_waitcnt lgkmcnt(1)
	v_mov_b32_e32 v44, v42
.LBB56_26:                              ;   in Loop: Header=BB56_2 Depth=1
	s_or_b64 exec, exec, s[14:15]
	v_add_u32_e32 v49, 1, v46
	v_add_u32_e32 v48, 1, v47
	v_cndmask_b32_e64 v49, v49, v46, s[12:13]
	v_cndmask_b32_e64 v48, v47, v48, s[12:13]
	v_cmp_ge_i32_e64 s[16:17], v49, v11
	s_waitcnt lgkmcnt(0)
	v_cmp_lt_i16_sdwa s[18:19], sext(v45), sext(v44) src0_sel:BYTE_0 src1_sel:BYTE_0
	v_cmp_lt_i32_e64 s[14:15], v48, v12
	s_or_b64 s[16:17], s[16:17], s[18:19]
	s_and_b64 s[14:15], s[14:15], s[16:17]
	s_xor_b64 s[16:17], s[14:15], -1
                                        ; implicit-def: $vgpr46
	s_and_saveexec_b64 s[18:19], s[16:17]
	s_xor_b64 s[16:17], exec, s[18:19]
; %bb.27:                               ;   in Loop: Header=BB56_2 Depth=1
	ds_read_u8 v46, v49 offset:1
; %bb.28:                               ;   in Loop: Header=BB56_2 Depth=1
	s_or_saveexec_b64 s[16:17], s[16:17]
	v_mov_b32_e32 v47, v45
	s_xor_b64 exec, exec, s[16:17]
	s_cbranch_execz .LBB56_30
; %bb.29:                               ;   in Loop: Header=BB56_2 Depth=1
	ds_read_u8 v47, v48 offset:1
	s_waitcnt lgkmcnt(1)
	v_mov_b32_e32 v46, v44
.LBB56_30:                              ;   in Loop: Header=BB56_2 Depth=1
	s_or_b64 exec, exec, s[16:17]
	v_add_u32_e32 v51, 1, v49
	v_add_u32_e32 v50, 1, v48
	v_cndmask_b32_e64 v49, v51, v49, s[14:15]
	v_cndmask_b32_e64 v48, v48, v50, s[14:15]
	v_cmp_ge_i32_e64 s[18:19], v49, v11
	s_waitcnt lgkmcnt(0)
	v_cmp_lt_i16_sdwa s[30:31], sext(v47), sext(v46) src0_sel:BYTE_0 src1_sel:BYTE_0
	v_cmp_lt_i32_e64 s[16:17], v48, v12
	s_or_b64 s[18:19], s[18:19], s[30:31]
	s_and_b64 s[16:17], s[16:17], s[18:19]
	s_xor_b64 s[18:19], s[16:17], -1
                                        ; implicit-def: $vgpr50
	s_and_saveexec_b64 s[30:31], s[18:19]
	s_xor_b64 s[18:19], exec, s[30:31]
; %bb.31:                               ;   in Loop: Header=BB56_2 Depth=1
	ds_read_u8 v50, v49 offset:1
; %bb.32:                               ;   in Loop: Header=BB56_2 Depth=1
	s_or_saveexec_b64 s[18:19], s[18:19]
	v_mov_b32_e32 v51, v47
	s_xor_b64 exec, exec, s[18:19]
	s_cbranch_execz .LBB56_34
; %bb.33:                               ;   in Loop: Header=BB56_2 Depth=1
	ds_read_u8 v51, v48 offset:1
	s_waitcnt lgkmcnt(1)
	v_mov_b32_e32 v50, v46
.LBB56_34:                              ;   in Loop: Header=BB56_2 Depth=1
	s_or_b64 exec, exec, s[18:19]
	v_cndmask_b32_e64 v46, v46, v47, s[16:17]
	v_add_u32_e32 v47, 1, v48
	v_add_u32_e32 v52, 1, v49
	v_cndmask_b32_e64 v47, v48, v47, s[16:17]
	v_cndmask_b32_e64 v48, v52, v49, s[16:17]
	;; [unrolled: 1-line block ×3, first 2 shown]
	v_cmp_ge_i32_e64 s[14:15], v48, v11
	s_waitcnt lgkmcnt(0)
	v_cmp_lt_i16_sdwa s[16:17], sext(v51), sext(v50) src0_sel:BYTE_0 src1_sel:BYTE_0
	v_cndmask_b32_e64 v42, v42, v43, s[12:13]
	v_cmp_lt_i32_e64 s[12:13], v47, v12
	s_or_b64 s[14:15], s[14:15], s[16:17]
	s_and_b64 s[12:13], s[12:13], s[14:15]
	v_cndmask_b32_e64 v43, v50, v51, s[12:13]
	s_barrier
	ds_write_b8 v2, v42
	ds_write_b8 v2, v44 offset:1
	ds_write_b8 v2, v46 offset:2
	;; [unrolled: 1-line block ×3, first 2 shown]
	v_mov_b32_e32 v42, v35
	s_waitcnt lgkmcnt(0)
	s_barrier
	s_and_saveexec_b64 s[14:15], s[2:3]
	s_cbranch_execz .LBB56_38
; %bb.35:                               ;   in Loop: Header=BB56_2 Depth=1
	s_mov_b64 s[16:17], 0
	v_mov_b32_e32 v42, v35
	v_mov_b32_e32 v43, v29
.LBB56_36:                              ;   Parent Loop BB56_2 Depth=1
                                        ; =>  This Inner Loop Header: Depth=2
	v_sub_u32_e32 v44, v43, v42
	v_lshrrev_b32_e32 v44, 1, v44
	v_add_u32_e32 v44, v44, v42
	v_add_u32_e32 v45, v5, v44
	v_xad_u32 v46, v44, -1, v23
	ds_read_i8 v45, v45
	ds_read_i8 v46, v46
	v_add_u32_e32 v47, 1, v44
	s_waitcnt lgkmcnt(0)
	v_cmp_lt_i16_e64 s[12:13], v46, v45
	v_cndmask_b32_e64 v43, v43, v44, s[12:13]
	v_cndmask_b32_e64 v42, v47, v42, s[12:13]
	v_cmp_ge_i32_e64 s[12:13], v42, v43
	s_or_b64 s[16:17], s[12:13], s[16:17]
	s_andn2_b64 exec, exec, s[16:17]
	s_cbranch_execnz .LBB56_36
; %bb.37:                               ;   in Loop: Header=BB56_2 Depth=1
	s_or_b64 exec, exec, s[16:17]
.LBB56_38:                              ;   in Loop: Header=BB56_2 Depth=1
	s_or_b64 exec, exec, s[14:15]
	v_add_u32_e32 v46, v42, v5
	v_sub_u32_e32 v47, v23, v42
	ds_read_u8 v42, v46
	ds_read_u8 v43, v47
	v_cmp_le_i32_e64 s[14:15], v13, v46
	v_cmp_gt_i32_e64 s[12:13], v14, v47
                                        ; implicit-def: $vgpr44
	s_waitcnt lgkmcnt(1)
	v_bfe_i32 v42, v42, 0, 8
	s_waitcnt lgkmcnt(0)
	v_bfe_i32 v43, v43, 0, 8
	v_cmp_lt_i16_e64 s[16:17], v43, v42
	s_or_b64 s[14:15], s[14:15], s[16:17]
	s_and_b64 s[12:13], s[12:13], s[14:15]
	s_xor_b64 s[14:15], s[12:13], -1
	s_and_saveexec_b64 s[16:17], s[14:15]
	s_xor_b64 s[14:15], exec, s[16:17]
; %bb.39:                               ;   in Loop: Header=BB56_2 Depth=1
	ds_read_u8 v44, v46 offset:1
; %bb.40:                               ;   in Loop: Header=BB56_2 Depth=1
	s_or_saveexec_b64 s[14:15], s[14:15]
	v_mov_b32_e32 v45, v43
	s_xor_b64 exec, exec, s[14:15]
	s_cbranch_execz .LBB56_42
; %bb.41:                               ;   in Loop: Header=BB56_2 Depth=1
	ds_read_u8 v45, v47 offset:1
	s_waitcnt lgkmcnt(1)
	v_mov_b32_e32 v44, v42
.LBB56_42:                              ;   in Loop: Header=BB56_2 Depth=1
	s_or_b64 exec, exec, s[14:15]
	v_add_u32_e32 v49, 1, v46
	v_add_u32_e32 v48, 1, v47
	v_cndmask_b32_e64 v49, v49, v46, s[12:13]
	v_cndmask_b32_e64 v48, v47, v48, s[12:13]
	v_cmp_ge_i32_e64 s[16:17], v49, v13
	s_waitcnt lgkmcnt(0)
	v_cmp_lt_i16_sdwa s[18:19], sext(v45), sext(v44) src0_sel:BYTE_0 src1_sel:BYTE_0
	v_cmp_lt_i32_e64 s[14:15], v48, v14
	s_or_b64 s[16:17], s[16:17], s[18:19]
	s_and_b64 s[14:15], s[14:15], s[16:17]
	s_xor_b64 s[16:17], s[14:15], -1
                                        ; implicit-def: $vgpr46
	s_and_saveexec_b64 s[18:19], s[16:17]
	s_xor_b64 s[16:17], exec, s[18:19]
; %bb.43:                               ;   in Loop: Header=BB56_2 Depth=1
	ds_read_u8 v46, v49 offset:1
; %bb.44:                               ;   in Loop: Header=BB56_2 Depth=1
	s_or_saveexec_b64 s[16:17], s[16:17]
	v_mov_b32_e32 v47, v45
	s_xor_b64 exec, exec, s[16:17]
	s_cbranch_execz .LBB56_46
; %bb.45:                               ;   in Loop: Header=BB56_2 Depth=1
	ds_read_u8 v47, v48 offset:1
	s_waitcnt lgkmcnt(1)
	v_mov_b32_e32 v46, v44
.LBB56_46:                              ;   in Loop: Header=BB56_2 Depth=1
	s_or_b64 exec, exec, s[16:17]
	v_add_u32_e32 v51, 1, v49
	v_add_u32_e32 v50, 1, v48
	v_cndmask_b32_e64 v49, v51, v49, s[14:15]
	v_cndmask_b32_e64 v48, v48, v50, s[14:15]
	v_cmp_ge_i32_e64 s[18:19], v49, v13
	s_waitcnt lgkmcnt(0)
	v_cmp_lt_i16_sdwa s[30:31], sext(v47), sext(v46) src0_sel:BYTE_0 src1_sel:BYTE_0
	v_cmp_lt_i32_e64 s[16:17], v48, v14
	s_or_b64 s[18:19], s[18:19], s[30:31]
	s_and_b64 s[16:17], s[16:17], s[18:19]
	s_xor_b64 s[18:19], s[16:17], -1
                                        ; implicit-def: $vgpr50
	s_and_saveexec_b64 s[30:31], s[18:19]
	s_xor_b64 s[18:19], exec, s[30:31]
; %bb.47:                               ;   in Loop: Header=BB56_2 Depth=1
	ds_read_u8 v50, v49 offset:1
; %bb.48:                               ;   in Loop: Header=BB56_2 Depth=1
	s_or_saveexec_b64 s[18:19], s[18:19]
	v_mov_b32_e32 v51, v47
	s_xor_b64 exec, exec, s[18:19]
	s_cbranch_execz .LBB56_50
; %bb.49:                               ;   in Loop: Header=BB56_2 Depth=1
	ds_read_u8 v51, v48 offset:1
	s_waitcnt lgkmcnt(1)
	v_mov_b32_e32 v50, v46
.LBB56_50:                              ;   in Loop: Header=BB56_2 Depth=1
	s_or_b64 exec, exec, s[18:19]
	v_cndmask_b32_e64 v46, v46, v47, s[16:17]
	v_add_u32_e32 v47, 1, v48
	v_add_u32_e32 v52, 1, v49
	v_cndmask_b32_e64 v47, v48, v47, s[16:17]
	v_cndmask_b32_e64 v48, v52, v49, s[16:17]
	;; [unrolled: 1-line block ×3, first 2 shown]
	v_cmp_ge_i32_e64 s[14:15], v48, v13
	s_waitcnt lgkmcnt(0)
	v_cmp_lt_i16_sdwa s[16:17], sext(v51), sext(v50) src0_sel:BYTE_0 src1_sel:BYTE_0
	v_cndmask_b32_e64 v42, v42, v43, s[12:13]
	v_cmp_lt_i32_e64 s[12:13], v47, v14
	s_or_b64 s[14:15], s[14:15], s[16:17]
	s_and_b64 s[12:13], s[12:13], s[14:15]
	v_cndmask_b32_e64 v43, v50, v51, s[12:13]
	s_barrier
	ds_write_b8 v2, v42
	ds_write_b8 v2, v44 offset:1
	ds_write_b8 v2, v46 offset:2
	;; [unrolled: 1-line block ×3, first 2 shown]
	v_mov_b32_e32 v42, v36
	s_waitcnt lgkmcnt(0)
	s_barrier
	s_and_saveexec_b64 s[14:15], s[4:5]
	s_cbranch_execz .LBB56_54
; %bb.51:                               ;   in Loop: Header=BB56_2 Depth=1
	s_mov_b64 s[16:17], 0
	v_mov_b32_e32 v42, v36
	v_mov_b32_e32 v43, v30
.LBB56_52:                              ;   Parent Loop BB56_2 Depth=1
                                        ; =>  This Inner Loop Header: Depth=2
	v_sub_u32_e32 v44, v43, v42
	v_lshrrev_b32_e32 v44, 1, v44
	v_add_u32_e32 v44, v44, v42
	v_add_u32_e32 v45, v6, v44
	v_xad_u32 v46, v44, -1, v24
	ds_read_i8 v45, v45
	ds_read_i8 v46, v46
	v_add_u32_e32 v47, 1, v44
	s_waitcnt lgkmcnt(0)
	v_cmp_lt_i16_e64 s[12:13], v46, v45
	v_cndmask_b32_e64 v43, v43, v44, s[12:13]
	v_cndmask_b32_e64 v42, v47, v42, s[12:13]
	v_cmp_ge_i32_e64 s[12:13], v42, v43
	s_or_b64 s[16:17], s[12:13], s[16:17]
	s_andn2_b64 exec, exec, s[16:17]
	s_cbranch_execnz .LBB56_52
; %bb.53:                               ;   in Loop: Header=BB56_2 Depth=1
	s_or_b64 exec, exec, s[16:17]
.LBB56_54:                              ;   in Loop: Header=BB56_2 Depth=1
	s_or_b64 exec, exec, s[14:15]
	v_add_u32_e32 v46, v42, v6
	v_sub_u32_e32 v47, v24, v42
	ds_read_u8 v42, v46
	ds_read_u8 v43, v47
	v_cmp_le_i32_e64 s[14:15], v15, v46
	v_cmp_gt_i32_e64 s[12:13], v16, v47
                                        ; implicit-def: $vgpr44
	s_waitcnt lgkmcnt(1)
	v_bfe_i32 v42, v42, 0, 8
	s_waitcnt lgkmcnt(0)
	v_bfe_i32 v43, v43, 0, 8
	v_cmp_lt_i16_e64 s[16:17], v43, v42
	s_or_b64 s[14:15], s[14:15], s[16:17]
	s_and_b64 s[12:13], s[12:13], s[14:15]
	s_xor_b64 s[14:15], s[12:13], -1
	s_and_saveexec_b64 s[16:17], s[14:15]
	s_xor_b64 s[14:15], exec, s[16:17]
; %bb.55:                               ;   in Loop: Header=BB56_2 Depth=1
	ds_read_u8 v44, v46 offset:1
; %bb.56:                               ;   in Loop: Header=BB56_2 Depth=1
	s_or_saveexec_b64 s[14:15], s[14:15]
	v_mov_b32_e32 v45, v43
	s_xor_b64 exec, exec, s[14:15]
	s_cbranch_execz .LBB56_58
; %bb.57:                               ;   in Loop: Header=BB56_2 Depth=1
	ds_read_u8 v45, v47 offset:1
	s_waitcnt lgkmcnt(1)
	v_mov_b32_e32 v44, v42
.LBB56_58:                              ;   in Loop: Header=BB56_2 Depth=1
	s_or_b64 exec, exec, s[14:15]
	v_add_u32_e32 v49, 1, v46
	v_add_u32_e32 v48, 1, v47
	v_cndmask_b32_e64 v49, v49, v46, s[12:13]
	v_cndmask_b32_e64 v48, v47, v48, s[12:13]
	v_cmp_ge_i32_e64 s[16:17], v49, v15
	s_waitcnt lgkmcnt(0)
	v_cmp_lt_i16_sdwa s[18:19], sext(v45), sext(v44) src0_sel:BYTE_0 src1_sel:BYTE_0
	v_cmp_lt_i32_e64 s[14:15], v48, v16
	s_or_b64 s[16:17], s[16:17], s[18:19]
	s_and_b64 s[14:15], s[14:15], s[16:17]
	s_xor_b64 s[16:17], s[14:15], -1
                                        ; implicit-def: $vgpr46
	s_and_saveexec_b64 s[18:19], s[16:17]
	s_xor_b64 s[16:17], exec, s[18:19]
; %bb.59:                               ;   in Loop: Header=BB56_2 Depth=1
	ds_read_u8 v46, v49 offset:1
; %bb.60:                               ;   in Loop: Header=BB56_2 Depth=1
	s_or_saveexec_b64 s[16:17], s[16:17]
	v_mov_b32_e32 v47, v45
	s_xor_b64 exec, exec, s[16:17]
	s_cbranch_execz .LBB56_62
; %bb.61:                               ;   in Loop: Header=BB56_2 Depth=1
	ds_read_u8 v47, v48 offset:1
	s_waitcnt lgkmcnt(1)
	v_mov_b32_e32 v46, v44
.LBB56_62:                              ;   in Loop: Header=BB56_2 Depth=1
	s_or_b64 exec, exec, s[16:17]
	v_add_u32_e32 v51, 1, v49
	v_add_u32_e32 v50, 1, v48
	v_cndmask_b32_e64 v49, v51, v49, s[14:15]
	v_cndmask_b32_e64 v48, v48, v50, s[14:15]
	v_cmp_ge_i32_e64 s[18:19], v49, v15
	s_waitcnt lgkmcnt(0)
	v_cmp_lt_i16_sdwa s[30:31], sext(v47), sext(v46) src0_sel:BYTE_0 src1_sel:BYTE_0
	v_cmp_lt_i32_e64 s[16:17], v48, v16
	s_or_b64 s[18:19], s[18:19], s[30:31]
	s_and_b64 s[16:17], s[16:17], s[18:19]
	s_xor_b64 s[18:19], s[16:17], -1
                                        ; implicit-def: $vgpr50
	s_and_saveexec_b64 s[30:31], s[18:19]
	s_xor_b64 s[18:19], exec, s[30:31]
; %bb.63:                               ;   in Loop: Header=BB56_2 Depth=1
	ds_read_u8 v50, v49 offset:1
; %bb.64:                               ;   in Loop: Header=BB56_2 Depth=1
	s_or_saveexec_b64 s[18:19], s[18:19]
	v_mov_b32_e32 v51, v47
	s_xor_b64 exec, exec, s[18:19]
	s_cbranch_execz .LBB56_66
; %bb.65:                               ;   in Loop: Header=BB56_2 Depth=1
	ds_read_u8 v51, v48 offset:1
	s_waitcnt lgkmcnt(1)
	v_mov_b32_e32 v50, v46
.LBB56_66:                              ;   in Loop: Header=BB56_2 Depth=1
	s_or_b64 exec, exec, s[18:19]
	v_cndmask_b32_e64 v46, v46, v47, s[16:17]
	v_add_u32_e32 v47, 1, v48
	v_add_u32_e32 v52, 1, v49
	v_cndmask_b32_e64 v47, v48, v47, s[16:17]
	v_cndmask_b32_e64 v48, v52, v49, s[16:17]
	;; [unrolled: 1-line block ×3, first 2 shown]
	v_cmp_ge_i32_e64 s[14:15], v48, v15
	s_waitcnt lgkmcnt(0)
	v_cmp_lt_i16_sdwa s[16:17], sext(v51), sext(v50) src0_sel:BYTE_0 src1_sel:BYTE_0
	v_cndmask_b32_e64 v42, v42, v43, s[12:13]
	v_cmp_lt_i32_e64 s[12:13], v47, v16
	s_or_b64 s[14:15], s[14:15], s[16:17]
	s_and_b64 s[12:13], s[12:13], s[14:15]
	v_cndmask_b32_e64 v43, v50, v51, s[12:13]
	s_barrier
	ds_write_b8 v2, v42
	ds_write_b8 v2, v44 offset:1
	ds_write_b8 v2, v46 offset:2
	;; [unrolled: 1-line block ×3, first 2 shown]
	v_mov_b32_e32 v42, v37
	s_waitcnt lgkmcnt(0)
	s_barrier
	s_and_saveexec_b64 s[14:15], s[6:7]
	s_cbranch_execz .LBB56_70
; %bb.67:                               ;   in Loop: Header=BB56_2 Depth=1
	s_mov_b64 s[16:17], 0
	v_mov_b32_e32 v42, v37
	v_mov_b32_e32 v43, v31
.LBB56_68:                              ;   Parent Loop BB56_2 Depth=1
                                        ; =>  This Inner Loop Header: Depth=2
	v_sub_u32_e32 v44, v43, v42
	v_lshrrev_b32_e32 v44, 1, v44
	v_add_u32_e32 v44, v44, v42
	v_add_u32_e32 v45, v7, v44
	v_xad_u32 v46, v44, -1, v25
	ds_read_i8 v45, v45
	ds_read_i8 v46, v46
	v_add_u32_e32 v47, 1, v44
	s_waitcnt lgkmcnt(0)
	v_cmp_lt_i16_e64 s[12:13], v46, v45
	v_cndmask_b32_e64 v43, v43, v44, s[12:13]
	v_cndmask_b32_e64 v42, v47, v42, s[12:13]
	v_cmp_ge_i32_e64 s[12:13], v42, v43
	s_or_b64 s[16:17], s[12:13], s[16:17]
	s_andn2_b64 exec, exec, s[16:17]
	s_cbranch_execnz .LBB56_68
; %bb.69:                               ;   in Loop: Header=BB56_2 Depth=1
	s_or_b64 exec, exec, s[16:17]
.LBB56_70:                              ;   in Loop: Header=BB56_2 Depth=1
	s_or_b64 exec, exec, s[14:15]
	v_add_u32_e32 v46, v42, v7
	v_sub_u32_e32 v47, v25, v42
	ds_read_u8 v42, v46
	ds_read_u8 v43, v47
	v_cmp_le_i32_e64 s[14:15], v17, v46
	v_cmp_gt_i32_e64 s[12:13], v18, v47
                                        ; implicit-def: $vgpr44
	s_waitcnt lgkmcnt(1)
	v_bfe_i32 v42, v42, 0, 8
	s_waitcnt lgkmcnt(0)
	v_bfe_i32 v43, v43, 0, 8
	v_cmp_lt_i16_e64 s[16:17], v43, v42
	s_or_b64 s[14:15], s[14:15], s[16:17]
	s_and_b64 s[12:13], s[12:13], s[14:15]
	s_xor_b64 s[14:15], s[12:13], -1
	s_and_saveexec_b64 s[16:17], s[14:15]
	s_xor_b64 s[14:15], exec, s[16:17]
; %bb.71:                               ;   in Loop: Header=BB56_2 Depth=1
	ds_read_u8 v44, v46 offset:1
; %bb.72:                               ;   in Loop: Header=BB56_2 Depth=1
	s_or_saveexec_b64 s[14:15], s[14:15]
	v_mov_b32_e32 v45, v43
	s_xor_b64 exec, exec, s[14:15]
	s_cbranch_execz .LBB56_74
; %bb.73:                               ;   in Loop: Header=BB56_2 Depth=1
	ds_read_u8 v45, v47 offset:1
	s_waitcnt lgkmcnt(1)
	v_mov_b32_e32 v44, v42
.LBB56_74:                              ;   in Loop: Header=BB56_2 Depth=1
	s_or_b64 exec, exec, s[14:15]
	v_add_u32_e32 v49, 1, v46
	v_add_u32_e32 v48, 1, v47
	v_cndmask_b32_e64 v49, v49, v46, s[12:13]
	v_cndmask_b32_e64 v48, v47, v48, s[12:13]
	v_cmp_ge_i32_e64 s[16:17], v49, v17
	s_waitcnt lgkmcnt(0)
	v_cmp_lt_i16_sdwa s[18:19], sext(v45), sext(v44) src0_sel:BYTE_0 src1_sel:BYTE_0
	v_cmp_lt_i32_e64 s[14:15], v48, v18
	s_or_b64 s[16:17], s[16:17], s[18:19]
	s_and_b64 s[14:15], s[14:15], s[16:17]
	s_xor_b64 s[16:17], s[14:15], -1
                                        ; implicit-def: $vgpr46
	s_and_saveexec_b64 s[18:19], s[16:17]
	s_xor_b64 s[16:17], exec, s[18:19]
; %bb.75:                               ;   in Loop: Header=BB56_2 Depth=1
	ds_read_u8 v46, v49 offset:1
; %bb.76:                               ;   in Loop: Header=BB56_2 Depth=1
	s_or_saveexec_b64 s[16:17], s[16:17]
	v_mov_b32_e32 v47, v45
	s_xor_b64 exec, exec, s[16:17]
	s_cbranch_execz .LBB56_78
; %bb.77:                               ;   in Loop: Header=BB56_2 Depth=1
	ds_read_u8 v47, v48 offset:1
	s_waitcnt lgkmcnt(1)
	v_mov_b32_e32 v46, v44
.LBB56_78:                              ;   in Loop: Header=BB56_2 Depth=1
	s_or_b64 exec, exec, s[16:17]
	v_add_u32_e32 v51, 1, v49
	v_add_u32_e32 v50, 1, v48
	v_cndmask_b32_e64 v49, v51, v49, s[14:15]
	v_cndmask_b32_e64 v48, v48, v50, s[14:15]
	v_cmp_ge_i32_e64 s[18:19], v49, v17
	s_waitcnt lgkmcnt(0)
	v_cmp_lt_i16_sdwa s[30:31], sext(v47), sext(v46) src0_sel:BYTE_0 src1_sel:BYTE_0
	v_cmp_lt_i32_e64 s[16:17], v48, v18
	s_or_b64 s[18:19], s[18:19], s[30:31]
	s_and_b64 s[16:17], s[16:17], s[18:19]
	s_xor_b64 s[18:19], s[16:17], -1
                                        ; implicit-def: $vgpr50
	s_and_saveexec_b64 s[30:31], s[18:19]
	s_xor_b64 s[18:19], exec, s[30:31]
; %bb.79:                               ;   in Loop: Header=BB56_2 Depth=1
	ds_read_u8 v50, v49 offset:1
; %bb.80:                               ;   in Loop: Header=BB56_2 Depth=1
	s_or_saveexec_b64 s[18:19], s[18:19]
	v_mov_b32_e32 v51, v47
	s_xor_b64 exec, exec, s[18:19]
	s_cbranch_execz .LBB56_82
; %bb.81:                               ;   in Loop: Header=BB56_2 Depth=1
	ds_read_u8 v51, v48 offset:1
	s_waitcnt lgkmcnt(1)
	v_mov_b32_e32 v50, v46
.LBB56_82:                              ;   in Loop: Header=BB56_2 Depth=1
	s_or_b64 exec, exec, s[18:19]
	v_cndmask_b32_e64 v46, v46, v47, s[16:17]
	v_add_u32_e32 v47, 1, v48
	v_add_u32_e32 v52, 1, v49
	v_cndmask_b32_e64 v47, v48, v47, s[16:17]
	v_cndmask_b32_e64 v48, v52, v49, s[16:17]
	;; [unrolled: 1-line block ×3, first 2 shown]
	v_cmp_ge_i32_e64 s[14:15], v48, v17
	s_waitcnt lgkmcnt(0)
	v_cmp_lt_i16_sdwa s[16:17], sext(v51), sext(v50) src0_sel:BYTE_0 src1_sel:BYTE_0
	v_cndmask_b32_e64 v42, v42, v43, s[12:13]
	v_cmp_lt_i32_e64 s[12:13], v47, v18
	s_or_b64 s[14:15], s[14:15], s[16:17]
	s_and_b64 s[12:13], s[12:13], s[14:15]
	v_cndmask_b32_e64 v43, v50, v51, s[12:13]
	s_barrier
	ds_write_b8 v2, v42
	ds_write_b8 v2, v44 offset:1
	ds_write_b8 v2, v46 offset:2
	;; [unrolled: 1-line block ×3, first 2 shown]
	v_mov_b32_e32 v42, v38
	s_waitcnt lgkmcnt(0)
	s_barrier
	s_and_saveexec_b64 s[14:15], s[8:9]
	s_cbranch_execz .LBB56_86
; %bb.83:                               ;   in Loop: Header=BB56_2 Depth=1
	s_mov_b64 s[16:17], 0
	v_mov_b32_e32 v42, v38
	v_mov_b32_e32 v43, v32
.LBB56_84:                              ;   Parent Loop BB56_2 Depth=1
                                        ; =>  This Inner Loop Header: Depth=2
	v_sub_u32_e32 v44, v43, v42
	v_lshrrev_b32_e32 v44, 1, v44
	v_add_u32_e32 v44, v44, v42
	v_add_u32_e32 v45, v8, v44
	v_xad_u32 v46, v44, -1, v26
	ds_read_i8 v45, v45
	ds_read_i8 v46, v46
	v_add_u32_e32 v47, 1, v44
	s_waitcnt lgkmcnt(0)
	v_cmp_lt_i16_e64 s[12:13], v46, v45
	v_cndmask_b32_e64 v43, v43, v44, s[12:13]
	v_cndmask_b32_e64 v42, v47, v42, s[12:13]
	v_cmp_ge_i32_e64 s[12:13], v42, v43
	s_or_b64 s[16:17], s[12:13], s[16:17]
	s_andn2_b64 exec, exec, s[16:17]
	s_cbranch_execnz .LBB56_84
; %bb.85:                               ;   in Loop: Header=BB56_2 Depth=1
	s_or_b64 exec, exec, s[16:17]
.LBB56_86:                              ;   in Loop: Header=BB56_2 Depth=1
	s_or_b64 exec, exec, s[14:15]
	v_add_u32_e32 v46, v42, v8
	v_sub_u32_e32 v47, v26, v42
	ds_read_u8 v42, v46
	ds_read_u8 v43, v47
	v_cmp_le_i32_e64 s[14:15], v19, v46
	v_cmp_gt_i32_e64 s[12:13], v20, v47
                                        ; implicit-def: $vgpr44
	s_waitcnt lgkmcnt(1)
	v_bfe_i32 v42, v42, 0, 8
	s_waitcnt lgkmcnt(0)
	v_bfe_i32 v43, v43, 0, 8
	v_cmp_lt_i16_e64 s[16:17], v43, v42
	s_or_b64 s[14:15], s[14:15], s[16:17]
	s_and_b64 s[12:13], s[12:13], s[14:15]
	s_xor_b64 s[14:15], s[12:13], -1
	s_and_saveexec_b64 s[16:17], s[14:15]
	s_xor_b64 s[14:15], exec, s[16:17]
; %bb.87:                               ;   in Loop: Header=BB56_2 Depth=1
	ds_read_u8 v44, v46 offset:1
; %bb.88:                               ;   in Loop: Header=BB56_2 Depth=1
	s_or_saveexec_b64 s[14:15], s[14:15]
	v_mov_b32_e32 v45, v43
	s_xor_b64 exec, exec, s[14:15]
	s_cbranch_execz .LBB56_90
; %bb.89:                               ;   in Loop: Header=BB56_2 Depth=1
	ds_read_u8 v45, v47 offset:1
	s_waitcnt lgkmcnt(1)
	v_mov_b32_e32 v44, v42
.LBB56_90:                              ;   in Loop: Header=BB56_2 Depth=1
	s_or_b64 exec, exec, s[14:15]
	v_add_u32_e32 v49, 1, v46
	v_add_u32_e32 v48, 1, v47
	v_cndmask_b32_e64 v49, v49, v46, s[12:13]
	v_cndmask_b32_e64 v48, v47, v48, s[12:13]
	v_cmp_ge_i32_e64 s[16:17], v49, v19
	s_waitcnt lgkmcnt(0)
	v_cmp_lt_i16_sdwa s[18:19], sext(v45), sext(v44) src0_sel:BYTE_0 src1_sel:BYTE_0
	v_cmp_lt_i32_e64 s[14:15], v48, v20
	s_or_b64 s[16:17], s[16:17], s[18:19]
	s_and_b64 s[14:15], s[14:15], s[16:17]
	s_xor_b64 s[16:17], s[14:15], -1
                                        ; implicit-def: $vgpr46
	s_and_saveexec_b64 s[18:19], s[16:17]
	s_xor_b64 s[16:17], exec, s[18:19]
; %bb.91:                               ;   in Loop: Header=BB56_2 Depth=1
	ds_read_u8 v46, v49 offset:1
; %bb.92:                               ;   in Loop: Header=BB56_2 Depth=1
	s_or_saveexec_b64 s[16:17], s[16:17]
	v_mov_b32_e32 v47, v45
	s_xor_b64 exec, exec, s[16:17]
	s_cbranch_execz .LBB56_94
; %bb.93:                               ;   in Loop: Header=BB56_2 Depth=1
	ds_read_u8 v47, v48 offset:1
	s_waitcnt lgkmcnt(1)
	v_mov_b32_e32 v46, v44
.LBB56_94:                              ;   in Loop: Header=BB56_2 Depth=1
	s_or_b64 exec, exec, s[16:17]
	v_add_u32_e32 v51, 1, v49
	v_add_u32_e32 v50, 1, v48
	v_cndmask_b32_e64 v49, v51, v49, s[14:15]
	v_cndmask_b32_e64 v48, v48, v50, s[14:15]
	v_cmp_ge_i32_e64 s[18:19], v49, v19
	s_waitcnt lgkmcnt(0)
	v_cmp_lt_i16_sdwa s[30:31], sext(v47), sext(v46) src0_sel:BYTE_0 src1_sel:BYTE_0
	v_cmp_lt_i32_e64 s[16:17], v48, v20
	s_or_b64 s[18:19], s[18:19], s[30:31]
	s_and_b64 s[16:17], s[16:17], s[18:19]
	s_xor_b64 s[18:19], s[16:17], -1
                                        ; implicit-def: $vgpr50
	s_and_saveexec_b64 s[30:31], s[18:19]
	s_xor_b64 s[18:19], exec, s[30:31]
; %bb.95:                               ;   in Loop: Header=BB56_2 Depth=1
	ds_read_u8 v50, v49 offset:1
; %bb.96:                               ;   in Loop: Header=BB56_2 Depth=1
	s_or_saveexec_b64 s[18:19], s[18:19]
	v_mov_b32_e32 v51, v47
	s_xor_b64 exec, exec, s[18:19]
	s_cbranch_execz .LBB56_98
; %bb.97:                               ;   in Loop: Header=BB56_2 Depth=1
	ds_read_u8 v51, v48 offset:1
	s_waitcnt lgkmcnt(1)
	v_mov_b32_e32 v50, v46
.LBB56_98:                              ;   in Loop: Header=BB56_2 Depth=1
	s_or_b64 exec, exec, s[18:19]
	v_cndmask_b32_e64 v46, v46, v47, s[16:17]
	v_add_u32_e32 v47, 1, v48
	v_add_u32_e32 v52, 1, v49
	v_cndmask_b32_e64 v47, v48, v47, s[16:17]
	v_cndmask_b32_e64 v48, v52, v49, s[16:17]
	;; [unrolled: 1-line block ×3, first 2 shown]
	v_cmp_ge_i32_e64 s[14:15], v48, v19
	s_waitcnt lgkmcnt(0)
	v_cmp_lt_i16_sdwa s[16:17], sext(v51), sext(v50) src0_sel:BYTE_0 src1_sel:BYTE_0
	v_cndmask_b32_e64 v42, v42, v43, s[12:13]
	v_cmp_lt_i32_e64 s[12:13], v47, v20
	s_or_b64 s[14:15], s[14:15], s[16:17]
	s_and_b64 s[12:13], s[12:13], s[14:15]
	v_cndmask_b32_e64 v43, v50, v51, s[12:13]
	s_barrier
	ds_write_b8 v2, v42
	ds_write_b8 v2, v44 offset:1
	ds_write_b8 v2, v46 offset:2
	;; [unrolled: 1-line block ×3, first 2 shown]
	v_mov_b32_e32 v46, v39
	s_waitcnt lgkmcnt(0)
	s_barrier
	s_and_saveexec_b64 s[14:15], s[10:11]
	s_cbranch_execz .LBB56_102
; %bb.99:                               ;   in Loop: Header=BB56_2 Depth=1
	s_mov_b64 s[16:17], 0
	v_mov_b32_e32 v46, v39
	v_mov_b32_e32 v42, v40
.LBB56_100:                             ;   Parent Loop BB56_2 Depth=1
                                        ; =>  This Inner Loop Header: Depth=2
	v_sub_u32_e32 v43, v42, v46
	v_lshrrev_b32_e32 v43, 1, v43
	v_add_u32_e32 v43, v43, v46
	v_xad_u32 v44, v43, -1, v41
	ds_read_i8 v45, v43
	ds_read_i8 v44, v44
	v_add_u32_e32 v47, 1, v43
	s_waitcnt lgkmcnt(0)
	v_cmp_lt_i16_e64 s[12:13], v44, v45
	v_cndmask_b32_e64 v42, v42, v43, s[12:13]
	v_cndmask_b32_e64 v46, v47, v46, s[12:13]
	v_cmp_ge_i32_e64 s[12:13], v46, v42
	s_or_b64 s[16:17], s[12:13], s[16:17]
	s_andn2_b64 exec, exec, s[16:17]
	s_cbranch_execnz .LBB56_100
; %bb.101:                              ;   in Loop: Header=BB56_2 Depth=1
	s_or_b64 exec, exec, s[16:17]
.LBB56_102:                             ;   in Loop: Header=BB56_2 Depth=1
	s_or_b64 exec, exec, s[14:15]
	v_sub_u32_e32 v47, v41, v46
	ds_read_u8 v42, v46
	ds_read_u8 v43, v47
	v_cmp_le_i32_e64 s[14:15], v1, v46
	v_cmp_gt_i32_e64 s[12:13], s29, v47
                                        ; implicit-def: $vgpr44
	s_waitcnt lgkmcnt(1)
	v_bfe_i32 v42, v42, 0, 8
	s_waitcnt lgkmcnt(0)
	v_bfe_i32 v43, v43, 0, 8
	v_cmp_lt_i16_e64 s[16:17], v43, v42
	s_or_b64 s[14:15], s[14:15], s[16:17]
	s_and_b64 s[12:13], s[12:13], s[14:15]
	s_xor_b64 s[14:15], s[12:13], -1
	s_and_saveexec_b64 s[16:17], s[14:15]
	s_xor_b64 s[14:15], exec, s[16:17]
; %bb.103:                              ;   in Loop: Header=BB56_2 Depth=1
	ds_read_u8 v44, v46 offset:1
; %bb.104:                              ;   in Loop: Header=BB56_2 Depth=1
	s_or_saveexec_b64 s[14:15], s[14:15]
	v_mov_b32_e32 v45, v43
	s_xor_b64 exec, exec, s[14:15]
	s_cbranch_execz .LBB56_106
; %bb.105:                              ;   in Loop: Header=BB56_2 Depth=1
	ds_read_u8 v45, v47 offset:1
	s_waitcnt lgkmcnt(1)
	v_mov_b32_e32 v44, v42
.LBB56_106:                             ;   in Loop: Header=BB56_2 Depth=1
	s_or_b64 exec, exec, s[14:15]
	v_add_u32_e32 v49, 1, v46
	v_add_u32_e32 v48, 1, v47
	v_cndmask_b32_e64 v49, v49, v46, s[12:13]
	v_cndmask_b32_e64 v48, v47, v48, s[12:13]
	v_cmp_ge_i32_e64 s[16:17], v49, v1
	s_waitcnt lgkmcnt(0)
	v_cmp_lt_i16_sdwa s[18:19], sext(v45), sext(v44) src0_sel:BYTE_0 src1_sel:BYTE_0
	v_cmp_gt_i32_e64 s[14:15], s29, v48
	s_or_b64 s[16:17], s[16:17], s[18:19]
	s_and_b64 s[14:15], s[14:15], s[16:17]
	s_xor_b64 s[16:17], s[14:15], -1
                                        ; implicit-def: $vgpr46
	s_and_saveexec_b64 s[18:19], s[16:17]
	s_xor_b64 s[16:17], exec, s[18:19]
; %bb.107:                              ;   in Loop: Header=BB56_2 Depth=1
	ds_read_u8 v46, v49 offset:1
; %bb.108:                              ;   in Loop: Header=BB56_2 Depth=1
	s_or_saveexec_b64 s[16:17], s[16:17]
	v_mov_b32_e32 v47, v45
	s_xor_b64 exec, exec, s[16:17]
	s_cbranch_execz .LBB56_110
; %bb.109:                              ;   in Loop: Header=BB56_2 Depth=1
	ds_read_u8 v47, v48 offset:1
	s_waitcnt lgkmcnt(1)
	v_mov_b32_e32 v46, v44
.LBB56_110:                             ;   in Loop: Header=BB56_2 Depth=1
	s_or_b64 exec, exec, s[16:17]
	v_add_u32_e32 v51, 1, v49
	v_add_u32_e32 v50, 1, v48
	v_cndmask_b32_e64 v51, v51, v49, s[14:15]
	v_cndmask_b32_e64 v48, v48, v50, s[14:15]
	v_cmp_ge_i32_e64 s[18:19], v51, v1
	s_waitcnt lgkmcnt(0)
	v_cmp_lt_i16_sdwa s[30:31], sext(v47), sext(v46) src0_sel:BYTE_0 src1_sel:BYTE_0
	v_cmp_gt_i32_e64 s[16:17], s29, v48
	s_or_b64 s[18:19], s[18:19], s[30:31]
	s_and_b64 s[16:17], s[16:17], s[18:19]
	s_xor_b64 s[18:19], s[16:17], -1
                                        ; implicit-def: $vgpr49
                                        ; implicit-def: $vgpr50
	s_and_saveexec_b64 s[30:31], s[18:19]
	s_xor_b64 s[18:19], exec, s[30:31]
; %bb.111:                              ;   in Loop: Header=BB56_2 Depth=1
	ds_read_u8 v49, v51 offset:1
	v_add_u32_e32 v50, 1, v51
                                        ; implicit-def: $vgpr51
; %bb.112:                              ;   in Loop: Header=BB56_2 Depth=1
	s_or_saveexec_b64 s[18:19], s[18:19]
	v_mov_b32_e32 v52, v47
	s_xor_b64 exec, exec, s[18:19]
	s_cbranch_execz .LBB56_1
; %bb.113:                              ;   in Loop: Header=BB56_2 Depth=1
	ds_read_u8 v52, v48 offset:1
	v_add_u32_e32 v48, 1, v48
	v_mov_b32_e32 v50, v51
	s_waitcnt lgkmcnt(1)
	v_mov_b32_e32 v49, v46
	s_branch .LBB56_1
.LBB56_114:
	s_add_u32 s0, s22, s24
	s_addc_u32 s1, s23, 0
	v_mov_b32_e32 v1, s1
	v_add_co_u32_e32 v0, vcc, s0, v0
	v_addc_co_u32_e32 v1, vcc, 0, v1, vcc
	global_store_byte v[0:1], v42, off
	global_store_byte v[0:1], v43, off offset:128
	global_store_byte v[0:1], v44, off offset:256
	;; [unrolled: 1-line block ×3, first 2 shown]
	s_endpgm
	.section	.rodata,"a",@progbits
	.p2align	6, 0x0
	.amdhsa_kernel _Z16sort_keys_kernelIaLj128ELj4EN10test_utils4lessELj10EEvPKT_PS2_T2_
		.amdhsa_group_segment_fixed_size 513
		.amdhsa_private_segment_fixed_size 0
		.amdhsa_kernarg_size 20
		.amdhsa_user_sgpr_count 6
		.amdhsa_user_sgpr_private_segment_buffer 1
		.amdhsa_user_sgpr_dispatch_ptr 0
		.amdhsa_user_sgpr_queue_ptr 0
		.amdhsa_user_sgpr_kernarg_segment_ptr 1
		.amdhsa_user_sgpr_dispatch_id 0
		.amdhsa_user_sgpr_flat_scratch_init 0
		.amdhsa_user_sgpr_private_segment_size 0
		.amdhsa_uses_dynamic_stack 0
		.amdhsa_system_sgpr_private_segment_wavefront_offset 0
		.amdhsa_system_sgpr_workgroup_id_x 1
		.amdhsa_system_sgpr_workgroup_id_y 0
		.amdhsa_system_sgpr_workgroup_id_z 0
		.amdhsa_system_sgpr_workgroup_info 0
		.amdhsa_system_vgpr_workitem_id 0
		.amdhsa_next_free_vgpr 55
		.amdhsa_next_free_sgpr 32
		.amdhsa_reserve_vcc 1
		.amdhsa_reserve_flat_scratch 0
		.amdhsa_float_round_mode_32 0
		.amdhsa_float_round_mode_16_64 0
		.amdhsa_float_denorm_mode_32 3
		.amdhsa_float_denorm_mode_16_64 3
		.amdhsa_dx10_clamp 1
		.amdhsa_ieee_mode 1
		.amdhsa_fp16_overflow 0
		.amdhsa_exception_fp_ieee_invalid_op 0
		.amdhsa_exception_fp_denorm_src 0
		.amdhsa_exception_fp_ieee_div_zero 0
		.amdhsa_exception_fp_ieee_overflow 0
		.amdhsa_exception_fp_ieee_underflow 0
		.amdhsa_exception_fp_ieee_inexact 0
		.amdhsa_exception_int_div_zero 0
	.end_amdhsa_kernel
	.section	.text._Z16sort_keys_kernelIaLj128ELj4EN10test_utils4lessELj10EEvPKT_PS2_T2_,"axG",@progbits,_Z16sort_keys_kernelIaLj128ELj4EN10test_utils4lessELj10EEvPKT_PS2_T2_,comdat
.Lfunc_end56:
	.size	_Z16sort_keys_kernelIaLj128ELj4EN10test_utils4lessELj10EEvPKT_PS2_T2_, .Lfunc_end56-_Z16sort_keys_kernelIaLj128ELj4EN10test_utils4lessELj10EEvPKT_PS2_T2_
                                        ; -- End function
	.set _Z16sort_keys_kernelIaLj128ELj4EN10test_utils4lessELj10EEvPKT_PS2_T2_.num_vgpr, 55
	.set _Z16sort_keys_kernelIaLj128ELj4EN10test_utils4lessELj10EEvPKT_PS2_T2_.num_agpr, 0
	.set _Z16sort_keys_kernelIaLj128ELj4EN10test_utils4lessELj10EEvPKT_PS2_T2_.numbered_sgpr, 32
	.set _Z16sort_keys_kernelIaLj128ELj4EN10test_utils4lessELj10EEvPKT_PS2_T2_.num_named_barrier, 0
	.set _Z16sort_keys_kernelIaLj128ELj4EN10test_utils4lessELj10EEvPKT_PS2_T2_.private_seg_size, 0
	.set _Z16sort_keys_kernelIaLj128ELj4EN10test_utils4lessELj10EEvPKT_PS2_T2_.uses_vcc, 1
	.set _Z16sort_keys_kernelIaLj128ELj4EN10test_utils4lessELj10EEvPKT_PS2_T2_.uses_flat_scratch, 0
	.set _Z16sort_keys_kernelIaLj128ELj4EN10test_utils4lessELj10EEvPKT_PS2_T2_.has_dyn_sized_stack, 0
	.set _Z16sort_keys_kernelIaLj128ELj4EN10test_utils4lessELj10EEvPKT_PS2_T2_.has_recursion, 0
	.set _Z16sort_keys_kernelIaLj128ELj4EN10test_utils4lessELj10EEvPKT_PS2_T2_.has_indirect_call, 0
	.section	.AMDGPU.csdata,"",@progbits
; Kernel info:
; codeLenInByte = 5312
; TotalNumSgprs: 36
; NumVgprs: 55
; ScratchSize: 0
; MemoryBound: 0
; FloatMode: 240
; IeeeMode: 1
; LDSByteSize: 513 bytes/workgroup (compile time only)
; SGPRBlocks: 4
; VGPRBlocks: 13
; NumSGPRsForWavesPerEU: 36
; NumVGPRsForWavesPerEU: 55
; Occupancy: 4
; WaveLimiterHint : 1
; COMPUTE_PGM_RSRC2:SCRATCH_EN: 0
; COMPUTE_PGM_RSRC2:USER_SGPR: 6
; COMPUTE_PGM_RSRC2:TRAP_HANDLER: 0
; COMPUTE_PGM_RSRC2:TGID_X_EN: 1
; COMPUTE_PGM_RSRC2:TGID_Y_EN: 0
; COMPUTE_PGM_RSRC2:TGID_Z_EN: 0
; COMPUTE_PGM_RSRC2:TIDIG_COMP_CNT: 0
	.section	.text._Z17sort_pairs_kernelIaLj128ELj4EN10test_utils4lessELj10EEvPKT_PS2_T2_,"axG",@progbits,_Z17sort_pairs_kernelIaLj128ELj4EN10test_utils4lessELj10EEvPKT_PS2_T2_,comdat
	.protected	_Z17sort_pairs_kernelIaLj128ELj4EN10test_utils4lessELj10EEvPKT_PS2_T2_ ; -- Begin function _Z17sort_pairs_kernelIaLj128ELj4EN10test_utils4lessELj10EEvPKT_PS2_T2_
	.globl	_Z17sort_pairs_kernelIaLj128ELj4EN10test_utils4lessELj10EEvPKT_PS2_T2_
	.p2align	8
	.type	_Z17sort_pairs_kernelIaLj128ELj4EN10test_utils4lessELj10EEvPKT_PS2_T2_,@function
_Z17sort_pairs_kernelIaLj128ELj4EN10test_utils4lessELj10EEvPKT_PS2_T2_: ; @_Z17sort_pairs_kernelIaLj128ELj4EN10test_utils4lessELj10EEvPKT_PS2_T2_
; %bb.0:
	s_load_dwordx4 s[36:39], s[4:5], 0x0
	s_lshl_b32 s33, s6, 9
	v_lshlrev_b32_e32 v1, 2, v0
	v_and_b32_e32 v2, 0x1f8, v1
	v_and_b32_e32 v5, 0x1f0, v1
	s_waitcnt lgkmcnt(0)
	s_add_u32 s0, s36, s33
	s_addc_u32 s1, s37, 0
	global_load_ubyte v47, v0, s[0:1]
	global_load_ubyte v48, v0, s[0:1] offset:128
	global_load_ubyte v49, v0, s[0:1] offset:256
	;; [unrolled: 1-line block ×3, first 2 shown]
	v_and_b32_e32 v8, 0x1e0, v1
	v_and_b32_e32 v11, 0x1c0, v1
	;; [unrolled: 1-line block ×4, first 2 shown]
	v_or_b32_e32 v3, 4, v2
	v_add_u32_e32 v4, 8, v2
	v_or_b32_e32 v6, 8, v5
	v_add_u32_e32 v7, 16, v5
	;; [unrolled: 2-line block ×6, first 2 shown]
	v_and_b32_e32 v22, 4, v1
	v_sub_u32_e32 v20, v4, v3
	v_and_b32_e32 v25, 12, v1
	v_sub_u32_e32 v23, v7, v6
	;; [unrolled: 2-line block ×6, first 2 shown]
	v_sub_u32_e32 v21, v22, v20
	v_sub_u32_e32 v24, v25, v23
	;; [unrolled: 1-line block ×6, first 2 shown]
	v_cmp_ge_i32_e32 vcc, v22, v20
	v_cmp_ge_i32_e64 s[0:1], v25, v23
	v_cmp_ge_i32_e64 s[2:3], v28, v26
	;; [unrolled: 1-line block ×5, first 2 shown]
	v_cndmask_b32_e32 v20, 0, v21, vcc
	v_sub_u32_e32 v21, v3, v2
	v_cndmask_b32_e64 v23, 0, v24, s[0:1]
	v_sub_u32_e32 v24, v6, v5
	v_cndmask_b32_e64 v26, 0, v27, s[2:3]
	;; [unrolled: 2-line block ×5, first 2 shown]
	v_sub_u32_e32 v36, v18, v17
	v_mov_b32_e32 v38, 0x100
	v_min_i32_e32 v21, v22, v21
	v_min_i32_e32 v24, v25, v24
	;; [unrolled: 1-line block ×6, first 2 shown]
	v_sub_u32_e64 v39, v1, v38 clamp
	v_min_i32_e32 v40, 0x100, v1
	s_mov_b32 s34, 0
	v_cmp_lt_i32_e32 vcc, v20, v21
	v_add_u32_e32 v22, v3, v22
	v_cmp_lt_i32_e64 s[0:1], v23, v24
	v_add_u32_e32 v25, v6, v25
	v_cmp_lt_i32_e64 s[2:3], v26, v27
	v_add_u32_e32 v28, v9, v28
	v_cmp_lt_i32_e64 s[4:5], v29, v30
	v_add_u32_e32 v31, v12, v31
	v_cmp_lt_i32_e64 s[6:7], v32, v33
	v_add_u32_e32 v34, v15, v34
	v_cmp_lt_i32_e64 s[8:9], v35, v36
	v_add_u32_e32 v37, v18, v37
	v_cmp_lt_i32_e64 s[10:11], v39, v40
	s_mov_b32 s35, 0xc0c0004
	s_mov_b32 s36, 0xc0c0001
	;; [unrolled: 1-line block ×3, first 2 shown]
	s_movk_i32 s40, 0xff00
	s_mov_b32 s41, 0xffff0000
	s_mov_b32 s42, 0x7050604
	s_movk_i32 s43, 0x200
	s_waitcnt vmcnt(3)
	v_add_u16_e32 v42, 1, v47
	s_waitcnt vmcnt(2)
	v_add_u16_e32 v43, 1, v48
	;; [unrolled: 2-line block ×4, first 2 shown]
	v_add_u32_e32 v41, 0x100, v1
	s_branch .LBB57_2
.LBB57_1:                               ;   in Loop: Header=BB57_2 Depth=1
	s_or_b64 exec, exec, s[18:19]
	v_cmp_ge_i32_e64 s[18:19], v58, v38
	s_waitcnt lgkmcnt(0)
	v_cmp_lt_i16_sdwa s[20:21], sext(v61), sext(v59) src0_sel:BYTE_0 src1_sel:BYTE_0
	v_cndmask_b32_e64 v47, v47, v51, s[12:13]
	v_cndmask_b32_e64 v49, v46, v49, s[12:13]
	v_cmp_gt_i32_e64 s[12:13], s43, v56
	s_or_b64 s[18:19], s[18:19], s[20:21]
	s_and_b64 s[12:13], s[12:13], s[18:19]
	v_cndmask_b32_e64 v51, v55, v54, s[14:15]
	v_cndmask_b32_e64 v54, v58, v56, s[12:13]
	s_barrier
	ds_write_b8 v1, v42
	ds_write_b8 v1, v44 offset:1
	ds_write_b8 v1, v45 offset:2
	;; [unrolled: 1-line block ×3, first 2 shown]
	s_waitcnt lgkmcnt(0)
	s_barrier
	ds_read_u8 v42, v49
	ds_read_u8 v44, v57
	;; [unrolled: 1-line block ×4, first 2 shown]
	s_add_i32 s34, s34, 1
	v_cndmask_b32_e64 v46, v59, v61, s[12:13]
	v_cndmask_b32_e64 v48, v48, v50, s[14:15]
	s_cmp_eq_u32 s34, 10
	v_cndmask_b32_e64 v49, v52, v53, s[16:17]
	s_cbranch_scc1 .LBB57_114
.LBB57_2:                               ; =>This Loop Header: Depth=1
                                        ;     Child Loop BB57_4 Depth 2
                                        ;     Child Loop BB57_20 Depth 2
                                        ;     Child Loop BB57_36 Depth 2
                                        ;     Child Loop BB57_52 Depth 2
                                        ;     Child Loop BB57_68 Depth 2
                                        ;     Child Loop BB57_84 Depth 2
                                        ;     Child Loop BB57_100 Depth 2
	v_perm_b32 v46, v49, v46, s35
	v_lshlrev_b32_e32 v46, 16, v46
	v_perm_b32 v49, v48, v47, s35
	v_perm_b32 v50, v47, v48, s35
	v_or_b32_e32 v49, v49, v46
	v_or_b32_e32 v46, v50, v46
	v_cmp_lt_i16_sdwa s[12:13], sext(v48), sext(v47) src0_sel:BYTE_0 src1_sel:BYTE_0
	v_cndmask_b32_e64 v46, v46, v49, s[12:13]
	v_lshrrev_b32_e32 v47, 16, v46
	v_perm_b32 v48, 0, v47, s36
	v_lshrrev_b32_e32 v49, 24, v46
	v_lshlrev_b32_e32 v48, 16, v48
	v_and_or_b32 v48, v46, s37, v48
	v_cmp_lt_i16_sdwa s[14:15], sext(v49), sext(v47) src0_sel:BYTE_0 src1_sel:BYTE_0
	v_cndmask_b32_e64 v46, v46, v48, s[14:15]
	v_min_i16_sdwa v47, sext(v49), sext(v47) dst_sel:DWORD dst_unused:UNUSED_PAD src0_sel:BYTE_0 src1_sel:BYTE_0
	v_and_b32_sdwa v48, v46, s40 dst_sel:DWORD dst_unused:UNUSED_PAD src0_sel:WORD_1 src1_sel:DWORD
	v_lshlrev_b16_e32 v50, 8, v47
	v_or_b32_sdwa v48, v46, v48 dst_sel:WORD_1 dst_unused:UNUSED_PAD src0_sel:BYTE_1 src1_sel:DWORD
	v_lshrrev_b32_e32 v49, 8, v46
	v_or_b32_sdwa v50, v46, v50 dst_sel:DWORD dst_unused:UNUSED_PAD src0_sel:BYTE_0 src1_sel:DWORD
	v_or_b32_sdwa v48, v50, v48 dst_sel:DWORD dst_unused:UNUSED_PAD src0_sel:WORD_0 src1_sel:DWORD
	v_cmp_lt_i16_sdwa s[16:17], v47, sext(v49) src0_sel:DWORD src1_sel:BYTE_0
	v_cndmask_b32_e64 v46, v46, v48, s[16:17]
	v_lshlrev_b16_e32 v48, 8, v46
	v_min_i16_sdwa v47, v47, sext(v49) dst_sel:DWORD dst_unused:UNUSED_PAD src0_sel:DWORD src1_sel:BYTE_0
	v_or_b32_sdwa v48, v47, v48 dst_sel:DWORD dst_unused:UNUSED_PAD src0_sel:BYTE_0 src1_sel:DWORD
	v_and_b32_e32 v48, 0xffff, v48
	v_and_or_b32 v48, v46, s41, v48
	v_cmp_lt_i16_sdwa s[18:19], v47, sext(v46) src0_sel:DWORD src1_sel:BYTE_0
	v_cndmask_b32_e64 v46, v46, v48, s[18:19]
	v_lshrrev_b32_e32 v47, 16, v46
	v_perm_b32 v48, 0, v47, s36
	v_lshrrev_b32_e32 v49, 24, v46
	v_lshlrev_b32_e32 v48, 16, v48
	v_and_or_b32 v48, v46, s37, v48
	v_cmp_lt_i16_sdwa s[20:21], sext(v49), sext(v47) src0_sel:BYTE_0 src1_sel:BYTE_0
	v_cndmask_b32_e64 v46, v46, v48, s[20:21]
	v_min_i16_sdwa v47, sext(v49), sext(v47) dst_sel:DWORD dst_unused:UNUSED_PAD src0_sel:BYTE_0 src1_sel:BYTE_0
	v_and_b32_sdwa v48, v46, s40 dst_sel:DWORD dst_unused:UNUSED_PAD src0_sel:WORD_1 src1_sel:DWORD
	v_lshlrev_b16_e32 v50, 8, v47
	v_or_b32_sdwa v48, v46, v48 dst_sel:WORD_1 dst_unused:UNUSED_PAD src0_sel:BYTE_1 src1_sel:DWORD
	v_lshrrev_b32_e32 v49, 8, v46
	v_or_b32_sdwa v50, v46, v50 dst_sel:DWORD dst_unused:UNUSED_PAD src0_sel:BYTE_0 src1_sel:DWORD
	v_or_b32_sdwa v48, v50, v48 dst_sel:DWORD dst_unused:UNUSED_PAD src0_sel:WORD_0 src1_sel:DWORD
	v_cmp_lt_i16_sdwa s[22:23], v47, sext(v49) src0_sel:DWORD src1_sel:BYTE_0
	v_cndmask_b32_e64 v46, v46, v48, s[22:23]
	v_mov_b32_e32 v47, v20
	s_waitcnt lgkmcnt(0)
	s_barrier
	ds_write_b32 v1, v46
	s_waitcnt lgkmcnt(0)
	s_barrier
	s_and_saveexec_b64 s[26:27], vcc
	s_cbranch_execz .LBB57_6
; %bb.3:                                ;   in Loop: Header=BB57_2 Depth=1
	s_mov_b64 s[28:29], 0
	v_mov_b32_e32 v47, v20
	v_mov_b32_e32 v46, v21
.LBB57_4:                               ;   Parent Loop BB57_2 Depth=1
                                        ; =>  This Inner Loop Header: Depth=2
	v_sub_u32_e32 v48, v46, v47
	v_lshrrev_b32_e32 v48, 1, v48
	v_add_u32_e32 v48, v48, v47
	v_add_u32_e32 v49, v2, v48
	v_xad_u32 v50, v48, -1, v22
	ds_read_i8 v49, v49
	ds_read_i8 v50, v50
	v_add_u32_e32 v51, 1, v48
	s_waitcnt lgkmcnt(0)
	v_cmp_lt_i16_e64 s[24:25], v50, v49
	v_cndmask_b32_e64 v46, v46, v48, s[24:25]
	v_cndmask_b32_e64 v47, v51, v47, s[24:25]
	v_cmp_ge_i32_e64 s[24:25], v47, v46
	s_or_b64 s[28:29], s[24:25], s[28:29]
	s_andn2_b64 exec, exec, s[28:29]
	s_cbranch_execnz .LBB57_4
; %bb.5:                                ;   in Loop: Header=BB57_2 Depth=1
	s_or_b64 exec, exec, s[28:29]
.LBB57_6:                               ;   in Loop: Header=BB57_2 Depth=1
	s_or_b64 exec, exec, s[26:27]
	v_add_u32_e32 v46, v47, v2
	v_sub_u32_e32 v47, v22, v47
	ds_read_u8 v48, v46
	ds_read_u8 v49, v47
	v_cmp_le_i32_e64 s[26:27], v3, v46
	v_cmp_gt_i32_e64 s[24:25], v4, v47
                                        ; implicit-def: $vgpr50
	s_waitcnt lgkmcnt(1)
	v_bfe_i32 v48, v48, 0, 8
	s_waitcnt lgkmcnt(0)
	v_bfe_i32 v49, v49, 0, 8
	v_cmp_lt_i16_e64 s[28:29], v49, v48
	s_or_b64 s[26:27], s[26:27], s[28:29]
	s_and_b64 s[24:25], s[24:25], s[26:27]
	s_xor_b64 s[26:27], s[24:25], -1
	s_and_saveexec_b64 s[28:29], s[26:27]
	s_xor_b64 s[26:27], exec, s[28:29]
; %bb.7:                                ;   in Loop: Header=BB57_2 Depth=1
	ds_read_u8 v50, v46 offset:1
; %bb.8:                                ;   in Loop: Header=BB57_2 Depth=1
	s_or_saveexec_b64 s[26:27], s[26:27]
	v_mov_b32_e32 v51, v49
	s_xor_b64 exec, exec, s[26:27]
	s_cbranch_execz .LBB57_10
; %bb.9:                                ;   in Loop: Header=BB57_2 Depth=1
	ds_read_u8 v51, v47 offset:1
	s_waitcnt lgkmcnt(1)
	v_mov_b32_e32 v50, v48
.LBB57_10:                              ;   in Loop: Header=BB57_2 Depth=1
	s_or_b64 exec, exec, s[26:27]
	v_add_u32_e32 v53, 1, v46
	v_add_u32_e32 v52, 1, v47
	v_cndmask_b32_e64 v53, v53, v46, s[24:25]
	v_cndmask_b32_e64 v52, v47, v52, s[24:25]
	v_cmp_ge_i32_e64 s[28:29], v53, v3
	s_waitcnt lgkmcnt(0)
	v_cmp_lt_i16_sdwa s[30:31], sext(v51), sext(v50) src0_sel:BYTE_0 src1_sel:BYTE_0
	v_cmp_lt_i32_e64 s[26:27], v52, v4
	s_or_b64 s[28:29], s[28:29], s[30:31]
	s_and_b64 s[26:27], s[26:27], s[28:29]
	s_xor_b64 s[28:29], s[26:27], -1
                                        ; implicit-def: $vgpr54
	s_and_saveexec_b64 s[30:31], s[28:29]
	s_xor_b64 s[28:29], exec, s[30:31]
; %bb.11:                               ;   in Loop: Header=BB57_2 Depth=1
	ds_read_u8 v54, v53 offset:1
; %bb.12:                               ;   in Loop: Header=BB57_2 Depth=1
	s_or_saveexec_b64 s[28:29], s[28:29]
	v_mov_b32_e32 v56, v51
	s_xor_b64 exec, exec, s[28:29]
	s_cbranch_execz .LBB57_14
; %bb.13:                               ;   in Loop: Header=BB57_2 Depth=1
	ds_read_u8 v56, v52 offset:1
	s_waitcnt lgkmcnt(1)
	v_mov_b32_e32 v54, v50
.LBB57_14:                              ;   in Loop: Header=BB57_2 Depth=1
	s_or_b64 exec, exec, s[28:29]
	v_add_u32_e32 v57, 1, v53
	v_add_u32_e32 v55, 1, v52
	v_cndmask_b32_e64 v59, v57, v53, s[26:27]
	v_cndmask_b32_e64 v58, v52, v55, s[26:27]
	v_cmp_ge_i32_e64 s[30:31], v59, v3
	s_waitcnt lgkmcnt(0)
	v_cmp_lt_i16_sdwa s[44:45], sext(v56), sext(v54) src0_sel:BYTE_0 src1_sel:BYTE_0
	v_cmp_lt_i32_e64 s[28:29], v58, v4
	s_or_b64 s[30:31], s[30:31], s[44:45]
	s_and_b64 s[28:29], s[28:29], s[30:31]
	s_xor_b64 s[30:31], s[28:29], -1
                                        ; implicit-def: $vgpr55
	s_and_saveexec_b64 s[44:45], s[30:31]
	s_xor_b64 s[30:31], exec, s[44:45]
; %bb.15:                               ;   in Loop: Header=BB57_2 Depth=1
	ds_read_u8 v55, v59 offset:1
; %bb.16:                               ;   in Loop: Header=BB57_2 Depth=1
	s_or_saveexec_b64 s[30:31], s[30:31]
	v_mov_b32_e32 v57, v56
	s_xor_b64 exec, exec, s[30:31]
	s_cbranch_execz .LBB57_18
; %bb.17:                               ;   in Loop: Header=BB57_2 Depth=1
	ds_read_u8 v57, v58 offset:1
	s_waitcnt lgkmcnt(1)
	v_mov_b32_e32 v55, v54
.LBB57_18:                              ;   in Loop: Header=BB57_2 Depth=1
	s_or_b64 exec, exec, s[30:31]
	v_perm_b32 v44, v44, v45, s35
	v_perm_b32 v45, v43, v42, s35
	;; [unrolled: 1-line block ×3, first 2 shown]
	v_cndmask_b32_e64 v42, v42, v45, s[12:13]
	v_perm_b32 v43, 0, v44, s36
	v_lshl_or_b32 v42, v44, 16, v42
	v_lshlrev_b32_e32 v43, 16, v43
	v_and_or_b32 v43, v42, s37, v43
	v_cndmask_b32_e64 v42, v42, v43, s[14:15]
	v_perm_b32 v43, v42, v42, s42
	v_cndmask_b32_e64 v42, v42, v43, s[16:17]
	v_perm_b32 v43, 0, v42, s36
	v_and_or_b32 v43, v42, s41, v43
	v_cndmask_b32_e64 v42, v42, v43, s[18:19]
	v_lshrrev_b32_e32 v43, 16, v42
	v_add_u32_e32 v60, 1, v59
	v_perm_b32 v43, 0, v43, s36
	v_cndmask_b32_e64 v54, v54, v56, s[28:29]
	v_add_u32_e32 v56, 1, v58
	v_cndmask_b32_e64 v60, v60, v59, s[28:29]
	v_lshlrev_b32_e32 v43, 16, v43
	v_cndmask_b32_e64 v56, v58, v56, s[28:29]
	v_and_or_b32 v43, v42, s37, v43
	v_cmp_ge_i32_e64 s[14:15], v60, v3
	s_waitcnt lgkmcnt(0)
	v_cmp_lt_i16_sdwa s[16:17], sext(v57), sext(v55) src0_sel:BYTE_0 src1_sel:BYTE_0
	v_cndmask_b32_e64 v42, v42, v43, s[20:21]
	v_cmp_lt_i32_e64 s[12:13], v56, v4
	s_or_b64 s[14:15], s[14:15], s[16:17]
	v_perm_b32 v43, v42, v42, s42
	s_and_b64 s[12:13], s[12:13], s[14:15]
	v_cndmask_b32_e64 v46, v46, v47, s[24:25]
	v_cndmask_b32_e64 v42, v42, v43, s[22:23]
	;; [unrolled: 1-line block ×6, first 2 shown]
	s_barrier
	ds_write_b32 v1, v42
	s_waitcnt lgkmcnt(0)
	s_barrier
	ds_read_u8 v42, v46
	ds_read_u8 v43, v43
	;; [unrolled: 1-line block ×4, first 2 shown]
	v_cndmask_b32_e64 v48, v48, v49, s[24:25]
	v_cndmask_b32_e64 v47, v55, v57, s[12:13]
	s_waitcnt lgkmcnt(0)
	s_barrier
	ds_write_b8 v1, v48
	ds_write_b8 v1, v50 offset:1
	ds_write_b8 v1, v54 offset:2
	;; [unrolled: 1-line block ×3, first 2 shown]
	v_mov_b32_e32 v47, v23
	s_waitcnt lgkmcnt(0)
	s_barrier
	s_and_saveexec_b64 s[14:15], s[0:1]
	s_cbranch_execz .LBB57_22
; %bb.19:                               ;   in Loop: Header=BB57_2 Depth=1
	s_mov_b64 s[16:17], 0
	v_mov_b32_e32 v47, v23
	v_mov_b32_e32 v46, v24
.LBB57_20:                              ;   Parent Loop BB57_2 Depth=1
                                        ; =>  This Inner Loop Header: Depth=2
	v_sub_u32_e32 v48, v46, v47
	v_lshrrev_b32_e32 v48, 1, v48
	v_add_u32_e32 v48, v48, v47
	v_add_u32_e32 v49, v5, v48
	v_xad_u32 v50, v48, -1, v25
	ds_read_i8 v49, v49
	ds_read_i8 v50, v50
	v_add_u32_e32 v51, 1, v48
	s_waitcnt lgkmcnt(0)
	v_cmp_lt_i16_e64 s[12:13], v50, v49
	v_cndmask_b32_e64 v46, v46, v48, s[12:13]
	v_cndmask_b32_e64 v47, v51, v47, s[12:13]
	v_cmp_ge_i32_e64 s[12:13], v47, v46
	s_or_b64 s[16:17], s[12:13], s[16:17]
	s_andn2_b64 exec, exec, s[16:17]
	s_cbranch_execnz .LBB57_20
; %bb.21:                               ;   in Loop: Header=BB57_2 Depth=1
	s_or_b64 exec, exec, s[16:17]
.LBB57_22:                              ;   in Loop: Header=BB57_2 Depth=1
	s_or_b64 exec, exec, s[14:15]
	v_add_u32_e32 v46, v47, v5
	v_sub_u32_e32 v47, v25, v47
	ds_read_u8 v48, v46
	ds_read_u8 v49, v47
	v_cmp_le_i32_e64 s[14:15], v6, v46
	v_cmp_gt_i32_e64 s[12:13], v7, v47
                                        ; implicit-def: $vgpr50
	s_waitcnt lgkmcnt(1)
	v_bfe_i32 v48, v48, 0, 8
	s_waitcnt lgkmcnt(0)
	v_bfe_i32 v49, v49, 0, 8
	v_cmp_lt_i16_e64 s[16:17], v49, v48
	s_or_b64 s[14:15], s[14:15], s[16:17]
	s_and_b64 s[12:13], s[12:13], s[14:15]
	s_xor_b64 s[14:15], s[12:13], -1
	s_and_saveexec_b64 s[16:17], s[14:15]
	s_xor_b64 s[14:15], exec, s[16:17]
; %bb.23:                               ;   in Loop: Header=BB57_2 Depth=1
	ds_read_u8 v50, v46 offset:1
; %bb.24:                               ;   in Loop: Header=BB57_2 Depth=1
	s_or_saveexec_b64 s[14:15], s[14:15]
	v_mov_b32_e32 v51, v49
	s_xor_b64 exec, exec, s[14:15]
	s_cbranch_execz .LBB57_26
; %bb.25:                               ;   in Loop: Header=BB57_2 Depth=1
	ds_read_u8 v51, v47 offset:1
	s_waitcnt lgkmcnt(1)
	v_mov_b32_e32 v50, v48
.LBB57_26:                              ;   in Loop: Header=BB57_2 Depth=1
	s_or_b64 exec, exec, s[14:15]
	v_add_u32_e32 v53, 1, v46
	v_add_u32_e32 v52, 1, v47
	v_cndmask_b32_e64 v53, v53, v46, s[12:13]
	v_cndmask_b32_e64 v52, v47, v52, s[12:13]
	v_cmp_ge_i32_e64 s[16:17], v53, v6
	s_waitcnt lgkmcnt(0)
	v_cmp_lt_i16_sdwa s[18:19], sext(v51), sext(v50) src0_sel:BYTE_0 src1_sel:BYTE_0
	v_cmp_lt_i32_e64 s[14:15], v52, v7
	s_or_b64 s[16:17], s[16:17], s[18:19]
	s_and_b64 s[14:15], s[14:15], s[16:17]
	s_xor_b64 s[16:17], s[14:15], -1
                                        ; implicit-def: $vgpr54
	s_and_saveexec_b64 s[18:19], s[16:17]
	s_xor_b64 s[16:17], exec, s[18:19]
; %bb.27:                               ;   in Loop: Header=BB57_2 Depth=1
	ds_read_u8 v54, v53 offset:1
; %bb.28:                               ;   in Loop: Header=BB57_2 Depth=1
	s_or_saveexec_b64 s[16:17], s[16:17]
	v_mov_b32_e32 v55, v51
	s_xor_b64 exec, exec, s[16:17]
	s_cbranch_execz .LBB57_30
; %bb.29:                               ;   in Loop: Header=BB57_2 Depth=1
	ds_read_u8 v55, v52 offset:1
	s_waitcnt lgkmcnt(1)
	v_mov_b32_e32 v54, v50
.LBB57_30:                              ;   in Loop: Header=BB57_2 Depth=1
	s_or_b64 exec, exec, s[16:17]
	v_add_u32_e32 v57, 1, v53
	v_add_u32_e32 v56, 1, v52
	v_cndmask_b32_e64 v57, v57, v53, s[14:15]
	v_cndmask_b32_e64 v56, v52, v56, s[14:15]
	v_cmp_ge_i32_e64 s[18:19], v57, v6
	s_waitcnt lgkmcnt(0)
	v_cmp_lt_i16_sdwa s[20:21], sext(v55), sext(v54) src0_sel:BYTE_0 src1_sel:BYTE_0
	v_cmp_lt_i32_e64 s[16:17], v56, v7
	s_or_b64 s[18:19], s[18:19], s[20:21]
	s_and_b64 s[16:17], s[16:17], s[18:19]
	s_xor_b64 s[18:19], s[16:17], -1
                                        ; implicit-def: $vgpr58
	s_and_saveexec_b64 s[20:21], s[18:19]
	s_xor_b64 s[18:19], exec, s[20:21]
; %bb.31:                               ;   in Loop: Header=BB57_2 Depth=1
	ds_read_u8 v58, v57 offset:1
; %bb.32:                               ;   in Loop: Header=BB57_2 Depth=1
	s_or_saveexec_b64 s[18:19], s[18:19]
	v_mov_b32_e32 v59, v55
	s_xor_b64 exec, exec, s[18:19]
	s_cbranch_execz .LBB57_34
; %bb.33:                               ;   in Loop: Header=BB57_2 Depth=1
	ds_read_u8 v59, v56 offset:1
	s_waitcnt lgkmcnt(1)
	v_mov_b32_e32 v58, v54
.LBB57_34:                              ;   in Loop: Header=BB57_2 Depth=1
	s_or_b64 exec, exec, s[18:19]
	v_add_u32_e32 v60, 1, v57
	v_cndmask_b32_e64 v54, v54, v55, s[16:17]
	v_add_u32_e32 v55, 1, v56
	v_cndmask_b32_e64 v60, v60, v57, s[16:17]
	v_cndmask_b32_e64 v55, v56, v55, s[16:17]
	;; [unrolled: 1-line block ×5, first 2 shown]
	v_cmp_ge_i32_e64 s[14:15], v60, v6
	s_waitcnt lgkmcnt(0)
	v_cmp_lt_i16_sdwa s[16:17], sext(v59), sext(v58) src0_sel:BYTE_0 src1_sel:BYTE_0
	v_cndmask_b32_e64 v48, v48, v49, s[12:13]
	v_cndmask_b32_e64 v46, v46, v47, s[12:13]
	v_cmp_lt_i32_e64 s[12:13], v55, v7
	s_or_b64 s[14:15], s[14:15], s[16:17]
	s_and_b64 s[12:13], s[12:13], s[14:15]
	v_cndmask_b32_e64 v49, v60, v55, s[12:13]
	s_barrier
	ds_write_b8 v1, v42
	ds_write_b8 v1, v44 offset:1
	ds_write_b8 v1, v45 offset:2
	;; [unrolled: 1-line block ×3, first 2 shown]
	s_waitcnt lgkmcnt(0)
	s_barrier
	ds_read_u8 v42, v46
	ds_read_u8 v43, v49
	;; [unrolled: 1-line block ×4, first 2 shown]
	v_cndmask_b32_e64 v47, v58, v59, s[12:13]
	s_waitcnt lgkmcnt(0)
	s_barrier
	ds_write_b8 v1, v48
	ds_write_b8 v1, v50 offset:1
	ds_write_b8 v1, v54 offset:2
	;; [unrolled: 1-line block ×3, first 2 shown]
	v_mov_b32_e32 v47, v26
	s_waitcnt lgkmcnt(0)
	s_barrier
	s_and_saveexec_b64 s[14:15], s[2:3]
	s_cbranch_execz .LBB57_38
; %bb.35:                               ;   in Loop: Header=BB57_2 Depth=1
	s_mov_b64 s[16:17], 0
	v_mov_b32_e32 v47, v26
	v_mov_b32_e32 v46, v27
.LBB57_36:                              ;   Parent Loop BB57_2 Depth=1
                                        ; =>  This Inner Loop Header: Depth=2
	v_sub_u32_e32 v48, v46, v47
	v_lshrrev_b32_e32 v48, 1, v48
	v_add_u32_e32 v48, v48, v47
	v_add_u32_e32 v49, v8, v48
	v_xad_u32 v50, v48, -1, v28
	ds_read_i8 v49, v49
	ds_read_i8 v50, v50
	v_add_u32_e32 v51, 1, v48
	s_waitcnt lgkmcnt(0)
	v_cmp_lt_i16_e64 s[12:13], v50, v49
	v_cndmask_b32_e64 v46, v46, v48, s[12:13]
	v_cndmask_b32_e64 v47, v51, v47, s[12:13]
	v_cmp_ge_i32_e64 s[12:13], v47, v46
	s_or_b64 s[16:17], s[12:13], s[16:17]
	s_andn2_b64 exec, exec, s[16:17]
	s_cbranch_execnz .LBB57_36
; %bb.37:                               ;   in Loop: Header=BB57_2 Depth=1
	s_or_b64 exec, exec, s[16:17]
.LBB57_38:                              ;   in Loop: Header=BB57_2 Depth=1
	s_or_b64 exec, exec, s[14:15]
	v_add_u32_e32 v46, v47, v8
	v_sub_u32_e32 v47, v28, v47
	ds_read_u8 v48, v46
	ds_read_u8 v49, v47
	v_cmp_le_i32_e64 s[14:15], v9, v46
	v_cmp_gt_i32_e64 s[12:13], v10, v47
                                        ; implicit-def: $vgpr50
	s_waitcnt lgkmcnt(1)
	v_bfe_i32 v48, v48, 0, 8
	s_waitcnt lgkmcnt(0)
	v_bfe_i32 v49, v49, 0, 8
	v_cmp_lt_i16_e64 s[16:17], v49, v48
	s_or_b64 s[14:15], s[14:15], s[16:17]
	s_and_b64 s[12:13], s[12:13], s[14:15]
	s_xor_b64 s[14:15], s[12:13], -1
	s_and_saveexec_b64 s[16:17], s[14:15]
	s_xor_b64 s[14:15], exec, s[16:17]
; %bb.39:                               ;   in Loop: Header=BB57_2 Depth=1
	ds_read_u8 v50, v46 offset:1
; %bb.40:                               ;   in Loop: Header=BB57_2 Depth=1
	s_or_saveexec_b64 s[14:15], s[14:15]
	v_mov_b32_e32 v51, v49
	s_xor_b64 exec, exec, s[14:15]
	s_cbranch_execz .LBB57_42
; %bb.41:                               ;   in Loop: Header=BB57_2 Depth=1
	ds_read_u8 v51, v47 offset:1
	s_waitcnt lgkmcnt(1)
	v_mov_b32_e32 v50, v48
.LBB57_42:                              ;   in Loop: Header=BB57_2 Depth=1
	s_or_b64 exec, exec, s[14:15]
	v_add_u32_e32 v53, 1, v46
	v_add_u32_e32 v52, 1, v47
	v_cndmask_b32_e64 v53, v53, v46, s[12:13]
	v_cndmask_b32_e64 v52, v47, v52, s[12:13]
	v_cmp_ge_i32_e64 s[16:17], v53, v9
	s_waitcnt lgkmcnt(0)
	v_cmp_lt_i16_sdwa s[18:19], sext(v51), sext(v50) src0_sel:BYTE_0 src1_sel:BYTE_0
	v_cmp_lt_i32_e64 s[14:15], v52, v10
	s_or_b64 s[16:17], s[16:17], s[18:19]
	s_and_b64 s[14:15], s[14:15], s[16:17]
	s_xor_b64 s[16:17], s[14:15], -1
                                        ; implicit-def: $vgpr54
	s_and_saveexec_b64 s[18:19], s[16:17]
	s_xor_b64 s[16:17], exec, s[18:19]
; %bb.43:                               ;   in Loop: Header=BB57_2 Depth=1
	ds_read_u8 v54, v53 offset:1
; %bb.44:                               ;   in Loop: Header=BB57_2 Depth=1
	s_or_saveexec_b64 s[16:17], s[16:17]
	v_mov_b32_e32 v55, v51
	s_xor_b64 exec, exec, s[16:17]
	s_cbranch_execz .LBB57_46
; %bb.45:                               ;   in Loop: Header=BB57_2 Depth=1
	ds_read_u8 v55, v52 offset:1
	s_waitcnt lgkmcnt(1)
	v_mov_b32_e32 v54, v50
.LBB57_46:                              ;   in Loop: Header=BB57_2 Depth=1
	s_or_b64 exec, exec, s[16:17]
	v_add_u32_e32 v57, 1, v53
	v_add_u32_e32 v56, 1, v52
	v_cndmask_b32_e64 v57, v57, v53, s[14:15]
	v_cndmask_b32_e64 v56, v52, v56, s[14:15]
	v_cmp_ge_i32_e64 s[18:19], v57, v9
	s_waitcnt lgkmcnt(0)
	v_cmp_lt_i16_sdwa s[20:21], sext(v55), sext(v54) src0_sel:BYTE_0 src1_sel:BYTE_0
	v_cmp_lt_i32_e64 s[16:17], v56, v10
	s_or_b64 s[18:19], s[18:19], s[20:21]
	s_and_b64 s[16:17], s[16:17], s[18:19]
	s_xor_b64 s[18:19], s[16:17], -1
                                        ; implicit-def: $vgpr58
	s_and_saveexec_b64 s[20:21], s[18:19]
	s_xor_b64 s[18:19], exec, s[20:21]
; %bb.47:                               ;   in Loop: Header=BB57_2 Depth=1
	ds_read_u8 v58, v57 offset:1
; %bb.48:                               ;   in Loop: Header=BB57_2 Depth=1
	s_or_saveexec_b64 s[18:19], s[18:19]
	v_mov_b32_e32 v59, v55
	s_xor_b64 exec, exec, s[18:19]
	s_cbranch_execz .LBB57_50
; %bb.49:                               ;   in Loop: Header=BB57_2 Depth=1
	ds_read_u8 v59, v56 offset:1
	s_waitcnt lgkmcnt(1)
	v_mov_b32_e32 v58, v54
.LBB57_50:                              ;   in Loop: Header=BB57_2 Depth=1
	s_or_b64 exec, exec, s[18:19]
	v_add_u32_e32 v60, 1, v57
	v_cndmask_b32_e64 v54, v54, v55, s[16:17]
	v_add_u32_e32 v55, 1, v56
	v_cndmask_b32_e64 v60, v60, v57, s[16:17]
	v_cndmask_b32_e64 v55, v56, v55, s[16:17]
	;; [unrolled: 1-line block ×5, first 2 shown]
	v_cmp_ge_i32_e64 s[14:15], v60, v9
	s_waitcnt lgkmcnt(0)
	v_cmp_lt_i16_sdwa s[16:17], sext(v59), sext(v58) src0_sel:BYTE_0 src1_sel:BYTE_0
	v_cndmask_b32_e64 v48, v48, v49, s[12:13]
	v_cndmask_b32_e64 v46, v46, v47, s[12:13]
	v_cmp_lt_i32_e64 s[12:13], v55, v10
	s_or_b64 s[14:15], s[14:15], s[16:17]
	s_and_b64 s[12:13], s[12:13], s[14:15]
	v_cndmask_b32_e64 v49, v60, v55, s[12:13]
	s_barrier
	ds_write_b8 v1, v42
	ds_write_b8 v1, v44 offset:1
	ds_write_b8 v1, v45 offset:2
	;; [unrolled: 1-line block ×3, first 2 shown]
	s_waitcnt lgkmcnt(0)
	s_barrier
	ds_read_u8 v42, v46
	ds_read_u8 v43, v49
	;; [unrolled: 1-line block ×4, first 2 shown]
	v_cndmask_b32_e64 v47, v58, v59, s[12:13]
	s_waitcnt lgkmcnt(0)
	s_barrier
	ds_write_b8 v1, v48
	ds_write_b8 v1, v50 offset:1
	ds_write_b8 v1, v54 offset:2
	;; [unrolled: 1-line block ×3, first 2 shown]
	v_mov_b32_e32 v47, v29
	s_waitcnt lgkmcnt(0)
	s_barrier
	s_and_saveexec_b64 s[14:15], s[4:5]
	s_cbranch_execz .LBB57_54
; %bb.51:                               ;   in Loop: Header=BB57_2 Depth=1
	s_mov_b64 s[16:17], 0
	v_mov_b32_e32 v47, v29
	v_mov_b32_e32 v46, v30
.LBB57_52:                              ;   Parent Loop BB57_2 Depth=1
                                        ; =>  This Inner Loop Header: Depth=2
	v_sub_u32_e32 v48, v46, v47
	v_lshrrev_b32_e32 v48, 1, v48
	v_add_u32_e32 v48, v48, v47
	v_add_u32_e32 v49, v11, v48
	v_xad_u32 v50, v48, -1, v31
	ds_read_i8 v49, v49
	ds_read_i8 v50, v50
	v_add_u32_e32 v51, 1, v48
	s_waitcnt lgkmcnt(0)
	v_cmp_lt_i16_e64 s[12:13], v50, v49
	v_cndmask_b32_e64 v46, v46, v48, s[12:13]
	v_cndmask_b32_e64 v47, v51, v47, s[12:13]
	v_cmp_ge_i32_e64 s[12:13], v47, v46
	s_or_b64 s[16:17], s[12:13], s[16:17]
	s_andn2_b64 exec, exec, s[16:17]
	s_cbranch_execnz .LBB57_52
; %bb.53:                               ;   in Loop: Header=BB57_2 Depth=1
	s_or_b64 exec, exec, s[16:17]
.LBB57_54:                              ;   in Loop: Header=BB57_2 Depth=1
	s_or_b64 exec, exec, s[14:15]
	v_add_u32_e32 v46, v47, v11
	v_sub_u32_e32 v47, v31, v47
	ds_read_u8 v48, v46
	ds_read_u8 v49, v47
	v_cmp_le_i32_e64 s[14:15], v12, v46
	v_cmp_gt_i32_e64 s[12:13], v13, v47
                                        ; implicit-def: $vgpr50
	s_waitcnt lgkmcnt(1)
	v_bfe_i32 v48, v48, 0, 8
	s_waitcnt lgkmcnt(0)
	v_bfe_i32 v49, v49, 0, 8
	v_cmp_lt_i16_e64 s[16:17], v49, v48
	s_or_b64 s[14:15], s[14:15], s[16:17]
	s_and_b64 s[12:13], s[12:13], s[14:15]
	s_xor_b64 s[14:15], s[12:13], -1
	s_and_saveexec_b64 s[16:17], s[14:15]
	s_xor_b64 s[14:15], exec, s[16:17]
; %bb.55:                               ;   in Loop: Header=BB57_2 Depth=1
	ds_read_u8 v50, v46 offset:1
; %bb.56:                               ;   in Loop: Header=BB57_2 Depth=1
	s_or_saveexec_b64 s[14:15], s[14:15]
	v_mov_b32_e32 v51, v49
	s_xor_b64 exec, exec, s[14:15]
	s_cbranch_execz .LBB57_58
; %bb.57:                               ;   in Loop: Header=BB57_2 Depth=1
	ds_read_u8 v51, v47 offset:1
	s_waitcnt lgkmcnt(1)
	v_mov_b32_e32 v50, v48
.LBB57_58:                              ;   in Loop: Header=BB57_2 Depth=1
	s_or_b64 exec, exec, s[14:15]
	v_add_u32_e32 v53, 1, v46
	v_add_u32_e32 v52, 1, v47
	v_cndmask_b32_e64 v53, v53, v46, s[12:13]
	v_cndmask_b32_e64 v52, v47, v52, s[12:13]
	v_cmp_ge_i32_e64 s[16:17], v53, v12
	s_waitcnt lgkmcnt(0)
	v_cmp_lt_i16_sdwa s[18:19], sext(v51), sext(v50) src0_sel:BYTE_0 src1_sel:BYTE_0
	v_cmp_lt_i32_e64 s[14:15], v52, v13
	s_or_b64 s[16:17], s[16:17], s[18:19]
	s_and_b64 s[14:15], s[14:15], s[16:17]
	s_xor_b64 s[16:17], s[14:15], -1
                                        ; implicit-def: $vgpr54
	s_and_saveexec_b64 s[18:19], s[16:17]
	s_xor_b64 s[16:17], exec, s[18:19]
; %bb.59:                               ;   in Loop: Header=BB57_2 Depth=1
	ds_read_u8 v54, v53 offset:1
; %bb.60:                               ;   in Loop: Header=BB57_2 Depth=1
	s_or_saveexec_b64 s[16:17], s[16:17]
	v_mov_b32_e32 v55, v51
	s_xor_b64 exec, exec, s[16:17]
	s_cbranch_execz .LBB57_62
; %bb.61:                               ;   in Loop: Header=BB57_2 Depth=1
	ds_read_u8 v55, v52 offset:1
	s_waitcnt lgkmcnt(1)
	v_mov_b32_e32 v54, v50
.LBB57_62:                              ;   in Loop: Header=BB57_2 Depth=1
	s_or_b64 exec, exec, s[16:17]
	v_add_u32_e32 v57, 1, v53
	v_add_u32_e32 v56, 1, v52
	v_cndmask_b32_e64 v57, v57, v53, s[14:15]
	v_cndmask_b32_e64 v56, v52, v56, s[14:15]
	v_cmp_ge_i32_e64 s[18:19], v57, v12
	s_waitcnt lgkmcnt(0)
	v_cmp_lt_i16_sdwa s[20:21], sext(v55), sext(v54) src0_sel:BYTE_0 src1_sel:BYTE_0
	v_cmp_lt_i32_e64 s[16:17], v56, v13
	s_or_b64 s[18:19], s[18:19], s[20:21]
	s_and_b64 s[16:17], s[16:17], s[18:19]
	s_xor_b64 s[18:19], s[16:17], -1
                                        ; implicit-def: $vgpr58
	s_and_saveexec_b64 s[20:21], s[18:19]
	s_xor_b64 s[18:19], exec, s[20:21]
; %bb.63:                               ;   in Loop: Header=BB57_2 Depth=1
	ds_read_u8 v58, v57 offset:1
; %bb.64:                               ;   in Loop: Header=BB57_2 Depth=1
	s_or_saveexec_b64 s[18:19], s[18:19]
	v_mov_b32_e32 v59, v55
	s_xor_b64 exec, exec, s[18:19]
	s_cbranch_execz .LBB57_66
; %bb.65:                               ;   in Loop: Header=BB57_2 Depth=1
	ds_read_u8 v59, v56 offset:1
	s_waitcnt lgkmcnt(1)
	v_mov_b32_e32 v58, v54
.LBB57_66:                              ;   in Loop: Header=BB57_2 Depth=1
	s_or_b64 exec, exec, s[18:19]
	v_add_u32_e32 v60, 1, v57
	v_cndmask_b32_e64 v54, v54, v55, s[16:17]
	v_add_u32_e32 v55, 1, v56
	v_cndmask_b32_e64 v60, v60, v57, s[16:17]
	v_cndmask_b32_e64 v55, v56, v55, s[16:17]
	;; [unrolled: 1-line block ×5, first 2 shown]
	v_cmp_ge_i32_e64 s[14:15], v60, v12
	s_waitcnt lgkmcnt(0)
	v_cmp_lt_i16_sdwa s[16:17], sext(v59), sext(v58) src0_sel:BYTE_0 src1_sel:BYTE_0
	v_cndmask_b32_e64 v48, v48, v49, s[12:13]
	v_cndmask_b32_e64 v46, v46, v47, s[12:13]
	v_cmp_lt_i32_e64 s[12:13], v55, v13
	s_or_b64 s[14:15], s[14:15], s[16:17]
	s_and_b64 s[12:13], s[12:13], s[14:15]
	v_cndmask_b32_e64 v49, v60, v55, s[12:13]
	s_barrier
	ds_write_b8 v1, v42
	ds_write_b8 v1, v44 offset:1
	ds_write_b8 v1, v45 offset:2
	;; [unrolled: 1-line block ×3, first 2 shown]
	s_waitcnt lgkmcnt(0)
	s_barrier
	ds_read_u8 v42, v46
	ds_read_u8 v43, v49
	;; [unrolled: 1-line block ×4, first 2 shown]
	v_cndmask_b32_e64 v47, v58, v59, s[12:13]
	s_waitcnt lgkmcnt(0)
	s_barrier
	ds_write_b8 v1, v48
	ds_write_b8 v1, v50 offset:1
	ds_write_b8 v1, v54 offset:2
	;; [unrolled: 1-line block ×3, first 2 shown]
	v_mov_b32_e32 v47, v32
	s_waitcnt lgkmcnt(0)
	s_barrier
	s_and_saveexec_b64 s[14:15], s[6:7]
	s_cbranch_execz .LBB57_70
; %bb.67:                               ;   in Loop: Header=BB57_2 Depth=1
	s_mov_b64 s[16:17], 0
	v_mov_b32_e32 v47, v32
	v_mov_b32_e32 v46, v33
.LBB57_68:                              ;   Parent Loop BB57_2 Depth=1
                                        ; =>  This Inner Loop Header: Depth=2
	v_sub_u32_e32 v48, v46, v47
	v_lshrrev_b32_e32 v48, 1, v48
	v_add_u32_e32 v48, v48, v47
	v_add_u32_e32 v49, v14, v48
	v_xad_u32 v50, v48, -1, v34
	ds_read_i8 v49, v49
	ds_read_i8 v50, v50
	v_add_u32_e32 v51, 1, v48
	s_waitcnt lgkmcnt(0)
	v_cmp_lt_i16_e64 s[12:13], v50, v49
	v_cndmask_b32_e64 v46, v46, v48, s[12:13]
	v_cndmask_b32_e64 v47, v51, v47, s[12:13]
	v_cmp_ge_i32_e64 s[12:13], v47, v46
	s_or_b64 s[16:17], s[12:13], s[16:17]
	s_andn2_b64 exec, exec, s[16:17]
	s_cbranch_execnz .LBB57_68
; %bb.69:                               ;   in Loop: Header=BB57_2 Depth=1
	s_or_b64 exec, exec, s[16:17]
.LBB57_70:                              ;   in Loop: Header=BB57_2 Depth=1
	s_or_b64 exec, exec, s[14:15]
	v_add_u32_e32 v46, v47, v14
	v_sub_u32_e32 v47, v34, v47
	ds_read_u8 v48, v46
	ds_read_u8 v49, v47
	v_cmp_le_i32_e64 s[14:15], v15, v46
	v_cmp_gt_i32_e64 s[12:13], v16, v47
                                        ; implicit-def: $vgpr50
	s_waitcnt lgkmcnt(1)
	v_bfe_i32 v48, v48, 0, 8
	s_waitcnt lgkmcnt(0)
	v_bfe_i32 v49, v49, 0, 8
	v_cmp_lt_i16_e64 s[16:17], v49, v48
	s_or_b64 s[14:15], s[14:15], s[16:17]
	s_and_b64 s[12:13], s[12:13], s[14:15]
	s_xor_b64 s[14:15], s[12:13], -1
	s_and_saveexec_b64 s[16:17], s[14:15]
	s_xor_b64 s[14:15], exec, s[16:17]
; %bb.71:                               ;   in Loop: Header=BB57_2 Depth=1
	ds_read_u8 v50, v46 offset:1
; %bb.72:                               ;   in Loop: Header=BB57_2 Depth=1
	s_or_saveexec_b64 s[14:15], s[14:15]
	v_mov_b32_e32 v51, v49
	s_xor_b64 exec, exec, s[14:15]
	s_cbranch_execz .LBB57_74
; %bb.73:                               ;   in Loop: Header=BB57_2 Depth=1
	ds_read_u8 v51, v47 offset:1
	s_waitcnt lgkmcnt(1)
	v_mov_b32_e32 v50, v48
.LBB57_74:                              ;   in Loop: Header=BB57_2 Depth=1
	s_or_b64 exec, exec, s[14:15]
	v_add_u32_e32 v53, 1, v46
	v_add_u32_e32 v52, 1, v47
	v_cndmask_b32_e64 v53, v53, v46, s[12:13]
	v_cndmask_b32_e64 v52, v47, v52, s[12:13]
	v_cmp_ge_i32_e64 s[16:17], v53, v15
	s_waitcnt lgkmcnt(0)
	v_cmp_lt_i16_sdwa s[18:19], sext(v51), sext(v50) src0_sel:BYTE_0 src1_sel:BYTE_0
	v_cmp_lt_i32_e64 s[14:15], v52, v16
	s_or_b64 s[16:17], s[16:17], s[18:19]
	s_and_b64 s[14:15], s[14:15], s[16:17]
	s_xor_b64 s[16:17], s[14:15], -1
                                        ; implicit-def: $vgpr54
	s_and_saveexec_b64 s[18:19], s[16:17]
	s_xor_b64 s[16:17], exec, s[18:19]
; %bb.75:                               ;   in Loop: Header=BB57_2 Depth=1
	ds_read_u8 v54, v53 offset:1
; %bb.76:                               ;   in Loop: Header=BB57_2 Depth=1
	s_or_saveexec_b64 s[16:17], s[16:17]
	v_mov_b32_e32 v55, v51
	s_xor_b64 exec, exec, s[16:17]
	s_cbranch_execz .LBB57_78
; %bb.77:                               ;   in Loop: Header=BB57_2 Depth=1
	ds_read_u8 v55, v52 offset:1
	s_waitcnt lgkmcnt(1)
	v_mov_b32_e32 v54, v50
.LBB57_78:                              ;   in Loop: Header=BB57_2 Depth=1
	s_or_b64 exec, exec, s[16:17]
	v_add_u32_e32 v57, 1, v53
	v_add_u32_e32 v56, 1, v52
	v_cndmask_b32_e64 v57, v57, v53, s[14:15]
	v_cndmask_b32_e64 v56, v52, v56, s[14:15]
	v_cmp_ge_i32_e64 s[18:19], v57, v15
	s_waitcnt lgkmcnt(0)
	v_cmp_lt_i16_sdwa s[20:21], sext(v55), sext(v54) src0_sel:BYTE_0 src1_sel:BYTE_0
	v_cmp_lt_i32_e64 s[16:17], v56, v16
	s_or_b64 s[18:19], s[18:19], s[20:21]
	s_and_b64 s[16:17], s[16:17], s[18:19]
	s_xor_b64 s[18:19], s[16:17], -1
                                        ; implicit-def: $vgpr58
	s_and_saveexec_b64 s[20:21], s[18:19]
	s_xor_b64 s[18:19], exec, s[20:21]
; %bb.79:                               ;   in Loop: Header=BB57_2 Depth=1
	ds_read_u8 v58, v57 offset:1
; %bb.80:                               ;   in Loop: Header=BB57_2 Depth=1
	s_or_saveexec_b64 s[18:19], s[18:19]
	v_mov_b32_e32 v59, v55
	s_xor_b64 exec, exec, s[18:19]
	s_cbranch_execz .LBB57_82
; %bb.81:                               ;   in Loop: Header=BB57_2 Depth=1
	ds_read_u8 v59, v56 offset:1
	s_waitcnt lgkmcnt(1)
	v_mov_b32_e32 v58, v54
.LBB57_82:                              ;   in Loop: Header=BB57_2 Depth=1
	s_or_b64 exec, exec, s[18:19]
	v_add_u32_e32 v60, 1, v57
	v_cndmask_b32_e64 v54, v54, v55, s[16:17]
	v_add_u32_e32 v55, 1, v56
	v_cndmask_b32_e64 v60, v60, v57, s[16:17]
	v_cndmask_b32_e64 v55, v56, v55, s[16:17]
	;; [unrolled: 1-line block ×5, first 2 shown]
	v_cmp_ge_i32_e64 s[14:15], v60, v15
	s_waitcnt lgkmcnt(0)
	v_cmp_lt_i16_sdwa s[16:17], sext(v59), sext(v58) src0_sel:BYTE_0 src1_sel:BYTE_0
	v_cndmask_b32_e64 v48, v48, v49, s[12:13]
	v_cndmask_b32_e64 v46, v46, v47, s[12:13]
	v_cmp_lt_i32_e64 s[12:13], v55, v16
	s_or_b64 s[14:15], s[14:15], s[16:17]
	s_and_b64 s[12:13], s[12:13], s[14:15]
	v_cndmask_b32_e64 v49, v60, v55, s[12:13]
	s_barrier
	ds_write_b8 v1, v42
	ds_write_b8 v1, v44 offset:1
	ds_write_b8 v1, v45 offset:2
	;; [unrolled: 1-line block ×3, first 2 shown]
	s_waitcnt lgkmcnt(0)
	s_barrier
	ds_read_u8 v42, v46
	ds_read_u8 v43, v49
	;; [unrolled: 1-line block ×4, first 2 shown]
	v_cndmask_b32_e64 v47, v58, v59, s[12:13]
	s_waitcnt lgkmcnt(0)
	s_barrier
	ds_write_b8 v1, v48
	ds_write_b8 v1, v50 offset:1
	ds_write_b8 v1, v54 offset:2
	;; [unrolled: 1-line block ×3, first 2 shown]
	v_mov_b32_e32 v47, v35
	s_waitcnt lgkmcnt(0)
	s_barrier
	s_and_saveexec_b64 s[14:15], s[8:9]
	s_cbranch_execz .LBB57_86
; %bb.83:                               ;   in Loop: Header=BB57_2 Depth=1
	s_mov_b64 s[16:17], 0
	v_mov_b32_e32 v47, v35
	v_mov_b32_e32 v46, v36
.LBB57_84:                              ;   Parent Loop BB57_2 Depth=1
                                        ; =>  This Inner Loop Header: Depth=2
	v_sub_u32_e32 v48, v46, v47
	v_lshrrev_b32_e32 v48, 1, v48
	v_add_u32_e32 v48, v48, v47
	v_add_u32_e32 v49, v17, v48
	v_xad_u32 v50, v48, -1, v37
	ds_read_i8 v49, v49
	ds_read_i8 v50, v50
	v_add_u32_e32 v51, 1, v48
	s_waitcnt lgkmcnt(0)
	v_cmp_lt_i16_e64 s[12:13], v50, v49
	v_cndmask_b32_e64 v46, v46, v48, s[12:13]
	v_cndmask_b32_e64 v47, v51, v47, s[12:13]
	v_cmp_ge_i32_e64 s[12:13], v47, v46
	s_or_b64 s[16:17], s[12:13], s[16:17]
	s_andn2_b64 exec, exec, s[16:17]
	s_cbranch_execnz .LBB57_84
; %bb.85:                               ;   in Loop: Header=BB57_2 Depth=1
	s_or_b64 exec, exec, s[16:17]
.LBB57_86:                              ;   in Loop: Header=BB57_2 Depth=1
	s_or_b64 exec, exec, s[14:15]
	v_add_u32_e32 v46, v47, v17
	v_sub_u32_e32 v47, v37, v47
	ds_read_u8 v48, v46
	ds_read_u8 v49, v47
	v_cmp_le_i32_e64 s[14:15], v18, v46
	v_cmp_gt_i32_e64 s[12:13], v19, v47
                                        ; implicit-def: $vgpr50
	s_waitcnt lgkmcnt(1)
	v_bfe_i32 v48, v48, 0, 8
	s_waitcnt lgkmcnt(0)
	v_bfe_i32 v49, v49, 0, 8
	v_cmp_lt_i16_e64 s[16:17], v49, v48
	s_or_b64 s[14:15], s[14:15], s[16:17]
	s_and_b64 s[12:13], s[12:13], s[14:15]
	s_xor_b64 s[14:15], s[12:13], -1
	s_and_saveexec_b64 s[16:17], s[14:15]
	s_xor_b64 s[14:15], exec, s[16:17]
; %bb.87:                               ;   in Loop: Header=BB57_2 Depth=1
	ds_read_u8 v50, v46 offset:1
; %bb.88:                               ;   in Loop: Header=BB57_2 Depth=1
	s_or_saveexec_b64 s[14:15], s[14:15]
	v_mov_b32_e32 v51, v49
	s_xor_b64 exec, exec, s[14:15]
	s_cbranch_execz .LBB57_90
; %bb.89:                               ;   in Loop: Header=BB57_2 Depth=1
	ds_read_u8 v51, v47 offset:1
	s_waitcnt lgkmcnt(1)
	v_mov_b32_e32 v50, v48
.LBB57_90:                              ;   in Loop: Header=BB57_2 Depth=1
	s_or_b64 exec, exec, s[14:15]
	v_add_u32_e32 v53, 1, v46
	v_add_u32_e32 v52, 1, v47
	v_cndmask_b32_e64 v53, v53, v46, s[12:13]
	v_cndmask_b32_e64 v52, v47, v52, s[12:13]
	v_cmp_ge_i32_e64 s[16:17], v53, v18
	s_waitcnt lgkmcnt(0)
	v_cmp_lt_i16_sdwa s[18:19], sext(v51), sext(v50) src0_sel:BYTE_0 src1_sel:BYTE_0
	v_cmp_lt_i32_e64 s[14:15], v52, v19
	s_or_b64 s[16:17], s[16:17], s[18:19]
	s_and_b64 s[14:15], s[14:15], s[16:17]
	s_xor_b64 s[16:17], s[14:15], -1
                                        ; implicit-def: $vgpr54
	s_and_saveexec_b64 s[18:19], s[16:17]
	s_xor_b64 s[16:17], exec, s[18:19]
; %bb.91:                               ;   in Loop: Header=BB57_2 Depth=1
	ds_read_u8 v54, v53 offset:1
; %bb.92:                               ;   in Loop: Header=BB57_2 Depth=1
	s_or_saveexec_b64 s[16:17], s[16:17]
	v_mov_b32_e32 v55, v51
	s_xor_b64 exec, exec, s[16:17]
	s_cbranch_execz .LBB57_94
; %bb.93:                               ;   in Loop: Header=BB57_2 Depth=1
	ds_read_u8 v55, v52 offset:1
	s_waitcnt lgkmcnt(1)
	v_mov_b32_e32 v54, v50
.LBB57_94:                              ;   in Loop: Header=BB57_2 Depth=1
	s_or_b64 exec, exec, s[16:17]
	v_add_u32_e32 v57, 1, v53
	v_add_u32_e32 v56, 1, v52
	v_cndmask_b32_e64 v57, v57, v53, s[14:15]
	v_cndmask_b32_e64 v56, v52, v56, s[14:15]
	v_cmp_ge_i32_e64 s[18:19], v57, v18
	s_waitcnt lgkmcnt(0)
	v_cmp_lt_i16_sdwa s[20:21], sext(v55), sext(v54) src0_sel:BYTE_0 src1_sel:BYTE_0
	v_cmp_lt_i32_e64 s[16:17], v56, v19
	s_or_b64 s[18:19], s[18:19], s[20:21]
	s_and_b64 s[16:17], s[16:17], s[18:19]
	s_xor_b64 s[18:19], s[16:17], -1
                                        ; implicit-def: $vgpr58
	s_and_saveexec_b64 s[20:21], s[18:19]
	s_xor_b64 s[18:19], exec, s[20:21]
; %bb.95:                               ;   in Loop: Header=BB57_2 Depth=1
	ds_read_u8 v58, v57 offset:1
; %bb.96:                               ;   in Loop: Header=BB57_2 Depth=1
	s_or_saveexec_b64 s[18:19], s[18:19]
	v_mov_b32_e32 v59, v55
	s_xor_b64 exec, exec, s[18:19]
	s_cbranch_execz .LBB57_98
; %bb.97:                               ;   in Loop: Header=BB57_2 Depth=1
	ds_read_u8 v59, v56 offset:1
	s_waitcnt lgkmcnt(1)
	v_mov_b32_e32 v58, v54
.LBB57_98:                              ;   in Loop: Header=BB57_2 Depth=1
	s_or_b64 exec, exec, s[18:19]
	v_add_u32_e32 v60, 1, v57
	v_cndmask_b32_e64 v54, v54, v55, s[16:17]
	v_add_u32_e32 v55, 1, v56
	v_cndmask_b32_e64 v60, v60, v57, s[16:17]
	v_cndmask_b32_e64 v55, v56, v55, s[16:17]
	;; [unrolled: 1-line block ×5, first 2 shown]
	v_cmp_ge_i32_e64 s[14:15], v60, v18
	s_waitcnt lgkmcnt(0)
	v_cmp_lt_i16_sdwa s[16:17], sext(v59), sext(v58) src0_sel:BYTE_0 src1_sel:BYTE_0
	v_cndmask_b32_e64 v48, v48, v49, s[12:13]
	v_cndmask_b32_e64 v46, v46, v47, s[12:13]
	v_cmp_lt_i32_e64 s[12:13], v55, v19
	s_or_b64 s[14:15], s[14:15], s[16:17]
	s_and_b64 s[12:13], s[12:13], s[14:15]
	v_cndmask_b32_e64 v49, v60, v55, s[12:13]
	s_barrier
	ds_write_b8 v1, v42
	ds_write_b8 v1, v44 offset:1
	ds_write_b8 v1, v45 offset:2
	;; [unrolled: 1-line block ×3, first 2 shown]
	s_waitcnt lgkmcnt(0)
	s_barrier
	ds_read_u8 v42, v46
	ds_read_u8 v43, v49
	;; [unrolled: 1-line block ×4, first 2 shown]
	v_mov_b32_e32 v46, v39
	v_cndmask_b32_e64 v47, v58, v59, s[12:13]
	s_waitcnt lgkmcnt(0)
	s_barrier
	ds_write_b8 v1, v48
	ds_write_b8 v1, v50 offset:1
	ds_write_b8 v1, v54 offset:2
	;; [unrolled: 1-line block ×3, first 2 shown]
	s_waitcnt lgkmcnt(0)
	s_barrier
	s_and_saveexec_b64 s[14:15], s[10:11]
	s_cbranch_execz .LBB57_102
; %bb.99:                               ;   in Loop: Header=BB57_2 Depth=1
	s_mov_b64 s[16:17], 0
	v_mov_b32_e32 v46, v39
	v_mov_b32_e32 v47, v40
.LBB57_100:                             ;   Parent Loop BB57_2 Depth=1
                                        ; =>  This Inner Loop Header: Depth=2
	v_sub_u32_e32 v48, v47, v46
	v_lshrrev_b32_e32 v48, 1, v48
	v_add_u32_e32 v48, v48, v46
	v_xad_u32 v49, v48, -1, v41
	ds_read_i8 v50, v48
	ds_read_i8 v49, v49
	v_add_u32_e32 v51, 1, v48
	s_waitcnt lgkmcnt(0)
	v_cmp_lt_i16_e64 s[12:13], v49, v50
	v_cndmask_b32_e64 v47, v47, v48, s[12:13]
	v_cndmask_b32_e64 v46, v51, v46, s[12:13]
	v_cmp_ge_i32_e64 s[12:13], v46, v47
	s_or_b64 s[16:17], s[12:13], s[16:17]
	s_andn2_b64 exec, exec, s[16:17]
	s_cbranch_execnz .LBB57_100
; %bb.101:                              ;   in Loop: Header=BB57_2 Depth=1
	s_or_b64 exec, exec, s[16:17]
.LBB57_102:                             ;   in Loop: Header=BB57_2 Depth=1
	s_or_b64 exec, exec, s[14:15]
	v_sub_u32_e32 v49, v41, v46
	ds_read_u8 v47, v46
	ds_read_u8 v48, v49
	v_cmp_le_i32_e64 s[14:15], v38, v46
	v_cmp_gt_i32_e64 s[12:13], s43, v49
	s_waitcnt lgkmcnt(1)
	v_bfe_i32 v47, v47, 0, 8
	s_waitcnt lgkmcnt(0)
	v_bfe_i32 v51, v48, 0, 8
	v_cmp_lt_i16_e64 s[16:17], v51, v47
	s_or_b64 s[14:15], s[14:15], s[16:17]
	s_and_b64 s[12:13], s[12:13], s[14:15]
	s_xor_b64 s[14:15], s[12:13], -1
                                        ; implicit-def: $vgpr48
	s_and_saveexec_b64 s[16:17], s[14:15]
	s_xor_b64 s[14:15], exec, s[16:17]
; %bb.103:                              ;   in Loop: Header=BB57_2 Depth=1
	ds_read_u8 v48, v46 offset:1
; %bb.104:                              ;   in Loop: Header=BB57_2 Depth=1
	s_or_saveexec_b64 s[14:15], s[14:15]
	v_mov_b32_e32 v50, v51
	s_xor_b64 exec, exec, s[14:15]
	s_cbranch_execz .LBB57_106
; %bb.105:                              ;   in Loop: Header=BB57_2 Depth=1
	ds_read_u8 v50, v49 offset:1
	s_waitcnt lgkmcnt(1)
	v_mov_b32_e32 v48, v47
.LBB57_106:                             ;   in Loop: Header=BB57_2 Depth=1
	s_or_b64 exec, exec, s[14:15]
	v_add_u32_e32 v53, 1, v46
	v_add_u32_e32 v52, 1, v49
	v_cndmask_b32_e64 v55, v53, v46, s[12:13]
	v_cndmask_b32_e64 v54, v49, v52, s[12:13]
	v_cmp_ge_i32_e64 s[16:17], v55, v38
	s_waitcnt lgkmcnt(0)
	v_cmp_lt_i16_sdwa s[18:19], sext(v50), sext(v48) src0_sel:BYTE_0 src1_sel:BYTE_0
	v_cmp_gt_i32_e64 s[14:15], s43, v54
	s_or_b64 s[16:17], s[16:17], s[18:19]
	s_and_b64 s[14:15], s[14:15], s[16:17]
	s_xor_b64 s[16:17], s[14:15], -1
                                        ; implicit-def: $vgpr52
	s_and_saveexec_b64 s[18:19], s[16:17]
	s_xor_b64 s[16:17], exec, s[18:19]
; %bb.107:                              ;   in Loop: Header=BB57_2 Depth=1
	ds_read_u8 v52, v55 offset:1
; %bb.108:                              ;   in Loop: Header=BB57_2 Depth=1
	s_or_saveexec_b64 s[16:17], s[16:17]
	v_mov_b32_e32 v53, v50
	s_xor_b64 exec, exec, s[16:17]
	s_cbranch_execz .LBB57_110
; %bb.109:                              ;   in Loop: Header=BB57_2 Depth=1
	ds_read_u8 v53, v54 offset:1
	s_waitcnt lgkmcnt(1)
	v_mov_b32_e32 v52, v48
.LBB57_110:                             ;   in Loop: Header=BB57_2 Depth=1
	s_or_b64 exec, exec, s[16:17]
	v_add_u32_e32 v57, 1, v55
	v_add_u32_e32 v56, 1, v54
	v_cndmask_b32_e64 v60, v57, v55, s[14:15]
	v_cndmask_b32_e64 v56, v54, v56, s[14:15]
	v_cmp_ge_i32_e64 s[18:19], v60, v38
	s_waitcnt lgkmcnt(0)
	v_cmp_lt_i16_sdwa s[20:21], sext(v53), sext(v52) src0_sel:BYTE_0 src1_sel:BYTE_0
	v_cmp_gt_i32_e64 s[16:17], s43, v56
	s_or_b64 s[18:19], s[18:19], s[20:21]
	s_and_b64 s[16:17], s[16:17], s[18:19]
	s_xor_b64 s[18:19], s[16:17], -1
                                        ; implicit-def: $vgpr59
                                        ; implicit-def: $vgpr58
	s_and_saveexec_b64 s[20:21], s[18:19]
	s_xor_b64 s[18:19], exec, s[20:21]
; %bb.111:                              ;   in Loop: Header=BB57_2 Depth=1
	ds_read_u8 v59, v60 offset:1
	v_add_u32_e32 v58, 1, v60
; %bb.112:                              ;   in Loop: Header=BB57_2 Depth=1
	s_or_saveexec_b64 s[18:19], s[18:19]
	v_mov_b32_e32 v57, v60
	v_mov_b32_e32 v61, v53
	s_xor_b64 exec, exec, s[18:19]
	s_cbranch_execz .LBB57_1
; %bb.113:                              ;   in Loop: Header=BB57_2 Depth=1
	ds_read_u8 v61, v56 offset:1
	s_waitcnt lgkmcnt(1)
	v_add_u32_e32 v59, 1, v56
	v_mov_b32_e32 v57, v56
	v_mov_b32_e32 v58, v60
	;; [unrolled: 1-line block ×4, first 2 shown]
	s_branch .LBB57_1
.LBB57_114:
	s_add_u32 s0, s38, s33
	s_addc_u32 s1, s39, 0
	v_mov_b32_e32 v1, s1
	v_add_co_u32_e32 v0, vcc, s0, v0
	s_waitcnt lgkmcnt(3)
	v_add_u16_e32 v2, v47, v42
	v_addc_co_u32_e32 v1, vcc, 0, v1, vcc
	s_waitcnt lgkmcnt(0)
	v_add_u16_e32 v3, v48, v43
	v_add_u16_e32 v4, v49, v44
	;; [unrolled: 1-line block ×3, first 2 shown]
	global_store_byte v[0:1], v2, off
	global_store_byte v[0:1], v3, off offset:128
	global_store_byte v[0:1], v4, off offset:256
	;; [unrolled: 1-line block ×3, first 2 shown]
	s_endpgm
	.section	.rodata,"a",@progbits
	.p2align	6, 0x0
	.amdhsa_kernel _Z17sort_pairs_kernelIaLj128ELj4EN10test_utils4lessELj10EEvPKT_PS2_T2_
		.amdhsa_group_segment_fixed_size 513
		.amdhsa_private_segment_fixed_size 0
		.amdhsa_kernarg_size 20
		.amdhsa_user_sgpr_count 6
		.amdhsa_user_sgpr_private_segment_buffer 1
		.amdhsa_user_sgpr_dispatch_ptr 0
		.amdhsa_user_sgpr_queue_ptr 0
		.amdhsa_user_sgpr_kernarg_segment_ptr 1
		.amdhsa_user_sgpr_dispatch_id 0
		.amdhsa_user_sgpr_flat_scratch_init 0
		.amdhsa_user_sgpr_private_segment_size 0
		.amdhsa_uses_dynamic_stack 0
		.amdhsa_system_sgpr_private_segment_wavefront_offset 0
		.amdhsa_system_sgpr_workgroup_id_x 1
		.amdhsa_system_sgpr_workgroup_id_y 0
		.amdhsa_system_sgpr_workgroup_id_z 0
		.amdhsa_system_sgpr_workgroup_info 0
		.amdhsa_system_vgpr_workitem_id 0
		.amdhsa_next_free_vgpr 62
		.amdhsa_next_free_sgpr 46
		.amdhsa_reserve_vcc 1
		.amdhsa_reserve_flat_scratch 0
		.amdhsa_float_round_mode_32 0
		.amdhsa_float_round_mode_16_64 0
		.amdhsa_float_denorm_mode_32 3
		.amdhsa_float_denorm_mode_16_64 3
		.amdhsa_dx10_clamp 1
		.amdhsa_ieee_mode 1
		.amdhsa_fp16_overflow 0
		.amdhsa_exception_fp_ieee_invalid_op 0
		.amdhsa_exception_fp_denorm_src 0
		.amdhsa_exception_fp_ieee_div_zero 0
		.amdhsa_exception_fp_ieee_overflow 0
		.amdhsa_exception_fp_ieee_underflow 0
		.amdhsa_exception_fp_ieee_inexact 0
		.amdhsa_exception_int_div_zero 0
	.end_amdhsa_kernel
	.section	.text._Z17sort_pairs_kernelIaLj128ELj4EN10test_utils4lessELj10EEvPKT_PS2_T2_,"axG",@progbits,_Z17sort_pairs_kernelIaLj128ELj4EN10test_utils4lessELj10EEvPKT_PS2_T2_,comdat
.Lfunc_end57:
	.size	_Z17sort_pairs_kernelIaLj128ELj4EN10test_utils4lessELj10EEvPKT_PS2_T2_, .Lfunc_end57-_Z17sort_pairs_kernelIaLj128ELj4EN10test_utils4lessELj10EEvPKT_PS2_T2_
                                        ; -- End function
	.set _Z17sort_pairs_kernelIaLj128ELj4EN10test_utils4lessELj10EEvPKT_PS2_T2_.num_vgpr, 62
	.set _Z17sort_pairs_kernelIaLj128ELj4EN10test_utils4lessELj10EEvPKT_PS2_T2_.num_agpr, 0
	.set _Z17sort_pairs_kernelIaLj128ELj4EN10test_utils4lessELj10EEvPKT_PS2_T2_.numbered_sgpr, 46
	.set _Z17sort_pairs_kernelIaLj128ELj4EN10test_utils4lessELj10EEvPKT_PS2_T2_.num_named_barrier, 0
	.set _Z17sort_pairs_kernelIaLj128ELj4EN10test_utils4lessELj10EEvPKT_PS2_T2_.private_seg_size, 0
	.set _Z17sort_pairs_kernelIaLj128ELj4EN10test_utils4lessELj10EEvPKT_PS2_T2_.uses_vcc, 1
	.set _Z17sort_pairs_kernelIaLj128ELj4EN10test_utils4lessELj10EEvPKT_PS2_T2_.uses_flat_scratch, 0
	.set _Z17sort_pairs_kernelIaLj128ELj4EN10test_utils4lessELj10EEvPKT_PS2_T2_.has_dyn_sized_stack, 0
	.set _Z17sort_pairs_kernelIaLj128ELj4EN10test_utils4lessELj10EEvPKT_PS2_T2_.has_recursion, 0
	.set _Z17sort_pairs_kernelIaLj128ELj4EN10test_utils4lessELj10EEvPKT_PS2_T2_.has_indirect_call, 0
	.section	.AMDGPU.csdata,"",@progbits
; Kernel info:
; codeLenInByte = 6268
; TotalNumSgprs: 50
; NumVgprs: 62
; ScratchSize: 0
; MemoryBound: 0
; FloatMode: 240
; IeeeMode: 1
; LDSByteSize: 513 bytes/workgroup (compile time only)
; SGPRBlocks: 6
; VGPRBlocks: 15
; NumSGPRsForWavesPerEU: 50
; NumVGPRsForWavesPerEU: 62
; Occupancy: 4
; WaveLimiterHint : 1
; COMPUTE_PGM_RSRC2:SCRATCH_EN: 0
; COMPUTE_PGM_RSRC2:USER_SGPR: 6
; COMPUTE_PGM_RSRC2:TRAP_HANDLER: 0
; COMPUTE_PGM_RSRC2:TGID_X_EN: 1
; COMPUTE_PGM_RSRC2:TGID_Y_EN: 0
; COMPUTE_PGM_RSRC2:TGID_Z_EN: 0
; COMPUTE_PGM_RSRC2:TIDIG_COMP_CNT: 0
	.section	.text._Z16sort_keys_kernelIaLj128ELj8EN10test_utils4lessELj10EEvPKT_PS2_T2_,"axG",@progbits,_Z16sort_keys_kernelIaLj128ELj8EN10test_utils4lessELj10EEvPKT_PS2_T2_,comdat
	.protected	_Z16sort_keys_kernelIaLj128ELj8EN10test_utils4lessELj10EEvPKT_PS2_T2_ ; -- Begin function _Z16sort_keys_kernelIaLj128ELj8EN10test_utils4lessELj10EEvPKT_PS2_T2_
	.globl	_Z16sort_keys_kernelIaLj128ELj8EN10test_utils4lessELj10EEvPKT_PS2_T2_
	.p2align	8
	.type	_Z16sort_keys_kernelIaLj128ELj8EN10test_utils4lessELj10EEvPKT_PS2_T2_,@function
_Z16sort_keys_kernelIaLj128ELj8EN10test_utils4lessELj10EEvPKT_PS2_T2_: ; @_Z16sort_keys_kernelIaLj128ELj8EN10test_utils4lessELj10EEvPKT_PS2_T2_
; %bb.0:
	s_load_dwordx4 s[28:31], s[4:5], 0x0
	s_lshl_b32 s33, s6, 10
	v_lshlrev_b32_e32 v1, 3, v0
	v_and_b32_e32 v2, 0x3f0, v1
	v_and_b32_e32 v3, 0x3e0, v1
	s_waitcnt lgkmcnt(0)
	s_add_u32 s0, s28, s33
	s_addc_u32 s1, s29, 0
	global_load_ubyte v35, v0, s[0:1] offset:128
	global_load_ubyte v36, v0, s[0:1] offset:256
	;; [unrolled: 1-line block ×5, first 2 shown]
	global_load_ubyte v40, v0, s[0:1]
	global_load_ubyte v41, v0, s[0:1] offset:512
	global_load_ubyte v42, v0, s[0:1] offset:768
	v_or_b32_e32 v8, 8, v2
	v_add_u32_e32 v9, 16, v2
	v_and_b32_e32 v30, 8, v1
	v_and_b32_e32 v4, 0x3c0, v1
	v_or_b32_e32 v10, 16, v3
	v_add_u32_e32 v11, 32, v3
	v_sub_u32_e32 v43, v9, v8
	v_and_b32_e32 v31, 24, v1
	v_and_b32_e32 v5, 0x380, v1
	v_or_b32_e32 v12, 32, v4
	v_add_u32_e32 v13, 64, v4
	v_sub_u32_e32 v45, v11, v10
	v_sub_u32_e32 v25, v8, v2
	;; [unrolled: 1-line block ×3, first 2 shown]
	v_cmp_ge_i32_e32 vcc, v30, v43
	v_and_b32_e32 v32, 56, v1
	v_and_b32_e32 v6, 0x300, v1
	v_or_b32_e32 v14, 64, v5
	v_add_u32_e32 v15, 0x80, v5
	v_sub_u32_e32 v46, v13, v12
	v_add_u32_e32 v20, v8, v30
	v_sub_u32_e32 v26, v10, v3
	v_sub_u32_e32 v51, v31, v45
	v_min_i32_e32 v25, v30, v25
	v_cndmask_b32_e32 v30, 0, v50, vcc
	v_cmp_ge_i32_e32 vcc, v31, v45
	v_and_b32_e32 v33, 0x78, v1
	v_and_b32_e32 v7, 0x200, v1
	v_or_b32_e32 v16, 0x80, v6
	v_add_u32_e32 v17, 0x100, v6
	v_sub_u32_e32 v47, v15, v14
	v_add_u32_e32 v21, v10, v31
	v_sub_u32_e32 v27, v12, v4
	v_sub_u32_e32 v52, v32, v46
	v_min_i32_e32 v26, v31, v26
	v_cndmask_b32_e32 v31, 0, v51, vcc
	v_cmp_ge_i32_e32 vcc, v32, v46
	s_mov_b32 s10, 0xc0c0004
	v_and_b32_e32 v34, 0xf8, v1
	v_or_b32_e32 v18, 0x100, v7
	v_add_u32_e32 v19, 0x200, v7
	v_sub_u32_e32 v48, v17, v16
	v_add_u32_e32 v22, v12, v32
	v_sub_u32_e32 v28, v14, v5
	v_sub_u32_e32 v53, v33, v47
	v_min_i32_e32 v27, v32, v27
	v_cndmask_b32_e32 v32, 0, v52, vcc
	v_cmp_ge_i32_e32 vcc, v33, v47
	v_and_b32_e32 v44, 0x1f8, v1
	v_sub_u32_e32 v49, v19, v18
	v_add_u32_e32 v23, v14, v33
	v_sub_u32_e32 v29, v16, v6
	v_sub_u32_e32 v54, v34, v48
	v_min_i32_e32 v28, v33, v28
	v_cndmask_b32_e32 v33, 0, v53, vcc
	v_cmp_ge_i32_e32 vcc, v34, v48
	v_add_u32_e32 v24, v16, v34
	v_sub_u32_e32 v55, v44, v49
	v_min_i32_e32 v29, v34, v29
	v_cndmask_b32_e32 v34, 0, v54, vcc
	v_cmp_ge_i32_e32 vcc, v44, v49
	s_mov_b32 s28, 0
	v_cmp_lt_i32_e64 s[0:1], v30, v25
	v_cmp_lt_i32_e64 s[2:3], v31, v26
	;; [unrolled: 1-line block ×5, first 2 shown]
	s_mov_b32 s29, 0x7060405
	s_mov_b32 s34, 0xc0c0001
	;; [unrolled: 1-line block ×4, first 2 shown]
	s_movk_i32 s37, 0xff
	s_mov_b32 s38, 0xc0c0304
	s_mov_b32 s39, 0x3020104
	s_movk_i32 s40, 0xff00
	s_mov_b32 s41, 0xffff0000
	s_waitcnt vmcnt(3)
	v_perm_b32 v36, v36, v39, s10
	s_waitcnt vmcnt(2)
	v_perm_b32 v35, v40, v35, s10
	;; [unrolled: 2-line block ×4, first 2 shown]
	v_lshl_or_b32 v43, v36, 16, v35
	v_lshl_or_b32 v42, v37, 16, v38
	v_sub_u32_e32 v36, v18, v7
	v_mov_b32_e32 v38, 0x200
	v_cndmask_b32_e32 v35, 0, v55, vcc
	v_min_i32_e32 v36, v44, v36
	v_sub_u32_e64 v39, v1, v38 clamp
	v_min_i32_e32 v40, 0x200, v1
	v_cmp_lt_i32_e64 s[10:11], v35, v36
	v_add_u32_e32 v37, v18, v44
	v_cmp_lt_i32_e64 s[12:13], v39, v40
	s_movk_i32 s42, 0x400
	v_add_u32_e32 v41, 0x200, v1
	s_branch .LBB58_2
.LBB58_1:                               ;   in Loop: Header=BB58_2 Depth=1
	s_or_b64 exec, exec, s[26:27]
	v_cndmask_b32_e64 v44, v44, v45, s[14:15]
	v_cndmask_b32_e64 v45, v46, v47, s[16:17]
	v_cmp_ge_i32_e64 s[14:15], v58, v38
	s_waitcnt lgkmcnt(0)
	v_cmp_lt_i16_sdwa s[16:17], sext(v60), sext(v57) src0_sel:BYTE_0 src1_sel:BYTE_0
	v_cndmask_b32_e32 v59, v42, v43, vcc
	v_cndmask_b32_e64 v46, v48, v49, s[18:19]
	v_cmp_gt_i32_e32 vcc, s42, v56
	s_or_b64 s[14:15], s[14:15], s[16:17]
	s_and_b64 vcc, vcc, s[14:15]
	v_lshlrev_b16_e32 v42, 8, v44
	v_lshlrev_b16_e32 v43, 8, v46
	v_cndmask_b32_e64 v47, v50, v51, s[20:21]
	v_cndmask_b32_e64 v48, v52, v53, s[22:23]
	v_cndmask_b32_e32 v50, v57, v60, vcc
	v_or_b32_sdwa v42, v59, v42 dst_sel:DWORD dst_unused:UNUSED_PAD src0_sel:BYTE_0 src1_sel:DWORD
	v_or_b32_sdwa v43, v45, v43 dst_sel:WORD_1 dst_unused:UNUSED_PAD src0_sel:BYTE_0 src1_sel:DWORD
	v_cndmask_b32_e64 v49, v54, v55, s[24:25]
	v_or_b32_sdwa v43, v42, v43 dst_sel:DWORD dst_unused:UNUSED_PAD src0_sel:WORD_0 src1_sel:DWORD
	v_lshlrev_b16_e32 v42, 8, v48
	v_lshlrev_b16_e32 v51, 8, v50
	s_add_i32 s28, s28, 1
	v_or_b32_sdwa v42, v47, v42 dst_sel:DWORD dst_unused:UNUSED_PAD src0_sel:BYTE_0 src1_sel:DWORD
	v_or_b32_sdwa v51, v49, v51 dst_sel:WORD_1 dst_unused:UNUSED_PAD src0_sel:BYTE_0 src1_sel:DWORD
	s_cmp_eq_u32 s28, 10
	v_or_b32_sdwa v42, v42, v51 dst_sel:DWORD dst_unused:UNUSED_PAD src0_sel:WORD_0 src1_sel:DWORD
	s_cbranch_scc1 .LBB58_226
.LBB58_2:                               ; =>This Loop Header: Depth=1
                                        ;     Child Loop BB58_4 Depth 2
                                        ;     Child Loop BB58_36 Depth 2
	;; [unrolled: 1-line block ×7, first 2 shown]
	v_lshrrev_b32_e32 v45, 8, v43
	v_perm_b32 v44, v43, v43, s29
	v_cmp_lt_i16_sdwa vcc, sext(v45), sext(v43) src0_sel:BYTE_0 src1_sel:BYTE_0
	v_cndmask_b32_e32 v44, v43, v44, vcc
	v_lshrrev_b32_e32 v46, 16, v44
	v_perm_b32 v47, 0, v46, s34
	v_min_i16_sdwa v48, sext(v45), sext(v43) dst_sel:DWORD dst_unused:UNUSED_PAD src0_sel:BYTE_0 src1_sel:BYTE_0
	v_max_i16_sdwa v43, sext(v45), sext(v43) dst_sel:DWORD dst_unused:UNUSED_PAD src0_sel:BYTE_0 src1_sel:BYTE_0
	v_lshrrev_b32_e32 v45, 24, v44
	v_lshlrev_b32_e32 v47, 16, v47
	v_and_or_b32 v47, v44, s35, v47
	v_cmp_lt_i16_sdwa vcc, sext(v45), sext(v46) src0_sel:BYTE_0 src1_sel:BYTE_0
	v_max_i16_sdwa v49, sext(v45), sext(v46) dst_sel:DWORD dst_unused:UNUSED_PAD src0_sel:BYTE_0 src1_sel:BYTE_0
	v_min_i16_sdwa v45, sext(v45), sext(v46) dst_sel:DWORD dst_unused:UNUSED_PAD src0_sel:BYTE_0 src1_sel:BYTE_0
	v_lshrrev_b32_e32 v46, 8, v42
	v_cndmask_b32_e32 v44, v44, v47, vcc
	v_perm_b32 v47, v42, v42, s29
	v_cmp_lt_i16_sdwa vcc, sext(v46), sext(v42) src0_sel:BYTE_0 src1_sel:BYTE_0
	v_cndmask_b32_e32 v47, v42, v47, vcc
	v_max_i16_sdwa v50, sext(v46), sext(v42) dst_sel:DWORD dst_unused:UNUSED_PAD src0_sel:BYTE_0 src1_sel:BYTE_0
	v_min_i16_sdwa v42, sext(v46), sext(v42) dst_sel:DWORD dst_unused:UNUSED_PAD src0_sel:BYTE_0 src1_sel:BYTE_0
	v_lshrrev_b32_e32 v46, 24, v47
	v_lshrrev_b32_e32 v51, 16, v47
	v_perm_b32 v52, v47, v47, s36
	v_cmp_lt_i16_sdwa vcc, sext(v46), sext(v51) src0_sel:BYTE_0 src1_sel:BYTE_0
	v_cndmask_b32_e32 v47, v47, v52, vcc
	v_max_i16_sdwa v52, sext(v46), sext(v51) dst_sel:DWORD dst_unused:UNUSED_PAD src0_sel:BYTE_0 src1_sel:BYTE_0
	v_min_i16_sdwa v46, sext(v46), sext(v51) dst_sel:DWORD dst_unused:UNUSED_PAD src0_sel:BYTE_0 src1_sel:BYTE_0
	v_lshlrev_b16_e32 v51, 8, v45
	v_or_b32_sdwa v51, v44, v51 dst_sel:DWORD dst_unused:UNUSED_PAD src0_sel:BYTE_0 src1_sel:DWORD
	v_and_b32_e32 v51, 0xffff, v51
	v_perm_b32 v53, v43, v44, s38
	v_lshl_or_b32 v51, v53, 16, v51
	v_cmp_lt_i16_e32 vcc, v45, v43
	v_cndmask_b32_e32 v44, v44, v51, vcc
	v_and_b32_sdwa v51, v44, s37 dst_sel:DWORD dst_unused:UNUSED_PAD src0_sel:WORD_1 src1_sel:DWORD
	v_lshlrev_b16_e32 v55, 8, v42
	v_perm_b32 v53, v49, v47, s39
	v_or_b32_sdwa v51, v51, v55 dst_sel:WORD_1 dst_unused:UNUSED_PAD src0_sel:DWORD src1_sel:DWORD
	v_cmp_lt_i16_e32 vcc, v42, v49
	v_and_or_b32 v51, v44, s35, v51
	v_cndmask_b32_e32 v47, v47, v53, vcc
	v_cndmask_b32_e32 v44, v44, v51, vcc
	v_and_b32_sdwa v51, v47, s40 dst_sel:DWORD dst_unused:UNUSED_PAD src0_sel:WORD_1 src1_sel:DWORD
	v_max_i16_e32 v53, v42, v49
	v_min_i16_e32 v42, v42, v49
	v_lshlrev_b16_e32 v49, 8, v46
	v_or_b32_sdwa v51, v50, v51 dst_sel:WORD_1 dst_unused:UNUSED_PAD src0_sel:BYTE_0 src1_sel:DWORD
	v_or_b32_sdwa v49, v47, v49 dst_sel:DWORD dst_unused:UNUSED_PAD src0_sel:BYTE_0 src1_sel:DWORD
	v_max_i16_e32 v54, v45, v43
	v_min_i16_e32 v43, v45, v43
	v_or_b32_sdwa v49, v49, v51 dst_sel:DWORD dst_unused:UNUSED_PAD src0_sel:WORD_0 src1_sel:DWORD
	v_lshlrev_b16_e32 v51, 8, v48
	v_or_b32_sdwa v51, v43, v51 dst_sel:DWORD dst_unused:UNUSED_PAD src0_sel:BYTE_0 src1_sel:DWORD
	v_cmp_lt_i16_e32 vcc, v46, v50
	v_and_b32_e32 v51, 0xffff, v51
	v_cndmask_b32_e32 v47, v47, v49, vcc
	v_cmp_lt_i16_e32 vcc, v45, v48
	v_and_or_b32 v51, v44, s41, v51
	v_cndmask_b32_e32 v45, v48, v43, vcc
	v_cndmask_b32_e32 v43, v43, v48, vcc
	v_lshlrev_b16_e32 v48, 8, v54
	v_cndmask_b32_e32 v44, v44, v51, vcc
	v_or_b32_sdwa v48, v42, v48 dst_sel:WORD_1 dst_unused:UNUSED_PAD src0_sel:BYTE_0 src1_sel:DWORD
	v_and_or_b32 v48, v44, s35, v48
	v_cmp_lt_i16_e32 vcc, v42, v54
	v_max_i16_e32 v49, v46, v50
	v_min_i16_e32 v46, v46, v50
	v_cndmask_b32_e32 v44, v44, v48, vcc
	v_lshlrev_b16_e32 v48, 8, v53
	v_or_b32_sdwa v48, v46, v48 dst_sel:DWORD dst_unused:UNUSED_PAD src0_sel:BYTE_0 src1_sel:DWORD
	v_and_b32_e32 v48, 0xffff, v48
	v_and_or_b32 v48, v47, s41, v48
	v_cmp_lt_i16_e32 vcc, v46, v53
	v_max_i16_e32 v51, v42, v54
	v_min_i16_e32 v42, v42, v54
	v_cndmask_b32_e32 v47, v47, v48, vcc
	v_max_i16_e32 v48, v46, v53
	v_min_i16_e32 v46, v46, v53
	v_lshlrev_b16_e32 v53, 8, v49
	v_cmp_gt_i16_e32 vcc, v50, v52
	v_or_b32_sdwa v53, v52, v53 dst_sel:WORD_1 dst_unused:UNUSED_PAD src0_sel:BYTE_0 src1_sel:DWORD
	v_cndmask_b32_e32 v50, v52, v49, vcc
	v_cndmask_b32_e32 v49, v49, v52, vcc
	v_lshlrev_b16_e32 v52, 8, v42
	v_and_or_b32 v53, v47, s35, v53
	v_or_b32_sdwa v52, v44, v52 dst_sel:DWORD dst_unused:UNUSED_PAD src0_sel:BYTE_0 src1_sel:DWORD
	v_cndmask_b32_e32 v47, v47, v53, vcc
	v_and_b32_e32 v52, 0xffff, v52
	v_perm_b32 v53, v43, v44, s38
	v_lshl_or_b32 v52, v53, 16, v52
	v_cmp_lt_i16_e32 vcc, v42, v43
	v_cndmask_b32_e32 v44, v44, v52, vcc
	v_and_b32_sdwa v52, v44, s37 dst_sel:DWORD dst_unused:UNUSED_PAD src0_sel:WORD_1 src1_sel:DWORD
	v_max_i16_e32 v54, v42, v43
	v_min_i16_e32 v42, v42, v43
	v_lshlrev_b16_e32 v43, 8, v46
	v_or_b32_sdwa v43, v52, v43 dst_sel:WORD_1 dst_unused:UNUSED_PAD src0_sel:DWORD src1_sel:DWORD
	v_perm_b32 v53, v51, v47, s39
	v_and_or_b32 v43, v44, s35, v43
	v_cmp_lt_i16_e32 vcc, v46, v51
	v_cndmask_b32_e32 v43, v44, v43, vcc
	v_cndmask_b32_e32 v44, v47, v53, vcc
	v_and_b32_sdwa v47, v44, s40 dst_sel:DWORD dst_unused:UNUSED_PAD src0_sel:WORD_1 src1_sel:DWORD
	v_max_i16_e32 v52, v46, v51
	v_min_i16_e32 v46, v46, v51
	v_lshlrev_b16_e32 v51, 8, v49
	v_or_b32_sdwa v47, v48, v47 dst_sel:WORD_1 dst_unused:UNUSED_PAD src0_sel:BYTE_0 src1_sel:DWORD
	v_or_b32_sdwa v51, v44, v51 dst_sel:DWORD dst_unused:UNUSED_PAD src0_sel:BYTE_0 src1_sel:DWORD
	v_or_b32_sdwa v47, v51, v47 dst_sel:DWORD dst_unused:UNUSED_PAD src0_sel:WORD_0 src1_sel:DWORD
	v_lshlrev_b16_e32 v51, 8, v45
	v_or_b32_sdwa v51, v42, v51 dst_sel:DWORD dst_unused:UNUSED_PAD src0_sel:BYTE_0 src1_sel:DWORD
	v_and_b32_e32 v51, 0xffff, v51
	v_cmp_lt_i16_e32 vcc, v49, v48
	v_and_or_b32 v51, v43, s41, v51
	v_cndmask_b32_e32 v44, v44, v47, vcc
	v_max_i16_e32 v47, v49, v48
	v_min_i16_e32 v48, v49, v48
	v_cmp_lt_i16_e32 vcc, v42, v45
	v_min_i16_e32 v49, v42, v45
	v_max_i16_e32 v42, v42, v45
	v_lshlrev_b16_e32 v45, 8, v54
	v_cndmask_b32_e32 v43, v43, v51, vcc
	v_or_b32_sdwa v45, v46, v45 dst_sel:WORD_1 dst_unused:UNUSED_PAD src0_sel:BYTE_0 src1_sel:DWORD
	v_and_or_b32 v45, v43, s35, v45
	v_cmp_lt_i16_e32 vcc, v46, v54
	v_cndmask_b32_e32 v43, v43, v45, vcc
	v_lshlrev_b16_e32 v45, 8, v52
	v_or_b32_sdwa v45, v48, v45 dst_sel:DWORD dst_unused:UNUSED_PAD src0_sel:BYTE_0 src1_sel:DWORD
	v_and_b32_e32 v45, 0xffff, v45
	v_and_or_b32 v45, v44, s41, v45
	v_cmp_lt_i16_e32 vcc, v48, v52
	v_cndmask_b32_e32 v44, v44, v45, vcc
	v_max_i16_e32 v45, v48, v52
	v_min_i16_e32 v48, v48, v52
	v_lshlrev_b16_e32 v52, 8, v47
	v_or_b32_sdwa v52, v50, v52 dst_sel:WORD_1 dst_unused:UNUSED_PAD src0_sel:BYTE_0 src1_sel:DWORD
	v_max_i16_e32 v51, v46, v54
	v_min_i16_e32 v46, v46, v54
	v_and_or_b32 v52, v44, s35, v52
	v_cmp_lt_i16_e32 vcc, v50, v47
	v_cndmask_b32_e32 v44, v44, v52, vcc
	v_max_i16_e32 v52, v50, v47
	v_min_i16_e32 v47, v50, v47
	v_lshlrev_b16_e32 v50, 8, v46
	v_or_b32_sdwa v50, v43, v50 dst_sel:DWORD dst_unused:UNUSED_PAD src0_sel:BYTE_0 src1_sel:DWORD
	v_and_b32_e32 v50, 0xffff, v50
	v_perm_b32 v53, v42, v43, s38
	v_lshl_or_b32 v50, v53, 16, v50
	v_cmp_lt_i16_e32 vcc, v46, v42
	v_cndmask_b32_e32 v43, v43, v50, vcc
	v_and_b32_sdwa v50, v43, s37 dst_sel:DWORD dst_unused:UNUSED_PAD src0_sel:WORD_1 src1_sel:DWORD
	v_lshlrev_b16_e32 v55, 8, v48
	v_perm_b32 v53, v51, v44, s39
	v_or_b32_sdwa v50, v50, v55 dst_sel:WORD_1 dst_unused:UNUSED_PAD src0_sel:DWORD src1_sel:DWORD
	v_cmp_lt_i16_e32 vcc, v48, v51
	v_and_or_b32 v50, v43, s35, v50
	v_cndmask_b32_e32 v44, v44, v53, vcc
	v_cndmask_b32_e32 v43, v43, v50, vcc
	v_and_b32_sdwa v50, v44, s40 dst_sel:DWORD dst_unused:UNUSED_PAD src0_sel:WORD_1 src1_sel:DWORD
	v_max_i16_e32 v53, v48, v51
	v_min_i16_e32 v48, v48, v51
	v_lshlrev_b16_e32 v51, 8, v47
	v_or_b32_sdwa v50, v45, v50 dst_sel:WORD_1 dst_unused:UNUSED_PAD src0_sel:BYTE_0 src1_sel:DWORD
	v_or_b32_sdwa v51, v44, v51 dst_sel:DWORD dst_unused:UNUSED_PAD src0_sel:BYTE_0 src1_sel:DWORD
	v_max_i16_e32 v54, v46, v42
	v_min_i16_e32 v42, v46, v42
	v_or_b32_sdwa v50, v51, v50 dst_sel:DWORD dst_unused:UNUSED_PAD src0_sel:WORD_0 src1_sel:DWORD
	v_lshlrev_b16_e32 v51, 8, v49
	v_or_b32_sdwa v51, v42, v51 dst_sel:DWORD dst_unused:UNUSED_PAD src0_sel:BYTE_0 src1_sel:DWORD
	v_and_b32_e32 v51, 0xffff, v51
	v_cmp_lt_i16_e32 vcc, v47, v45
	v_and_or_b32 v51, v43, s41, v51
	v_cndmask_b32_e32 v44, v44, v50, vcc
	v_cmp_lt_i16_e32 vcc, v46, v49
	v_lshlrev_b16_e32 v46, 8, v54
	v_cndmask_b32_e32 v43, v43, v51, vcc
	v_or_b32_sdwa v46, v48, v46 dst_sel:WORD_1 dst_unused:UNUSED_PAD src0_sel:BYTE_0 src1_sel:DWORD
	v_cndmask_b32_e32 v42, v42, v49, vcc
	v_and_or_b32 v46, v43, s35, v46
	v_cmp_lt_i16_e32 vcc, v48, v54
	v_max_i16_e32 v50, v47, v45
	v_min_i16_e32 v47, v47, v45
	v_cndmask_b32_e32 v43, v43, v46, vcc
	v_lshlrev_b16_e32 v46, 8, v53
	v_or_b32_sdwa v46, v47, v46 dst_sel:DWORD dst_unused:UNUSED_PAD src0_sel:BYTE_0 src1_sel:DWORD
	v_and_b32_e32 v46, 0xffff, v46
	v_and_or_b32 v46, v44, s41, v46
	v_cmp_lt_i16_e32 vcc, v47, v53
	v_max_i16_e32 v49, v48, v54
	v_min_i16_e32 v48, v48, v54
	v_cndmask_b32_e32 v44, v44, v46, vcc
	v_lshlrev_b16_e32 v51, 8, v50
	v_cmp_gt_i16_e32 vcc, v45, v52
	v_or_b32_sdwa v51, v52, v51 dst_sel:WORD_1 dst_unused:UNUSED_PAD src0_sel:BYTE_0 src1_sel:DWORD
	v_cndmask_b32_e32 v45, v50, v52, vcc
	v_lshlrev_b16_e32 v50, 8, v48
	v_and_or_b32 v51, v44, s35, v51
	v_or_b32_sdwa v50, v43, v50 dst_sel:DWORD dst_unused:UNUSED_PAD src0_sel:BYTE_0 src1_sel:DWORD
	v_cndmask_b32_e32 v44, v44, v51, vcc
	v_and_b32_e32 v50, 0xffff, v50
	v_perm_b32 v51, v42, v43, s38
	v_lshl_or_b32 v50, v51, 16, v50
	v_cmp_lt_i16_e32 vcc, v48, v42
	v_max_i16_e32 v46, v47, v53
	v_min_i16_e32 v47, v47, v53
	v_cndmask_b32_e32 v42, v43, v50, vcc
	v_and_b32_sdwa v43, v42, s37 dst_sel:DWORD dst_unused:UNUSED_PAD src0_sel:WORD_1 src1_sel:DWORD
	v_lshlrev_b16_e32 v50, 8, v47
	v_or_b32_sdwa v43, v43, v50 dst_sel:WORD_1 dst_unused:UNUSED_PAD src0_sel:DWORD src1_sel:DWORD
	v_perm_b32 v48, v49, v44, s39
	v_and_or_b32 v43, v42, s35, v43
	v_cmp_lt_i16_e32 vcc, v47, v49
	v_cndmask_b32_e32 v42, v42, v43, vcc
	v_cndmask_b32_e32 v43, v44, v48, vcc
	v_and_b32_sdwa v44, v43, s40 dst_sel:DWORD dst_unused:UNUSED_PAD src0_sel:WORD_1 src1_sel:DWORD
	v_lshlrev_b16_e32 v47, 8, v45
	v_or_b32_sdwa v44, v46, v44 dst_sel:WORD_1 dst_unused:UNUSED_PAD src0_sel:BYTE_0 src1_sel:DWORD
	v_or_b32_sdwa v47, v43, v47 dst_sel:DWORD dst_unused:UNUSED_PAD src0_sel:BYTE_0 src1_sel:DWORD
	v_or_b32_sdwa v44, v47, v44 dst_sel:DWORD dst_unused:UNUSED_PAD src0_sel:WORD_0 src1_sel:DWORD
	v_cmp_lt_i16_e32 vcc, v45, v46
	v_cndmask_b32_e32 v43, v43, v44, vcc
	s_barrier
	ds_write_b64 v1, v[42:43]
	v_mov_b32_e32 v42, v30
	s_waitcnt lgkmcnt(0)
	s_barrier
	s_and_saveexec_b64 s[14:15], s[0:1]
	s_cbranch_execz .LBB58_6
; %bb.3:                                ;   in Loop: Header=BB58_2 Depth=1
	s_mov_b64 s[16:17], 0
	v_mov_b32_e32 v42, v30
	v_mov_b32_e32 v43, v25
.LBB58_4:                               ;   Parent Loop BB58_2 Depth=1
                                        ; =>  This Inner Loop Header: Depth=2
	v_sub_u32_e32 v44, v43, v42
	v_lshrrev_b32_e32 v44, 1, v44
	v_add_u32_e32 v44, v44, v42
	v_add_u32_e32 v45, v2, v44
	v_xad_u32 v46, v44, -1, v20
	ds_read_i8 v45, v45
	ds_read_i8 v46, v46
	v_add_u32_e32 v47, 1, v44
	s_waitcnt lgkmcnt(0)
	v_cmp_lt_i16_e32 vcc, v46, v45
	v_cndmask_b32_e32 v43, v43, v44, vcc
	v_cndmask_b32_e32 v42, v47, v42, vcc
	v_cmp_ge_i32_e32 vcc, v42, v43
	s_or_b64 s[16:17], vcc, s[16:17]
	s_andn2_b64 exec, exec, s[16:17]
	s_cbranch_execnz .LBB58_4
; %bb.5:                                ;   in Loop: Header=BB58_2 Depth=1
	s_or_b64 exec, exec, s[16:17]
.LBB58_6:                               ;   in Loop: Header=BB58_2 Depth=1
	s_or_b64 exec, exec, s[14:15]
	v_add_u32_e32 v46, v42, v2
	v_sub_u32_e32 v47, v20, v42
	ds_read_u8 v42, v46
	ds_read_u8 v43, v47
	v_cmp_le_i32_e64 s[14:15], v8, v46
	v_cmp_gt_i32_e32 vcc, v9, v47
                                        ; implicit-def: $vgpr44
	s_waitcnt lgkmcnt(1)
	v_bfe_i32 v42, v42, 0, 8
	s_waitcnt lgkmcnt(0)
	v_bfe_i32 v43, v43, 0, 8
	v_cmp_lt_i16_e64 s[16:17], v43, v42
	s_or_b64 s[14:15], s[14:15], s[16:17]
	s_and_b64 s[14:15], vcc, s[14:15]
	s_xor_b64 s[16:17], s[14:15], -1
	s_and_saveexec_b64 s[18:19], s[16:17]
	s_xor_b64 s[16:17], exec, s[18:19]
; %bb.7:                                ;   in Loop: Header=BB58_2 Depth=1
	ds_read_u8 v44, v46 offset:1
; %bb.8:                                ;   in Loop: Header=BB58_2 Depth=1
	s_or_saveexec_b64 s[16:17], s[16:17]
	v_mov_b32_e32 v45, v43
	s_xor_b64 exec, exec, s[16:17]
	s_cbranch_execz .LBB58_10
; %bb.9:                                ;   in Loop: Header=BB58_2 Depth=1
	ds_read_u8 v45, v47 offset:1
	s_waitcnt lgkmcnt(1)
	v_mov_b32_e32 v44, v42
.LBB58_10:                              ;   in Loop: Header=BB58_2 Depth=1
	s_or_b64 exec, exec, s[16:17]
	v_add_u32_e32 v49, 1, v46
	v_add_u32_e32 v48, 1, v47
	v_cndmask_b32_e64 v49, v49, v46, s[14:15]
	v_cndmask_b32_e64 v48, v47, v48, s[14:15]
	v_cmp_ge_i32_e64 s[16:17], v49, v8
	s_waitcnt lgkmcnt(0)
	v_cmp_lt_i16_sdwa s[18:19], sext(v45), sext(v44) src0_sel:BYTE_0 src1_sel:BYTE_0
	v_cmp_lt_i32_e32 vcc, v48, v9
	s_or_b64 s[16:17], s[16:17], s[18:19]
	s_and_b64 s[16:17], vcc, s[16:17]
	s_xor_b64 s[18:19], s[16:17], -1
                                        ; implicit-def: $vgpr46
	s_and_saveexec_b64 s[20:21], s[18:19]
	s_xor_b64 s[18:19], exec, s[20:21]
; %bb.11:                               ;   in Loop: Header=BB58_2 Depth=1
	ds_read_u8 v46, v49 offset:1
; %bb.12:                               ;   in Loop: Header=BB58_2 Depth=1
	s_or_saveexec_b64 s[18:19], s[18:19]
	v_mov_b32_e32 v47, v45
	s_xor_b64 exec, exec, s[18:19]
	s_cbranch_execz .LBB58_14
; %bb.13:                               ;   in Loop: Header=BB58_2 Depth=1
	ds_read_u8 v47, v48 offset:1
	s_waitcnt lgkmcnt(1)
	v_mov_b32_e32 v46, v44
.LBB58_14:                              ;   in Loop: Header=BB58_2 Depth=1
	s_or_b64 exec, exec, s[18:19]
	v_add_u32_e32 v51, 1, v49
	v_add_u32_e32 v50, 1, v48
	v_cndmask_b32_e64 v51, v51, v49, s[16:17]
	v_cndmask_b32_e64 v50, v48, v50, s[16:17]
	v_cmp_ge_i32_e64 s[18:19], v51, v8
	s_waitcnt lgkmcnt(0)
	v_cmp_lt_i16_sdwa s[20:21], sext(v47), sext(v46) src0_sel:BYTE_0 src1_sel:BYTE_0
	v_cmp_lt_i32_e32 vcc, v50, v9
	s_or_b64 s[18:19], s[18:19], s[20:21]
	s_and_b64 s[18:19], vcc, s[18:19]
	s_xor_b64 s[20:21], s[18:19], -1
                                        ; implicit-def: $vgpr48
	s_and_saveexec_b64 s[22:23], s[20:21]
	s_xor_b64 s[20:21], exec, s[22:23]
; %bb.15:                               ;   in Loop: Header=BB58_2 Depth=1
	ds_read_u8 v48, v51 offset:1
; %bb.16:                               ;   in Loop: Header=BB58_2 Depth=1
	s_or_saveexec_b64 s[20:21], s[20:21]
	v_mov_b32_e32 v49, v47
	s_xor_b64 exec, exec, s[20:21]
	s_cbranch_execz .LBB58_18
; %bb.17:                               ;   in Loop: Header=BB58_2 Depth=1
	ds_read_u8 v49, v50 offset:1
	s_waitcnt lgkmcnt(1)
	v_mov_b32_e32 v48, v46
.LBB58_18:                              ;   in Loop: Header=BB58_2 Depth=1
	s_or_b64 exec, exec, s[20:21]
	v_add_u32_e32 v53, 1, v51
	v_add_u32_e32 v52, 1, v50
	v_cndmask_b32_e64 v53, v53, v51, s[18:19]
	v_cndmask_b32_e64 v52, v50, v52, s[18:19]
	v_cmp_ge_i32_e64 s[20:21], v53, v8
	s_waitcnt lgkmcnt(0)
	v_cmp_lt_i16_sdwa s[22:23], sext(v49), sext(v48) src0_sel:BYTE_0 src1_sel:BYTE_0
	v_cmp_lt_i32_e32 vcc, v52, v9
	s_or_b64 s[20:21], s[20:21], s[22:23]
	s_and_b64 s[20:21], vcc, s[20:21]
	s_xor_b64 s[22:23], s[20:21], -1
                                        ; implicit-def: $vgpr50
	s_and_saveexec_b64 s[24:25], s[22:23]
	s_xor_b64 s[22:23], exec, s[24:25]
; %bb.19:                               ;   in Loop: Header=BB58_2 Depth=1
	ds_read_u8 v50, v53 offset:1
; %bb.20:                               ;   in Loop: Header=BB58_2 Depth=1
	s_or_saveexec_b64 s[22:23], s[22:23]
	v_mov_b32_e32 v51, v49
	s_xor_b64 exec, exec, s[22:23]
	s_cbranch_execz .LBB58_22
; %bb.21:                               ;   in Loop: Header=BB58_2 Depth=1
	ds_read_u8 v51, v52 offset:1
	s_waitcnt lgkmcnt(1)
	v_mov_b32_e32 v50, v48
.LBB58_22:                              ;   in Loop: Header=BB58_2 Depth=1
	s_or_b64 exec, exec, s[22:23]
	v_add_u32_e32 v55, 1, v53
	v_add_u32_e32 v54, 1, v52
	v_cndmask_b32_e64 v55, v55, v53, s[20:21]
	v_cndmask_b32_e64 v54, v52, v54, s[20:21]
	v_cmp_ge_i32_e64 s[22:23], v55, v8
	s_waitcnt lgkmcnt(0)
	v_cmp_lt_i16_sdwa s[24:25], sext(v51), sext(v50) src0_sel:BYTE_0 src1_sel:BYTE_0
	v_cmp_lt_i32_e32 vcc, v54, v9
	s_or_b64 s[22:23], s[22:23], s[24:25]
	s_and_b64 s[22:23], vcc, s[22:23]
	s_xor_b64 s[24:25], s[22:23], -1
                                        ; implicit-def: $vgpr52
	s_and_saveexec_b64 s[26:27], s[24:25]
	s_xor_b64 s[24:25], exec, s[26:27]
; %bb.23:                               ;   in Loop: Header=BB58_2 Depth=1
	ds_read_u8 v52, v55 offset:1
; %bb.24:                               ;   in Loop: Header=BB58_2 Depth=1
	s_or_saveexec_b64 s[24:25], s[24:25]
	v_mov_b32_e32 v53, v51
	s_xor_b64 exec, exec, s[24:25]
	s_cbranch_execz .LBB58_26
; %bb.25:                               ;   in Loop: Header=BB58_2 Depth=1
	ds_read_u8 v53, v54 offset:1
	s_waitcnt lgkmcnt(1)
	v_mov_b32_e32 v52, v50
.LBB58_26:                              ;   in Loop: Header=BB58_2 Depth=1
	s_or_b64 exec, exec, s[24:25]
	v_add_u32_e32 v57, 1, v55
	v_add_u32_e32 v56, 1, v54
	v_cndmask_b32_e64 v58, v57, v55, s[22:23]
	v_cndmask_b32_e64 v56, v54, v56, s[22:23]
	v_cmp_ge_i32_e64 s[24:25], v58, v8
	s_waitcnt lgkmcnt(0)
	v_cmp_lt_i16_sdwa s[26:27], sext(v53), sext(v52) src0_sel:BYTE_0 src1_sel:BYTE_0
	v_cmp_lt_i32_e32 vcc, v56, v9
	s_or_b64 s[24:25], s[24:25], s[26:27]
	s_and_b64 vcc, vcc, s[24:25]
	s_xor_b64 s[24:25], vcc, -1
                                        ; implicit-def: $vgpr54
	s_and_saveexec_b64 s[26:27], s[24:25]
	s_xor_b64 s[24:25], exec, s[26:27]
; %bb.27:                               ;   in Loop: Header=BB58_2 Depth=1
	ds_read_u8 v54, v58 offset:1
; %bb.28:                               ;   in Loop: Header=BB58_2 Depth=1
	s_or_saveexec_b64 s[24:25], s[24:25]
	v_mov_b32_e32 v55, v53
	s_xor_b64 exec, exec, s[24:25]
	s_cbranch_execz .LBB58_30
; %bb.29:                               ;   in Loop: Header=BB58_2 Depth=1
	ds_read_u8 v55, v56 offset:1
	s_waitcnt lgkmcnt(1)
	v_mov_b32_e32 v54, v52
.LBB58_30:                              ;   in Loop: Header=BB58_2 Depth=1
	s_or_b64 exec, exec, s[24:25]
	v_add_u32_e32 v59, 1, v58
	v_add_u32_e32 v57, 1, v56
	v_cndmask_b32_e32 v58, v59, v58, vcc
	v_cndmask_b32_e32 v57, v56, v57, vcc
	v_cmp_ge_i32_e64 s[26:27], v58, v8
	s_waitcnt lgkmcnt(0)
	v_cmp_lt_i16_sdwa s[44:45], sext(v55), sext(v54) src0_sel:BYTE_0 src1_sel:BYTE_0
	v_cmp_lt_i32_e64 s[24:25], v57, v9
	s_or_b64 s[26:27], s[26:27], s[44:45]
	s_and_b64 s[24:25], s[24:25], s[26:27]
	s_xor_b64 s[26:27], s[24:25], -1
                                        ; implicit-def: $vgpr56
	s_and_saveexec_b64 s[44:45], s[26:27]
	s_xor_b64 s[26:27], exec, s[44:45]
; %bb.31:                               ;   in Loop: Header=BB58_2 Depth=1
	ds_read_u8 v56, v58 offset:1
; %bb.32:                               ;   in Loop: Header=BB58_2 Depth=1
	s_or_saveexec_b64 s[26:27], s[26:27]
	v_mov_b32_e32 v59, v55
	s_xor_b64 exec, exec, s[26:27]
	s_cbranch_execz .LBB58_34
; %bb.33:                               ;   in Loop: Header=BB58_2 Depth=1
	ds_read_u8 v59, v57 offset:1
	s_waitcnt lgkmcnt(1)
	v_mov_b32_e32 v56, v54
.LBB58_34:                              ;   in Loop: Header=BB58_2 Depth=1
	s_or_b64 exec, exec, s[26:27]
	v_cndmask_b32_e64 v54, v54, v55, s[24:25]
	v_add_u32_e32 v55, 1, v57
	v_add_u32_e32 v60, 1, v58
	v_cndmask_b32_e64 v55, v57, v55, s[24:25]
	v_cndmask_b32_e64 v57, v60, v58, s[24:25]
	v_cndmask_b32_sdwa v52, v52, v53, vcc dst_sel:BYTE_1 dst_unused:UNUSED_PAD src0_sel:DWORD src1_sel:DWORD
	s_mov_b64 vcc, s[20:21]
	v_cndmask_b32_e64 v44, v44, v45, s[16:17]
	v_cndmask_b32_e64 v42, v42, v43, s[14:15]
	v_cmp_ge_i32_e64 s[14:15], v57, v8
	s_waitcnt lgkmcnt(0)
	v_cmp_lt_i16_sdwa s[16:17], sext(v59), sext(v56) src0_sel:BYTE_0 src1_sel:BYTE_0
	v_cndmask_b32_sdwa v48, v48, v49, vcc dst_sel:BYTE_1 dst_unused:UNUSED_PAD src0_sel:DWORD src1_sel:DWORD
	v_cmp_lt_i32_e32 vcc, v55, v9
	s_or_b64 s[14:15], s[14:15], s[16:17]
	s_and_b64 vcc, vcc, s[14:15]
	v_cndmask_b32_e64 v46, v46, v47, s[18:19]
	v_cndmask_b32_e32 v43, v56, v59, vcc
	v_lshlrev_b16_e32 v44, 8, v44
	v_cndmask_b32_e64 v50, v50, v51, s[22:23]
	v_or_b32_sdwa v42, v42, v44 dst_sel:DWORD dst_unused:UNUSED_PAD src0_sel:BYTE_0 src1_sel:DWORD
	v_or_b32_sdwa v44, v46, v48 dst_sel:WORD_1 dst_unused:UNUSED_PAD src0_sel:BYTE_0 src1_sel:DWORD
	v_lshlrev_b16_e32 v43, 8, v43
	v_or_b32_sdwa v42, v42, v44 dst_sel:DWORD dst_unused:UNUSED_PAD src0_sel:WORD_0 src1_sel:DWORD
	v_or_b32_sdwa v44, v50, v52 dst_sel:DWORD dst_unused:UNUSED_PAD src0_sel:BYTE_0 src1_sel:DWORD
	v_or_b32_sdwa v43, v54, v43 dst_sel:WORD_1 dst_unused:UNUSED_PAD src0_sel:BYTE_0 src1_sel:DWORD
	v_or_b32_sdwa v43, v44, v43 dst_sel:DWORD dst_unused:UNUSED_PAD src0_sel:WORD_0 src1_sel:DWORD
	s_barrier
	ds_write_b64 v1, v[42:43]
	v_mov_b32_e32 v42, v31
	s_waitcnt lgkmcnt(0)
	s_barrier
	s_and_saveexec_b64 s[14:15], s[2:3]
	s_cbranch_execz .LBB58_38
; %bb.35:                               ;   in Loop: Header=BB58_2 Depth=1
	s_mov_b64 s[16:17], 0
	v_mov_b32_e32 v42, v31
	v_mov_b32_e32 v43, v26
.LBB58_36:                              ;   Parent Loop BB58_2 Depth=1
                                        ; =>  This Inner Loop Header: Depth=2
	v_sub_u32_e32 v44, v43, v42
	v_lshrrev_b32_e32 v44, 1, v44
	v_add_u32_e32 v44, v44, v42
	v_add_u32_e32 v45, v3, v44
	v_xad_u32 v46, v44, -1, v21
	ds_read_i8 v45, v45
	ds_read_i8 v46, v46
	v_add_u32_e32 v47, 1, v44
	s_waitcnt lgkmcnt(0)
	v_cmp_lt_i16_e32 vcc, v46, v45
	v_cndmask_b32_e32 v43, v43, v44, vcc
	v_cndmask_b32_e32 v42, v47, v42, vcc
	v_cmp_ge_i32_e32 vcc, v42, v43
	s_or_b64 s[16:17], vcc, s[16:17]
	s_andn2_b64 exec, exec, s[16:17]
	s_cbranch_execnz .LBB58_36
; %bb.37:                               ;   in Loop: Header=BB58_2 Depth=1
	s_or_b64 exec, exec, s[16:17]
.LBB58_38:                              ;   in Loop: Header=BB58_2 Depth=1
	s_or_b64 exec, exec, s[14:15]
	v_add_u32_e32 v46, v42, v3
	v_sub_u32_e32 v47, v21, v42
	ds_read_u8 v42, v46
	ds_read_u8 v43, v47
	v_cmp_le_i32_e64 s[14:15], v10, v46
	v_cmp_gt_i32_e32 vcc, v11, v47
                                        ; implicit-def: $vgpr44
	s_waitcnt lgkmcnt(1)
	v_bfe_i32 v42, v42, 0, 8
	s_waitcnt lgkmcnt(0)
	v_bfe_i32 v43, v43, 0, 8
	v_cmp_lt_i16_e64 s[16:17], v43, v42
	s_or_b64 s[14:15], s[14:15], s[16:17]
	s_and_b64 s[14:15], vcc, s[14:15]
	s_xor_b64 s[16:17], s[14:15], -1
	s_and_saveexec_b64 s[18:19], s[16:17]
	s_xor_b64 s[16:17], exec, s[18:19]
; %bb.39:                               ;   in Loop: Header=BB58_2 Depth=1
	ds_read_u8 v44, v46 offset:1
; %bb.40:                               ;   in Loop: Header=BB58_2 Depth=1
	s_or_saveexec_b64 s[16:17], s[16:17]
	v_mov_b32_e32 v45, v43
	s_xor_b64 exec, exec, s[16:17]
	s_cbranch_execz .LBB58_42
; %bb.41:                               ;   in Loop: Header=BB58_2 Depth=1
	ds_read_u8 v45, v47 offset:1
	s_waitcnt lgkmcnt(1)
	v_mov_b32_e32 v44, v42
.LBB58_42:                              ;   in Loop: Header=BB58_2 Depth=1
	s_or_b64 exec, exec, s[16:17]
	v_add_u32_e32 v49, 1, v46
	v_add_u32_e32 v48, 1, v47
	v_cndmask_b32_e64 v49, v49, v46, s[14:15]
	v_cndmask_b32_e64 v48, v47, v48, s[14:15]
	v_cmp_ge_i32_e64 s[16:17], v49, v10
	s_waitcnt lgkmcnt(0)
	v_cmp_lt_i16_sdwa s[18:19], sext(v45), sext(v44) src0_sel:BYTE_0 src1_sel:BYTE_0
	v_cmp_lt_i32_e32 vcc, v48, v11
	s_or_b64 s[16:17], s[16:17], s[18:19]
	s_and_b64 s[16:17], vcc, s[16:17]
	s_xor_b64 s[18:19], s[16:17], -1
                                        ; implicit-def: $vgpr46
	s_and_saveexec_b64 s[20:21], s[18:19]
	s_xor_b64 s[18:19], exec, s[20:21]
; %bb.43:                               ;   in Loop: Header=BB58_2 Depth=1
	ds_read_u8 v46, v49 offset:1
; %bb.44:                               ;   in Loop: Header=BB58_2 Depth=1
	s_or_saveexec_b64 s[18:19], s[18:19]
	v_mov_b32_e32 v47, v45
	s_xor_b64 exec, exec, s[18:19]
	s_cbranch_execz .LBB58_46
; %bb.45:                               ;   in Loop: Header=BB58_2 Depth=1
	ds_read_u8 v47, v48 offset:1
	s_waitcnt lgkmcnt(1)
	v_mov_b32_e32 v46, v44
.LBB58_46:                              ;   in Loop: Header=BB58_2 Depth=1
	s_or_b64 exec, exec, s[18:19]
	v_add_u32_e32 v51, 1, v49
	v_add_u32_e32 v50, 1, v48
	v_cndmask_b32_e64 v51, v51, v49, s[16:17]
	v_cndmask_b32_e64 v50, v48, v50, s[16:17]
	v_cmp_ge_i32_e64 s[18:19], v51, v10
	s_waitcnt lgkmcnt(0)
	v_cmp_lt_i16_sdwa s[20:21], sext(v47), sext(v46) src0_sel:BYTE_0 src1_sel:BYTE_0
	v_cmp_lt_i32_e32 vcc, v50, v11
	s_or_b64 s[18:19], s[18:19], s[20:21]
	s_and_b64 s[18:19], vcc, s[18:19]
	s_xor_b64 s[20:21], s[18:19], -1
                                        ; implicit-def: $vgpr48
	s_and_saveexec_b64 s[22:23], s[20:21]
	s_xor_b64 s[20:21], exec, s[22:23]
; %bb.47:                               ;   in Loop: Header=BB58_2 Depth=1
	ds_read_u8 v48, v51 offset:1
; %bb.48:                               ;   in Loop: Header=BB58_2 Depth=1
	s_or_saveexec_b64 s[20:21], s[20:21]
	v_mov_b32_e32 v49, v47
	s_xor_b64 exec, exec, s[20:21]
	s_cbranch_execz .LBB58_50
; %bb.49:                               ;   in Loop: Header=BB58_2 Depth=1
	ds_read_u8 v49, v50 offset:1
	s_waitcnt lgkmcnt(1)
	v_mov_b32_e32 v48, v46
.LBB58_50:                              ;   in Loop: Header=BB58_2 Depth=1
	s_or_b64 exec, exec, s[20:21]
	v_add_u32_e32 v53, 1, v51
	v_add_u32_e32 v52, 1, v50
	v_cndmask_b32_e64 v53, v53, v51, s[18:19]
	v_cndmask_b32_e64 v52, v50, v52, s[18:19]
	v_cmp_ge_i32_e64 s[20:21], v53, v10
	s_waitcnt lgkmcnt(0)
	v_cmp_lt_i16_sdwa s[22:23], sext(v49), sext(v48) src0_sel:BYTE_0 src1_sel:BYTE_0
	v_cmp_lt_i32_e32 vcc, v52, v11
	s_or_b64 s[20:21], s[20:21], s[22:23]
	s_and_b64 s[20:21], vcc, s[20:21]
	s_xor_b64 s[22:23], s[20:21], -1
                                        ; implicit-def: $vgpr50
	s_and_saveexec_b64 s[24:25], s[22:23]
	s_xor_b64 s[22:23], exec, s[24:25]
; %bb.51:                               ;   in Loop: Header=BB58_2 Depth=1
	ds_read_u8 v50, v53 offset:1
; %bb.52:                               ;   in Loop: Header=BB58_2 Depth=1
	s_or_saveexec_b64 s[22:23], s[22:23]
	v_mov_b32_e32 v51, v49
	s_xor_b64 exec, exec, s[22:23]
	s_cbranch_execz .LBB58_54
; %bb.53:                               ;   in Loop: Header=BB58_2 Depth=1
	ds_read_u8 v51, v52 offset:1
	s_waitcnt lgkmcnt(1)
	v_mov_b32_e32 v50, v48
.LBB58_54:                              ;   in Loop: Header=BB58_2 Depth=1
	s_or_b64 exec, exec, s[22:23]
	v_add_u32_e32 v55, 1, v53
	v_add_u32_e32 v54, 1, v52
	v_cndmask_b32_e64 v55, v55, v53, s[20:21]
	v_cndmask_b32_e64 v54, v52, v54, s[20:21]
	v_cmp_ge_i32_e64 s[22:23], v55, v10
	s_waitcnt lgkmcnt(0)
	v_cmp_lt_i16_sdwa s[24:25], sext(v51), sext(v50) src0_sel:BYTE_0 src1_sel:BYTE_0
	v_cmp_lt_i32_e32 vcc, v54, v11
	s_or_b64 s[22:23], s[22:23], s[24:25]
	s_and_b64 s[22:23], vcc, s[22:23]
	s_xor_b64 s[24:25], s[22:23], -1
                                        ; implicit-def: $vgpr52
	s_and_saveexec_b64 s[26:27], s[24:25]
	s_xor_b64 s[24:25], exec, s[26:27]
; %bb.55:                               ;   in Loop: Header=BB58_2 Depth=1
	ds_read_u8 v52, v55 offset:1
; %bb.56:                               ;   in Loop: Header=BB58_2 Depth=1
	s_or_saveexec_b64 s[24:25], s[24:25]
	v_mov_b32_e32 v53, v51
	s_xor_b64 exec, exec, s[24:25]
	s_cbranch_execz .LBB58_58
; %bb.57:                               ;   in Loop: Header=BB58_2 Depth=1
	ds_read_u8 v53, v54 offset:1
	s_waitcnt lgkmcnt(1)
	v_mov_b32_e32 v52, v50
.LBB58_58:                              ;   in Loop: Header=BB58_2 Depth=1
	s_or_b64 exec, exec, s[24:25]
	v_add_u32_e32 v57, 1, v55
	v_add_u32_e32 v56, 1, v54
	v_cndmask_b32_e64 v58, v57, v55, s[22:23]
	v_cndmask_b32_e64 v56, v54, v56, s[22:23]
	v_cmp_ge_i32_e64 s[24:25], v58, v10
	s_waitcnt lgkmcnt(0)
	v_cmp_lt_i16_sdwa s[26:27], sext(v53), sext(v52) src0_sel:BYTE_0 src1_sel:BYTE_0
	v_cmp_lt_i32_e32 vcc, v56, v11
	s_or_b64 s[24:25], s[24:25], s[26:27]
	s_and_b64 vcc, vcc, s[24:25]
	s_xor_b64 s[24:25], vcc, -1
                                        ; implicit-def: $vgpr54
	s_and_saveexec_b64 s[26:27], s[24:25]
	s_xor_b64 s[24:25], exec, s[26:27]
; %bb.59:                               ;   in Loop: Header=BB58_2 Depth=1
	ds_read_u8 v54, v58 offset:1
; %bb.60:                               ;   in Loop: Header=BB58_2 Depth=1
	s_or_saveexec_b64 s[24:25], s[24:25]
	v_mov_b32_e32 v55, v53
	s_xor_b64 exec, exec, s[24:25]
	s_cbranch_execz .LBB58_62
; %bb.61:                               ;   in Loop: Header=BB58_2 Depth=1
	ds_read_u8 v55, v56 offset:1
	s_waitcnt lgkmcnt(1)
	v_mov_b32_e32 v54, v52
.LBB58_62:                              ;   in Loop: Header=BB58_2 Depth=1
	s_or_b64 exec, exec, s[24:25]
	v_add_u32_e32 v59, 1, v58
	v_add_u32_e32 v57, 1, v56
	v_cndmask_b32_e32 v58, v59, v58, vcc
	v_cndmask_b32_e32 v57, v56, v57, vcc
	v_cmp_ge_i32_e64 s[26:27], v58, v10
	s_waitcnt lgkmcnt(0)
	v_cmp_lt_i16_sdwa s[44:45], sext(v55), sext(v54) src0_sel:BYTE_0 src1_sel:BYTE_0
	v_cmp_lt_i32_e64 s[24:25], v57, v11
	s_or_b64 s[26:27], s[26:27], s[44:45]
	s_and_b64 s[24:25], s[24:25], s[26:27]
	s_xor_b64 s[26:27], s[24:25], -1
                                        ; implicit-def: $vgpr56
	s_and_saveexec_b64 s[44:45], s[26:27]
	s_xor_b64 s[26:27], exec, s[44:45]
; %bb.63:                               ;   in Loop: Header=BB58_2 Depth=1
	ds_read_u8 v56, v58 offset:1
; %bb.64:                               ;   in Loop: Header=BB58_2 Depth=1
	s_or_saveexec_b64 s[26:27], s[26:27]
	v_mov_b32_e32 v59, v55
	s_xor_b64 exec, exec, s[26:27]
	s_cbranch_execz .LBB58_66
; %bb.65:                               ;   in Loop: Header=BB58_2 Depth=1
	ds_read_u8 v59, v57 offset:1
	s_waitcnt lgkmcnt(1)
	v_mov_b32_e32 v56, v54
.LBB58_66:                              ;   in Loop: Header=BB58_2 Depth=1
	s_or_b64 exec, exec, s[26:27]
	v_cndmask_b32_e64 v54, v54, v55, s[24:25]
	v_add_u32_e32 v55, 1, v57
	v_add_u32_e32 v60, 1, v58
	v_cndmask_b32_e64 v55, v57, v55, s[24:25]
	v_cndmask_b32_e64 v57, v60, v58, s[24:25]
	v_cndmask_b32_sdwa v52, v52, v53, vcc dst_sel:BYTE_1 dst_unused:UNUSED_PAD src0_sel:DWORD src1_sel:DWORD
	s_mov_b64 vcc, s[20:21]
	v_cndmask_b32_e64 v44, v44, v45, s[16:17]
	v_cndmask_b32_e64 v42, v42, v43, s[14:15]
	v_cmp_ge_i32_e64 s[14:15], v57, v10
	s_waitcnt lgkmcnt(0)
	v_cmp_lt_i16_sdwa s[16:17], sext(v59), sext(v56) src0_sel:BYTE_0 src1_sel:BYTE_0
	v_cndmask_b32_sdwa v48, v48, v49, vcc dst_sel:BYTE_1 dst_unused:UNUSED_PAD src0_sel:DWORD src1_sel:DWORD
	v_cmp_lt_i32_e32 vcc, v55, v11
	s_or_b64 s[14:15], s[14:15], s[16:17]
	s_and_b64 vcc, vcc, s[14:15]
	v_cndmask_b32_e64 v46, v46, v47, s[18:19]
	v_cndmask_b32_e32 v43, v56, v59, vcc
	v_lshlrev_b16_e32 v44, 8, v44
	v_cndmask_b32_e64 v50, v50, v51, s[22:23]
	v_or_b32_sdwa v42, v42, v44 dst_sel:DWORD dst_unused:UNUSED_PAD src0_sel:BYTE_0 src1_sel:DWORD
	v_or_b32_sdwa v44, v46, v48 dst_sel:WORD_1 dst_unused:UNUSED_PAD src0_sel:BYTE_0 src1_sel:DWORD
	v_lshlrev_b16_e32 v43, 8, v43
	v_or_b32_sdwa v42, v42, v44 dst_sel:DWORD dst_unused:UNUSED_PAD src0_sel:WORD_0 src1_sel:DWORD
	v_or_b32_sdwa v44, v50, v52 dst_sel:DWORD dst_unused:UNUSED_PAD src0_sel:BYTE_0 src1_sel:DWORD
	v_or_b32_sdwa v43, v54, v43 dst_sel:WORD_1 dst_unused:UNUSED_PAD src0_sel:BYTE_0 src1_sel:DWORD
	v_or_b32_sdwa v43, v44, v43 dst_sel:DWORD dst_unused:UNUSED_PAD src0_sel:WORD_0 src1_sel:DWORD
	s_barrier
	ds_write_b64 v1, v[42:43]
	v_mov_b32_e32 v42, v32
	s_waitcnt lgkmcnt(0)
	s_barrier
	s_and_saveexec_b64 s[14:15], s[4:5]
	s_cbranch_execz .LBB58_70
; %bb.67:                               ;   in Loop: Header=BB58_2 Depth=1
	s_mov_b64 s[16:17], 0
	v_mov_b32_e32 v42, v32
	v_mov_b32_e32 v43, v27
.LBB58_68:                              ;   Parent Loop BB58_2 Depth=1
                                        ; =>  This Inner Loop Header: Depth=2
	v_sub_u32_e32 v44, v43, v42
	v_lshrrev_b32_e32 v44, 1, v44
	v_add_u32_e32 v44, v44, v42
	v_add_u32_e32 v45, v4, v44
	v_xad_u32 v46, v44, -1, v22
	ds_read_i8 v45, v45
	ds_read_i8 v46, v46
	v_add_u32_e32 v47, 1, v44
	s_waitcnt lgkmcnt(0)
	v_cmp_lt_i16_e32 vcc, v46, v45
	v_cndmask_b32_e32 v43, v43, v44, vcc
	v_cndmask_b32_e32 v42, v47, v42, vcc
	v_cmp_ge_i32_e32 vcc, v42, v43
	s_or_b64 s[16:17], vcc, s[16:17]
	s_andn2_b64 exec, exec, s[16:17]
	s_cbranch_execnz .LBB58_68
; %bb.69:                               ;   in Loop: Header=BB58_2 Depth=1
	s_or_b64 exec, exec, s[16:17]
.LBB58_70:                              ;   in Loop: Header=BB58_2 Depth=1
	s_or_b64 exec, exec, s[14:15]
	v_add_u32_e32 v46, v42, v4
	v_sub_u32_e32 v47, v22, v42
	ds_read_u8 v42, v46
	ds_read_u8 v43, v47
	v_cmp_le_i32_e64 s[14:15], v12, v46
	v_cmp_gt_i32_e32 vcc, v13, v47
                                        ; implicit-def: $vgpr44
	s_waitcnt lgkmcnt(1)
	v_bfe_i32 v42, v42, 0, 8
	s_waitcnt lgkmcnt(0)
	v_bfe_i32 v43, v43, 0, 8
	v_cmp_lt_i16_e64 s[16:17], v43, v42
	s_or_b64 s[14:15], s[14:15], s[16:17]
	s_and_b64 s[14:15], vcc, s[14:15]
	s_xor_b64 s[16:17], s[14:15], -1
	s_and_saveexec_b64 s[18:19], s[16:17]
	s_xor_b64 s[16:17], exec, s[18:19]
; %bb.71:                               ;   in Loop: Header=BB58_2 Depth=1
	ds_read_u8 v44, v46 offset:1
; %bb.72:                               ;   in Loop: Header=BB58_2 Depth=1
	s_or_saveexec_b64 s[16:17], s[16:17]
	v_mov_b32_e32 v45, v43
	s_xor_b64 exec, exec, s[16:17]
	s_cbranch_execz .LBB58_74
; %bb.73:                               ;   in Loop: Header=BB58_2 Depth=1
	ds_read_u8 v45, v47 offset:1
	s_waitcnt lgkmcnt(1)
	v_mov_b32_e32 v44, v42
.LBB58_74:                              ;   in Loop: Header=BB58_2 Depth=1
	s_or_b64 exec, exec, s[16:17]
	v_add_u32_e32 v49, 1, v46
	v_add_u32_e32 v48, 1, v47
	v_cndmask_b32_e64 v49, v49, v46, s[14:15]
	v_cndmask_b32_e64 v48, v47, v48, s[14:15]
	v_cmp_ge_i32_e64 s[16:17], v49, v12
	s_waitcnt lgkmcnt(0)
	v_cmp_lt_i16_sdwa s[18:19], sext(v45), sext(v44) src0_sel:BYTE_0 src1_sel:BYTE_0
	v_cmp_lt_i32_e32 vcc, v48, v13
	s_or_b64 s[16:17], s[16:17], s[18:19]
	s_and_b64 s[16:17], vcc, s[16:17]
	s_xor_b64 s[18:19], s[16:17], -1
                                        ; implicit-def: $vgpr46
	s_and_saveexec_b64 s[20:21], s[18:19]
	s_xor_b64 s[18:19], exec, s[20:21]
; %bb.75:                               ;   in Loop: Header=BB58_2 Depth=1
	ds_read_u8 v46, v49 offset:1
; %bb.76:                               ;   in Loop: Header=BB58_2 Depth=1
	s_or_saveexec_b64 s[18:19], s[18:19]
	v_mov_b32_e32 v47, v45
	s_xor_b64 exec, exec, s[18:19]
	s_cbranch_execz .LBB58_78
; %bb.77:                               ;   in Loop: Header=BB58_2 Depth=1
	ds_read_u8 v47, v48 offset:1
	s_waitcnt lgkmcnt(1)
	v_mov_b32_e32 v46, v44
.LBB58_78:                              ;   in Loop: Header=BB58_2 Depth=1
	s_or_b64 exec, exec, s[18:19]
	v_add_u32_e32 v51, 1, v49
	v_add_u32_e32 v50, 1, v48
	v_cndmask_b32_e64 v51, v51, v49, s[16:17]
	v_cndmask_b32_e64 v50, v48, v50, s[16:17]
	v_cmp_ge_i32_e64 s[18:19], v51, v12
	s_waitcnt lgkmcnt(0)
	v_cmp_lt_i16_sdwa s[20:21], sext(v47), sext(v46) src0_sel:BYTE_0 src1_sel:BYTE_0
	v_cmp_lt_i32_e32 vcc, v50, v13
	s_or_b64 s[18:19], s[18:19], s[20:21]
	s_and_b64 s[18:19], vcc, s[18:19]
	s_xor_b64 s[20:21], s[18:19], -1
                                        ; implicit-def: $vgpr48
	s_and_saveexec_b64 s[22:23], s[20:21]
	s_xor_b64 s[20:21], exec, s[22:23]
; %bb.79:                               ;   in Loop: Header=BB58_2 Depth=1
	ds_read_u8 v48, v51 offset:1
; %bb.80:                               ;   in Loop: Header=BB58_2 Depth=1
	s_or_saveexec_b64 s[20:21], s[20:21]
	v_mov_b32_e32 v49, v47
	s_xor_b64 exec, exec, s[20:21]
	s_cbranch_execz .LBB58_82
; %bb.81:                               ;   in Loop: Header=BB58_2 Depth=1
	ds_read_u8 v49, v50 offset:1
	s_waitcnt lgkmcnt(1)
	v_mov_b32_e32 v48, v46
.LBB58_82:                              ;   in Loop: Header=BB58_2 Depth=1
	s_or_b64 exec, exec, s[20:21]
	v_add_u32_e32 v53, 1, v51
	v_add_u32_e32 v52, 1, v50
	v_cndmask_b32_e64 v53, v53, v51, s[18:19]
	v_cndmask_b32_e64 v52, v50, v52, s[18:19]
	v_cmp_ge_i32_e64 s[20:21], v53, v12
	s_waitcnt lgkmcnt(0)
	v_cmp_lt_i16_sdwa s[22:23], sext(v49), sext(v48) src0_sel:BYTE_0 src1_sel:BYTE_0
	v_cmp_lt_i32_e32 vcc, v52, v13
	s_or_b64 s[20:21], s[20:21], s[22:23]
	s_and_b64 s[20:21], vcc, s[20:21]
	s_xor_b64 s[22:23], s[20:21], -1
                                        ; implicit-def: $vgpr50
	s_and_saveexec_b64 s[24:25], s[22:23]
	s_xor_b64 s[22:23], exec, s[24:25]
; %bb.83:                               ;   in Loop: Header=BB58_2 Depth=1
	ds_read_u8 v50, v53 offset:1
; %bb.84:                               ;   in Loop: Header=BB58_2 Depth=1
	s_or_saveexec_b64 s[22:23], s[22:23]
	v_mov_b32_e32 v51, v49
	s_xor_b64 exec, exec, s[22:23]
	s_cbranch_execz .LBB58_86
; %bb.85:                               ;   in Loop: Header=BB58_2 Depth=1
	ds_read_u8 v51, v52 offset:1
	s_waitcnt lgkmcnt(1)
	v_mov_b32_e32 v50, v48
.LBB58_86:                              ;   in Loop: Header=BB58_2 Depth=1
	s_or_b64 exec, exec, s[22:23]
	v_add_u32_e32 v55, 1, v53
	v_add_u32_e32 v54, 1, v52
	v_cndmask_b32_e64 v55, v55, v53, s[20:21]
	v_cndmask_b32_e64 v54, v52, v54, s[20:21]
	v_cmp_ge_i32_e64 s[22:23], v55, v12
	s_waitcnt lgkmcnt(0)
	v_cmp_lt_i16_sdwa s[24:25], sext(v51), sext(v50) src0_sel:BYTE_0 src1_sel:BYTE_0
	v_cmp_lt_i32_e32 vcc, v54, v13
	s_or_b64 s[22:23], s[22:23], s[24:25]
	s_and_b64 s[22:23], vcc, s[22:23]
	s_xor_b64 s[24:25], s[22:23], -1
                                        ; implicit-def: $vgpr52
	s_and_saveexec_b64 s[26:27], s[24:25]
	s_xor_b64 s[24:25], exec, s[26:27]
; %bb.87:                               ;   in Loop: Header=BB58_2 Depth=1
	ds_read_u8 v52, v55 offset:1
; %bb.88:                               ;   in Loop: Header=BB58_2 Depth=1
	s_or_saveexec_b64 s[24:25], s[24:25]
	v_mov_b32_e32 v53, v51
	s_xor_b64 exec, exec, s[24:25]
	s_cbranch_execz .LBB58_90
; %bb.89:                               ;   in Loop: Header=BB58_2 Depth=1
	ds_read_u8 v53, v54 offset:1
	s_waitcnt lgkmcnt(1)
	v_mov_b32_e32 v52, v50
.LBB58_90:                              ;   in Loop: Header=BB58_2 Depth=1
	s_or_b64 exec, exec, s[24:25]
	v_add_u32_e32 v57, 1, v55
	v_add_u32_e32 v56, 1, v54
	v_cndmask_b32_e64 v58, v57, v55, s[22:23]
	v_cndmask_b32_e64 v56, v54, v56, s[22:23]
	v_cmp_ge_i32_e64 s[24:25], v58, v12
	s_waitcnt lgkmcnt(0)
	v_cmp_lt_i16_sdwa s[26:27], sext(v53), sext(v52) src0_sel:BYTE_0 src1_sel:BYTE_0
	v_cmp_lt_i32_e32 vcc, v56, v13
	s_or_b64 s[24:25], s[24:25], s[26:27]
	s_and_b64 vcc, vcc, s[24:25]
	s_xor_b64 s[24:25], vcc, -1
                                        ; implicit-def: $vgpr54
	s_and_saveexec_b64 s[26:27], s[24:25]
	s_xor_b64 s[24:25], exec, s[26:27]
; %bb.91:                               ;   in Loop: Header=BB58_2 Depth=1
	ds_read_u8 v54, v58 offset:1
; %bb.92:                               ;   in Loop: Header=BB58_2 Depth=1
	s_or_saveexec_b64 s[24:25], s[24:25]
	v_mov_b32_e32 v55, v53
	s_xor_b64 exec, exec, s[24:25]
	s_cbranch_execz .LBB58_94
; %bb.93:                               ;   in Loop: Header=BB58_2 Depth=1
	ds_read_u8 v55, v56 offset:1
	s_waitcnt lgkmcnt(1)
	v_mov_b32_e32 v54, v52
.LBB58_94:                              ;   in Loop: Header=BB58_2 Depth=1
	s_or_b64 exec, exec, s[24:25]
	v_add_u32_e32 v59, 1, v58
	v_add_u32_e32 v57, 1, v56
	v_cndmask_b32_e32 v58, v59, v58, vcc
	v_cndmask_b32_e32 v57, v56, v57, vcc
	v_cmp_ge_i32_e64 s[26:27], v58, v12
	s_waitcnt lgkmcnt(0)
	v_cmp_lt_i16_sdwa s[44:45], sext(v55), sext(v54) src0_sel:BYTE_0 src1_sel:BYTE_0
	v_cmp_lt_i32_e64 s[24:25], v57, v13
	s_or_b64 s[26:27], s[26:27], s[44:45]
	s_and_b64 s[24:25], s[24:25], s[26:27]
	s_xor_b64 s[26:27], s[24:25], -1
                                        ; implicit-def: $vgpr56
	s_and_saveexec_b64 s[44:45], s[26:27]
	s_xor_b64 s[26:27], exec, s[44:45]
; %bb.95:                               ;   in Loop: Header=BB58_2 Depth=1
	ds_read_u8 v56, v58 offset:1
; %bb.96:                               ;   in Loop: Header=BB58_2 Depth=1
	s_or_saveexec_b64 s[26:27], s[26:27]
	v_mov_b32_e32 v59, v55
	s_xor_b64 exec, exec, s[26:27]
	s_cbranch_execz .LBB58_98
; %bb.97:                               ;   in Loop: Header=BB58_2 Depth=1
	ds_read_u8 v59, v57 offset:1
	s_waitcnt lgkmcnt(1)
	v_mov_b32_e32 v56, v54
.LBB58_98:                              ;   in Loop: Header=BB58_2 Depth=1
	s_or_b64 exec, exec, s[26:27]
	v_cndmask_b32_e64 v54, v54, v55, s[24:25]
	v_add_u32_e32 v55, 1, v57
	v_add_u32_e32 v60, 1, v58
	v_cndmask_b32_e64 v55, v57, v55, s[24:25]
	v_cndmask_b32_e64 v57, v60, v58, s[24:25]
	v_cndmask_b32_sdwa v52, v52, v53, vcc dst_sel:BYTE_1 dst_unused:UNUSED_PAD src0_sel:DWORD src1_sel:DWORD
	s_mov_b64 vcc, s[20:21]
	v_cndmask_b32_e64 v44, v44, v45, s[16:17]
	v_cndmask_b32_e64 v42, v42, v43, s[14:15]
	v_cmp_ge_i32_e64 s[14:15], v57, v12
	s_waitcnt lgkmcnt(0)
	v_cmp_lt_i16_sdwa s[16:17], sext(v59), sext(v56) src0_sel:BYTE_0 src1_sel:BYTE_0
	v_cndmask_b32_sdwa v48, v48, v49, vcc dst_sel:BYTE_1 dst_unused:UNUSED_PAD src0_sel:DWORD src1_sel:DWORD
	v_cmp_lt_i32_e32 vcc, v55, v13
	s_or_b64 s[14:15], s[14:15], s[16:17]
	s_and_b64 vcc, vcc, s[14:15]
	v_cndmask_b32_e64 v46, v46, v47, s[18:19]
	v_cndmask_b32_e32 v43, v56, v59, vcc
	v_lshlrev_b16_e32 v44, 8, v44
	v_cndmask_b32_e64 v50, v50, v51, s[22:23]
	v_or_b32_sdwa v42, v42, v44 dst_sel:DWORD dst_unused:UNUSED_PAD src0_sel:BYTE_0 src1_sel:DWORD
	v_or_b32_sdwa v44, v46, v48 dst_sel:WORD_1 dst_unused:UNUSED_PAD src0_sel:BYTE_0 src1_sel:DWORD
	v_lshlrev_b16_e32 v43, 8, v43
	v_or_b32_sdwa v42, v42, v44 dst_sel:DWORD dst_unused:UNUSED_PAD src0_sel:WORD_0 src1_sel:DWORD
	v_or_b32_sdwa v44, v50, v52 dst_sel:DWORD dst_unused:UNUSED_PAD src0_sel:BYTE_0 src1_sel:DWORD
	v_or_b32_sdwa v43, v54, v43 dst_sel:WORD_1 dst_unused:UNUSED_PAD src0_sel:BYTE_0 src1_sel:DWORD
	v_or_b32_sdwa v43, v44, v43 dst_sel:DWORD dst_unused:UNUSED_PAD src0_sel:WORD_0 src1_sel:DWORD
	s_barrier
	ds_write_b64 v1, v[42:43]
	v_mov_b32_e32 v42, v33
	s_waitcnt lgkmcnt(0)
	s_barrier
	s_and_saveexec_b64 s[14:15], s[6:7]
	s_cbranch_execz .LBB58_102
; %bb.99:                               ;   in Loop: Header=BB58_2 Depth=1
	s_mov_b64 s[16:17], 0
	v_mov_b32_e32 v42, v33
	v_mov_b32_e32 v43, v28
.LBB58_100:                             ;   Parent Loop BB58_2 Depth=1
                                        ; =>  This Inner Loop Header: Depth=2
	v_sub_u32_e32 v44, v43, v42
	v_lshrrev_b32_e32 v44, 1, v44
	v_add_u32_e32 v44, v44, v42
	v_add_u32_e32 v45, v5, v44
	v_xad_u32 v46, v44, -1, v23
	ds_read_i8 v45, v45
	ds_read_i8 v46, v46
	v_add_u32_e32 v47, 1, v44
	s_waitcnt lgkmcnt(0)
	v_cmp_lt_i16_e32 vcc, v46, v45
	v_cndmask_b32_e32 v43, v43, v44, vcc
	v_cndmask_b32_e32 v42, v47, v42, vcc
	v_cmp_ge_i32_e32 vcc, v42, v43
	s_or_b64 s[16:17], vcc, s[16:17]
	s_andn2_b64 exec, exec, s[16:17]
	s_cbranch_execnz .LBB58_100
; %bb.101:                              ;   in Loop: Header=BB58_2 Depth=1
	s_or_b64 exec, exec, s[16:17]
.LBB58_102:                             ;   in Loop: Header=BB58_2 Depth=1
	s_or_b64 exec, exec, s[14:15]
	v_add_u32_e32 v46, v42, v5
	v_sub_u32_e32 v47, v23, v42
	ds_read_u8 v42, v46
	ds_read_u8 v43, v47
	v_cmp_le_i32_e64 s[14:15], v14, v46
	v_cmp_gt_i32_e32 vcc, v15, v47
                                        ; implicit-def: $vgpr44
	s_waitcnt lgkmcnt(1)
	v_bfe_i32 v42, v42, 0, 8
	s_waitcnt lgkmcnt(0)
	v_bfe_i32 v43, v43, 0, 8
	v_cmp_lt_i16_e64 s[16:17], v43, v42
	s_or_b64 s[14:15], s[14:15], s[16:17]
	s_and_b64 s[14:15], vcc, s[14:15]
	s_xor_b64 s[16:17], s[14:15], -1
	s_and_saveexec_b64 s[18:19], s[16:17]
	s_xor_b64 s[16:17], exec, s[18:19]
; %bb.103:                              ;   in Loop: Header=BB58_2 Depth=1
	ds_read_u8 v44, v46 offset:1
; %bb.104:                              ;   in Loop: Header=BB58_2 Depth=1
	s_or_saveexec_b64 s[16:17], s[16:17]
	v_mov_b32_e32 v45, v43
	s_xor_b64 exec, exec, s[16:17]
	s_cbranch_execz .LBB58_106
; %bb.105:                              ;   in Loop: Header=BB58_2 Depth=1
	ds_read_u8 v45, v47 offset:1
	s_waitcnt lgkmcnt(1)
	v_mov_b32_e32 v44, v42
.LBB58_106:                             ;   in Loop: Header=BB58_2 Depth=1
	s_or_b64 exec, exec, s[16:17]
	v_add_u32_e32 v49, 1, v46
	v_add_u32_e32 v48, 1, v47
	v_cndmask_b32_e64 v49, v49, v46, s[14:15]
	v_cndmask_b32_e64 v48, v47, v48, s[14:15]
	v_cmp_ge_i32_e64 s[16:17], v49, v14
	s_waitcnt lgkmcnt(0)
	v_cmp_lt_i16_sdwa s[18:19], sext(v45), sext(v44) src0_sel:BYTE_0 src1_sel:BYTE_0
	v_cmp_lt_i32_e32 vcc, v48, v15
	s_or_b64 s[16:17], s[16:17], s[18:19]
	s_and_b64 s[16:17], vcc, s[16:17]
	s_xor_b64 s[18:19], s[16:17], -1
                                        ; implicit-def: $vgpr46
	s_and_saveexec_b64 s[20:21], s[18:19]
	s_xor_b64 s[18:19], exec, s[20:21]
; %bb.107:                              ;   in Loop: Header=BB58_2 Depth=1
	ds_read_u8 v46, v49 offset:1
; %bb.108:                              ;   in Loop: Header=BB58_2 Depth=1
	s_or_saveexec_b64 s[18:19], s[18:19]
	v_mov_b32_e32 v47, v45
	s_xor_b64 exec, exec, s[18:19]
	s_cbranch_execz .LBB58_110
; %bb.109:                              ;   in Loop: Header=BB58_2 Depth=1
	ds_read_u8 v47, v48 offset:1
	s_waitcnt lgkmcnt(1)
	v_mov_b32_e32 v46, v44
.LBB58_110:                             ;   in Loop: Header=BB58_2 Depth=1
	s_or_b64 exec, exec, s[18:19]
	v_add_u32_e32 v51, 1, v49
	v_add_u32_e32 v50, 1, v48
	v_cndmask_b32_e64 v51, v51, v49, s[16:17]
	v_cndmask_b32_e64 v50, v48, v50, s[16:17]
	v_cmp_ge_i32_e64 s[18:19], v51, v14
	s_waitcnt lgkmcnt(0)
	v_cmp_lt_i16_sdwa s[20:21], sext(v47), sext(v46) src0_sel:BYTE_0 src1_sel:BYTE_0
	v_cmp_lt_i32_e32 vcc, v50, v15
	s_or_b64 s[18:19], s[18:19], s[20:21]
	s_and_b64 s[18:19], vcc, s[18:19]
	s_xor_b64 s[20:21], s[18:19], -1
                                        ; implicit-def: $vgpr48
	s_and_saveexec_b64 s[22:23], s[20:21]
	s_xor_b64 s[20:21], exec, s[22:23]
; %bb.111:                              ;   in Loop: Header=BB58_2 Depth=1
	ds_read_u8 v48, v51 offset:1
; %bb.112:                              ;   in Loop: Header=BB58_2 Depth=1
	s_or_saveexec_b64 s[20:21], s[20:21]
	v_mov_b32_e32 v49, v47
	s_xor_b64 exec, exec, s[20:21]
	s_cbranch_execz .LBB58_114
; %bb.113:                              ;   in Loop: Header=BB58_2 Depth=1
	ds_read_u8 v49, v50 offset:1
	s_waitcnt lgkmcnt(1)
	v_mov_b32_e32 v48, v46
.LBB58_114:                             ;   in Loop: Header=BB58_2 Depth=1
	s_or_b64 exec, exec, s[20:21]
	v_add_u32_e32 v53, 1, v51
	v_add_u32_e32 v52, 1, v50
	v_cndmask_b32_e64 v53, v53, v51, s[18:19]
	v_cndmask_b32_e64 v52, v50, v52, s[18:19]
	v_cmp_ge_i32_e64 s[20:21], v53, v14
	s_waitcnt lgkmcnt(0)
	v_cmp_lt_i16_sdwa s[22:23], sext(v49), sext(v48) src0_sel:BYTE_0 src1_sel:BYTE_0
	v_cmp_lt_i32_e32 vcc, v52, v15
	s_or_b64 s[20:21], s[20:21], s[22:23]
	s_and_b64 s[20:21], vcc, s[20:21]
	s_xor_b64 s[22:23], s[20:21], -1
                                        ; implicit-def: $vgpr50
	s_and_saveexec_b64 s[24:25], s[22:23]
	s_xor_b64 s[22:23], exec, s[24:25]
; %bb.115:                              ;   in Loop: Header=BB58_2 Depth=1
	ds_read_u8 v50, v53 offset:1
; %bb.116:                              ;   in Loop: Header=BB58_2 Depth=1
	s_or_saveexec_b64 s[22:23], s[22:23]
	v_mov_b32_e32 v51, v49
	s_xor_b64 exec, exec, s[22:23]
	s_cbranch_execz .LBB58_118
; %bb.117:                              ;   in Loop: Header=BB58_2 Depth=1
	ds_read_u8 v51, v52 offset:1
	s_waitcnt lgkmcnt(1)
	v_mov_b32_e32 v50, v48
.LBB58_118:                             ;   in Loop: Header=BB58_2 Depth=1
	s_or_b64 exec, exec, s[22:23]
	v_add_u32_e32 v55, 1, v53
	v_add_u32_e32 v54, 1, v52
	v_cndmask_b32_e64 v55, v55, v53, s[20:21]
	v_cndmask_b32_e64 v54, v52, v54, s[20:21]
	v_cmp_ge_i32_e64 s[22:23], v55, v14
	s_waitcnt lgkmcnt(0)
	v_cmp_lt_i16_sdwa s[24:25], sext(v51), sext(v50) src0_sel:BYTE_0 src1_sel:BYTE_0
	v_cmp_lt_i32_e32 vcc, v54, v15
	s_or_b64 s[22:23], s[22:23], s[24:25]
	s_and_b64 s[22:23], vcc, s[22:23]
	s_xor_b64 s[24:25], s[22:23], -1
                                        ; implicit-def: $vgpr52
	s_and_saveexec_b64 s[26:27], s[24:25]
	s_xor_b64 s[24:25], exec, s[26:27]
; %bb.119:                              ;   in Loop: Header=BB58_2 Depth=1
	ds_read_u8 v52, v55 offset:1
; %bb.120:                              ;   in Loop: Header=BB58_2 Depth=1
	s_or_saveexec_b64 s[24:25], s[24:25]
	v_mov_b32_e32 v53, v51
	s_xor_b64 exec, exec, s[24:25]
	s_cbranch_execz .LBB58_122
; %bb.121:                              ;   in Loop: Header=BB58_2 Depth=1
	ds_read_u8 v53, v54 offset:1
	s_waitcnt lgkmcnt(1)
	v_mov_b32_e32 v52, v50
.LBB58_122:                             ;   in Loop: Header=BB58_2 Depth=1
	s_or_b64 exec, exec, s[24:25]
	v_add_u32_e32 v57, 1, v55
	v_add_u32_e32 v56, 1, v54
	v_cndmask_b32_e64 v58, v57, v55, s[22:23]
	v_cndmask_b32_e64 v56, v54, v56, s[22:23]
	v_cmp_ge_i32_e64 s[24:25], v58, v14
	s_waitcnt lgkmcnt(0)
	v_cmp_lt_i16_sdwa s[26:27], sext(v53), sext(v52) src0_sel:BYTE_0 src1_sel:BYTE_0
	v_cmp_lt_i32_e32 vcc, v56, v15
	s_or_b64 s[24:25], s[24:25], s[26:27]
	s_and_b64 vcc, vcc, s[24:25]
	s_xor_b64 s[24:25], vcc, -1
                                        ; implicit-def: $vgpr54
	s_and_saveexec_b64 s[26:27], s[24:25]
	s_xor_b64 s[24:25], exec, s[26:27]
; %bb.123:                              ;   in Loop: Header=BB58_2 Depth=1
	ds_read_u8 v54, v58 offset:1
; %bb.124:                              ;   in Loop: Header=BB58_2 Depth=1
	s_or_saveexec_b64 s[24:25], s[24:25]
	v_mov_b32_e32 v55, v53
	s_xor_b64 exec, exec, s[24:25]
	s_cbranch_execz .LBB58_126
; %bb.125:                              ;   in Loop: Header=BB58_2 Depth=1
	ds_read_u8 v55, v56 offset:1
	s_waitcnt lgkmcnt(1)
	v_mov_b32_e32 v54, v52
.LBB58_126:                             ;   in Loop: Header=BB58_2 Depth=1
	s_or_b64 exec, exec, s[24:25]
	v_add_u32_e32 v59, 1, v58
	v_add_u32_e32 v57, 1, v56
	v_cndmask_b32_e32 v58, v59, v58, vcc
	v_cndmask_b32_e32 v57, v56, v57, vcc
	v_cmp_ge_i32_e64 s[26:27], v58, v14
	s_waitcnt lgkmcnt(0)
	v_cmp_lt_i16_sdwa s[44:45], sext(v55), sext(v54) src0_sel:BYTE_0 src1_sel:BYTE_0
	v_cmp_lt_i32_e64 s[24:25], v57, v15
	s_or_b64 s[26:27], s[26:27], s[44:45]
	s_and_b64 s[24:25], s[24:25], s[26:27]
	s_xor_b64 s[26:27], s[24:25], -1
                                        ; implicit-def: $vgpr56
	s_and_saveexec_b64 s[44:45], s[26:27]
	s_xor_b64 s[26:27], exec, s[44:45]
; %bb.127:                              ;   in Loop: Header=BB58_2 Depth=1
	ds_read_u8 v56, v58 offset:1
; %bb.128:                              ;   in Loop: Header=BB58_2 Depth=1
	s_or_saveexec_b64 s[26:27], s[26:27]
	v_mov_b32_e32 v59, v55
	s_xor_b64 exec, exec, s[26:27]
	s_cbranch_execz .LBB58_130
; %bb.129:                              ;   in Loop: Header=BB58_2 Depth=1
	ds_read_u8 v59, v57 offset:1
	s_waitcnt lgkmcnt(1)
	v_mov_b32_e32 v56, v54
.LBB58_130:                             ;   in Loop: Header=BB58_2 Depth=1
	s_or_b64 exec, exec, s[26:27]
	v_cndmask_b32_e64 v54, v54, v55, s[24:25]
	v_add_u32_e32 v55, 1, v57
	v_add_u32_e32 v60, 1, v58
	v_cndmask_b32_e64 v55, v57, v55, s[24:25]
	v_cndmask_b32_e64 v57, v60, v58, s[24:25]
	v_cndmask_b32_sdwa v52, v52, v53, vcc dst_sel:BYTE_1 dst_unused:UNUSED_PAD src0_sel:DWORD src1_sel:DWORD
	s_mov_b64 vcc, s[20:21]
	v_cndmask_b32_e64 v44, v44, v45, s[16:17]
	v_cndmask_b32_e64 v42, v42, v43, s[14:15]
	v_cmp_ge_i32_e64 s[14:15], v57, v14
	s_waitcnt lgkmcnt(0)
	v_cmp_lt_i16_sdwa s[16:17], sext(v59), sext(v56) src0_sel:BYTE_0 src1_sel:BYTE_0
	v_cndmask_b32_sdwa v48, v48, v49, vcc dst_sel:BYTE_1 dst_unused:UNUSED_PAD src0_sel:DWORD src1_sel:DWORD
	v_cmp_lt_i32_e32 vcc, v55, v15
	s_or_b64 s[14:15], s[14:15], s[16:17]
	s_and_b64 vcc, vcc, s[14:15]
	v_cndmask_b32_e64 v46, v46, v47, s[18:19]
	v_cndmask_b32_e32 v43, v56, v59, vcc
	v_lshlrev_b16_e32 v44, 8, v44
	v_cndmask_b32_e64 v50, v50, v51, s[22:23]
	v_or_b32_sdwa v42, v42, v44 dst_sel:DWORD dst_unused:UNUSED_PAD src0_sel:BYTE_0 src1_sel:DWORD
	v_or_b32_sdwa v44, v46, v48 dst_sel:WORD_1 dst_unused:UNUSED_PAD src0_sel:BYTE_0 src1_sel:DWORD
	v_lshlrev_b16_e32 v43, 8, v43
	v_or_b32_sdwa v42, v42, v44 dst_sel:DWORD dst_unused:UNUSED_PAD src0_sel:WORD_0 src1_sel:DWORD
	v_or_b32_sdwa v44, v50, v52 dst_sel:DWORD dst_unused:UNUSED_PAD src0_sel:BYTE_0 src1_sel:DWORD
	v_or_b32_sdwa v43, v54, v43 dst_sel:WORD_1 dst_unused:UNUSED_PAD src0_sel:BYTE_0 src1_sel:DWORD
	v_or_b32_sdwa v43, v44, v43 dst_sel:DWORD dst_unused:UNUSED_PAD src0_sel:WORD_0 src1_sel:DWORD
	s_barrier
	ds_write_b64 v1, v[42:43]
	v_mov_b32_e32 v42, v34
	s_waitcnt lgkmcnt(0)
	s_barrier
	s_and_saveexec_b64 s[14:15], s[8:9]
	s_cbranch_execz .LBB58_134
; %bb.131:                              ;   in Loop: Header=BB58_2 Depth=1
	s_mov_b64 s[16:17], 0
	v_mov_b32_e32 v42, v34
	v_mov_b32_e32 v43, v29
.LBB58_132:                             ;   Parent Loop BB58_2 Depth=1
                                        ; =>  This Inner Loop Header: Depth=2
	v_sub_u32_e32 v44, v43, v42
	v_lshrrev_b32_e32 v44, 1, v44
	v_add_u32_e32 v44, v44, v42
	v_add_u32_e32 v45, v6, v44
	v_xad_u32 v46, v44, -1, v24
	ds_read_i8 v45, v45
	ds_read_i8 v46, v46
	v_add_u32_e32 v47, 1, v44
	s_waitcnt lgkmcnt(0)
	v_cmp_lt_i16_e32 vcc, v46, v45
	v_cndmask_b32_e32 v43, v43, v44, vcc
	v_cndmask_b32_e32 v42, v47, v42, vcc
	v_cmp_ge_i32_e32 vcc, v42, v43
	s_or_b64 s[16:17], vcc, s[16:17]
	s_andn2_b64 exec, exec, s[16:17]
	s_cbranch_execnz .LBB58_132
; %bb.133:                              ;   in Loop: Header=BB58_2 Depth=1
	s_or_b64 exec, exec, s[16:17]
.LBB58_134:                             ;   in Loop: Header=BB58_2 Depth=1
	s_or_b64 exec, exec, s[14:15]
	v_add_u32_e32 v46, v42, v6
	v_sub_u32_e32 v47, v24, v42
	ds_read_u8 v42, v46
	ds_read_u8 v43, v47
	v_cmp_le_i32_e64 s[14:15], v16, v46
	v_cmp_gt_i32_e32 vcc, v17, v47
                                        ; implicit-def: $vgpr44
	s_waitcnt lgkmcnt(1)
	v_bfe_i32 v42, v42, 0, 8
	s_waitcnt lgkmcnt(0)
	v_bfe_i32 v43, v43, 0, 8
	v_cmp_lt_i16_e64 s[16:17], v43, v42
	s_or_b64 s[14:15], s[14:15], s[16:17]
	s_and_b64 s[14:15], vcc, s[14:15]
	s_xor_b64 s[16:17], s[14:15], -1
	s_and_saveexec_b64 s[18:19], s[16:17]
	s_xor_b64 s[16:17], exec, s[18:19]
; %bb.135:                              ;   in Loop: Header=BB58_2 Depth=1
	ds_read_u8 v44, v46 offset:1
; %bb.136:                              ;   in Loop: Header=BB58_2 Depth=1
	s_or_saveexec_b64 s[16:17], s[16:17]
	v_mov_b32_e32 v45, v43
	s_xor_b64 exec, exec, s[16:17]
	s_cbranch_execz .LBB58_138
; %bb.137:                              ;   in Loop: Header=BB58_2 Depth=1
	ds_read_u8 v45, v47 offset:1
	s_waitcnt lgkmcnt(1)
	v_mov_b32_e32 v44, v42
.LBB58_138:                             ;   in Loop: Header=BB58_2 Depth=1
	s_or_b64 exec, exec, s[16:17]
	v_add_u32_e32 v49, 1, v46
	v_add_u32_e32 v48, 1, v47
	v_cndmask_b32_e64 v49, v49, v46, s[14:15]
	v_cndmask_b32_e64 v48, v47, v48, s[14:15]
	v_cmp_ge_i32_e64 s[16:17], v49, v16
	s_waitcnt lgkmcnt(0)
	v_cmp_lt_i16_sdwa s[18:19], sext(v45), sext(v44) src0_sel:BYTE_0 src1_sel:BYTE_0
	v_cmp_lt_i32_e32 vcc, v48, v17
	s_or_b64 s[16:17], s[16:17], s[18:19]
	s_and_b64 s[16:17], vcc, s[16:17]
	s_xor_b64 s[18:19], s[16:17], -1
                                        ; implicit-def: $vgpr46
	s_and_saveexec_b64 s[20:21], s[18:19]
	s_xor_b64 s[18:19], exec, s[20:21]
; %bb.139:                              ;   in Loop: Header=BB58_2 Depth=1
	ds_read_u8 v46, v49 offset:1
; %bb.140:                              ;   in Loop: Header=BB58_2 Depth=1
	s_or_saveexec_b64 s[18:19], s[18:19]
	v_mov_b32_e32 v47, v45
	s_xor_b64 exec, exec, s[18:19]
	s_cbranch_execz .LBB58_142
; %bb.141:                              ;   in Loop: Header=BB58_2 Depth=1
	ds_read_u8 v47, v48 offset:1
	s_waitcnt lgkmcnt(1)
	v_mov_b32_e32 v46, v44
.LBB58_142:                             ;   in Loop: Header=BB58_2 Depth=1
	s_or_b64 exec, exec, s[18:19]
	v_add_u32_e32 v51, 1, v49
	v_add_u32_e32 v50, 1, v48
	v_cndmask_b32_e64 v51, v51, v49, s[16:17]
	v_cndmask_b32_e64 v50, v48, v50, s[16:17]
	v_cmp_ge_i32_e64 s[18:19], v51, v16
	s_waitcnt lgkmcnt(0)
	v_cmp_lt_i16_sdwa s[20:21], sext(v47), sext(v46) src0_sel:BYTE_0 src1_sel:BYTE_0
	v_cmp_lt_i32_e32 vcc, v50, v17
	s_or_b64 s[18:19], s[18:19], s[20:21]
	s_and_b64 s[18:19], vcc, s[18:19]
	s_xor_b64 s[20:21], s[18:19], -1
                                        ; implicit-def: $vgpr48
	s_and_saveexec_b64 s[22:23], s[20:21]
	s_xor_b64 s[20:21], exec, s[22:23]
; %bb.143:                              ;   in Loop: Header=BB58_2 Depth=1
	ds_read_u8 v48, v51 offset:1
; %bb.144:                              ;   in Loop: Header=BB58_2 Depth=1
	s_or_saveexec_b64 s[20:21], s[20:21]
	v_mov_b32_e32 v49, v47
	s_xor_b64 exec, exec, s[20:21]
	s_cbranch_execz .LBB58_146
; %bb.145:                              ;   in Loop: Header=BB58_2 Depth=1
	ds_read_u8 v49, v50 offset:1
	s_waitcnt lgkmcnt(1)
	v_mov_b32_e32 v48, v46
.LBB58_146:                             ;   in Loop: Header=BB58_2 Depth=1
	s_or_b64 exec, exec, s[20:21]
	v_add_u32_e32 v53, 1, v51
	v_add_u32_e32 v52, 1, v50
	v_cndmask_b32_e64 v53, v53, v51, s[18:19]
	v_cndmask_b32_e64 v52, v50, v52, s[18:19]
	v_cmp_ge_i32_e64 s[20:21], v53, v16
	s_waitcnt lgkmcnt(0)
	v_cmp_lt_i16_sdwa s[22:23], sext(v49), sext(v48) src0_sel:BYTE_0 src1_sel:BYTE_0
	v_cmp_lt_i32_e32 vcc, v52, v17
	s_or_b64 s[20:21], s[20:21], s[22:23]
	s_and_b64 s[20:21], vcc, s[20:21]
	s_xor_b64 s[22:23], s[20:21], -1
                                        ; implicit-def: $vgpr50
	s_and_saveexec_b64 s[24:25], s[22:23]
	s_xor_b64 s[22:23], exec, s[24:25]
; %bb.147:                              ;   in Loop: Header=BB58_2 Depth=1
	ds_read_u8 v50, v53 offset:1
; %bb.148:                              ;   in Loop: Header=BB58_2 Depth=1
	s_or_saveexec_b64 s[22:23], s[22:23]
	v_mov_b32_e32 v51, v49
	s_xor_b64 exec, exec, s[22:23]
	s_cbranch_execz .LBB58_150
; %bb.149:                              ;   in Loop: Header=BB58_2 Depth=1
	ds_read_u8 v51, v52 offset:1
	s_waitcnt lgkmcnt(1)
	v_mov_b32_e32 v50, v48
.LBB58_150:                             ;   in Loop: Header=BB58_2 Depth=1
	s_or_b64 exec, exec, s[22:23]
	v_add_u32_e32 v55, 1, v53
	v_add_u32_e32 v54, 1, v52
	v_cndmask_b32_e64 v55, v55, v53, s[20:21]
	v_cndmask_b32_e64 v54, v52, v54, s[20:21]
	v_cmp_ge_i32_e64 s[22:23], v55, v16
	s_waitcnt lgkmcnt(0)
	v_cmp_lt_i16_sdwa s[24:25], sext(v51), sext(v50) src0_sel:BYTE_0 src1_sel:BYTE_0
	v_cmp_lt_i32_e32 vcc, v54, v17
	s_or_b64 s[22:23], s[22:23], s[24:25]
	s_and_b64 s[22:23], vcc, s[22:23]
	s_xor_b64 s[24:25], s[22:23], -1
                                        ; implicit-def: $vgpr52
	s_and_saveexec_b64 s[26:27], s[24:25]
	s_xor_b64 s[24:25], exec, s[26:27]
; %bb.151:                              ;   in Loop: Header=BB58_2 Depth=1
	ds_read_u8 v52, v55 offset:1
; %bb.152:                              ;   in Loop: Header=BB58_2 Depth=1
	s_or_saveexec_b64 s[24:25], s[24:25]
	v_mov_b32_e32 v53, v51
	s_xor_b64 exec, exec, s[24:25]
	s_cbranch_execz .LBB58_154
; %bb.153:                              ;   in Loop: Header=BB58_2 Depth=1
	ds_read_u8 v53, v54 offset:1
	s_waitcnt lgkmcnt(1)
	v_mov_b32_e32 v52, v50
.LBB58_154:                             ;   in Loop: Header=BB58_2 Depth=1
	s_or_b64 exec, exec, s[24:25]
	v_add_u32_e32 v57, 1, v55
	v_add_u32_e32 v56, 1, v54
	v_cndmask_b32_e64 v58, v57, v55, s[22:23]
	v_cndmask_b32_e64 v56, v54, v56, s[22:23]
	v_cmp_ge_i32_e64 s[24:25], v58, v16
	s_waitcnt lgkmcnt(0)
	v_cmp_lt_i16_sdwa s[26:27], sext(v53), sext(v52) src0_sel:BYTE_0 src1_sel:BYTE_0
	v_cmp_lt_i32_e32 vcc, v56, v17
	s_or_b64 s[24:25], s[24:25], s[26:27]
	s_and_b64 vcc, vcc, s[24:25]
	s_xor_b64 s[24:25], vcc, -1
                                        ; implicit-def: $vgpr54
	s_and_saveexec_b64 s[26:27], s[24:25]
	s_xor_b64 s[24:25], exec, s[26:27]
; %bb.155:                              ;   in Loop: Header=BB58_2 Depth=1
	ds_read_u8 v54, v58 offset:1
; %bb.156:                              ;   in Loop: Header=BB58_2 Depth=1
	s_or_saveexec_b64 s[24:25], s[24:25]
	v_mov_b32_e32 v55, v53
	s_xor_b64 exec, exec, s[24:25]
	s_cbranch_execz .LBB58_158
; %bb.157:                              ;   in Loop: Header=BB58_2 Depth=1
	ds_read_u8 v55, v56 offset:1
	s_waitcnt lgkmcnt(1)
	v_mov_b32_e32 v54, v52
.LBB58_158:                             ;   in Loop: Header=BB58_2 Depth=1
	s_or_b64 exec, exec, s[24:25]
	v_add_u32_e32 v59, 1, v58
	v_add_u32_e32 v57, 1, v56
	v_cndmask_b32_e32 v58, v59, v58, vcc
	v_cndmask_b32_e32 v57, v56, v57, vcc
	v_cmp_ge_i32_e64 s[26:27], v58, v16
	s_waitcnt lgkmcnt(0)
	v_cmp_lt_i16_sdwa s[44:45], sext(v55), sext(v54) src0_sel:BYTE_0 src1_sel:BYTE_0
	v_cmp_lt_i32_e64 s[24:25], v57, v17
	s_or_b64 s[26:27], s[26:27], s[44:45]
	s_and_b64 s[24:25], s[24:25], s[26:27]
	s_xor_b64 s[26:27], s[24:25], -1
                                        ; implicit-def: $vgpr56
	s_and_saveexec_b64 s[44:45], s[26:27]
	s_xor_b64 s[26:27], exec, s[44:45]
; %bb.159:                              ;   in Loop: Header=BB58_2 Depth=1
	ds_read_u8 v56, v58 offset:1
; %bb.160:                              ;   in Loop: Header=BB58_2 Depth=1
	s_or_saveexec_b64 s[26:27], s[26:27]
	v_mov_b32_e32 v59, v55
	s_xor_b64 exec, exec, s[26:27]
	s_cbranch_execz .LBB58_162
; %bb.161:                              ;   in Loop: Header=BB58_2 Depth=1
	ds_read_u8 v59, v57 offset:1
	s_waitcnt lgkmcnt(1)
	v_mov_b32_e32 v56, v54
.LBB58_162:                             ;   in Loop: Header=BB58_2 Depth=1
	s_or_b64 exec, exec, s[26:27]
	v_cndmask_b32_e64 v54, v54, v55, s[24:25]
	v_add_u32_e32 v55, 1, v57
	v_add_u32_e32 v60, 1, v58
	v_cndmask_b32_e64 v55, v57, v55, s[24:25]
	v_cndmask_b32_e64 v57, v60, v58, s[24:25]
	v_cndmask_b32_sdwa v52, v52, v53, vcc dst_sel:BYTE_1 dst_unused:UNUSED_PAD src0_sel:DWORD src1_sel:DWORD
	s_mov_b64 vcc, s[20:21]
	v_cndmask_b32_e64 v44, v44, v45, s[16:17]
	v_cndmask_b32_e64 v42, v42, v43, s[14:15]
	v_cmp_ge_i32_e64 s[14:15], v57, v16
	s_waitcnt lgkmcnt(0)
	v_cmp_lt_i16_sdwa s[16:17], sext(v59), sext(v56) src0_sel:BYTE_0 src1_sel:BYTE_0
	v_cndmask_b32_sdwa v48, v48, v49, vcc dst_sel:BYTE_1 dst_unused:UNUSED_PAD src0_sel:DWORD src1_sel:DWORD
	v_cmp_lt_i32_e32 vcc, v55, v17
	s_or_b64 s[14:15], s[14:15], s[16:17]
	s_and_b64 vcc, vcc, s[14:15]
	v_cndmask_b32_e64 v46, v46, v47, s[18:19]
	v_cndmask_b32_e32 v43, v56, v59, vcc
	v_lshlrev_b16_e32 v44, 8, v44
	v_cndmask_b32_e64 v50, v50, v51, s[22:23]
	v_or_b32_sdwa v42, v42, v44 dst_sel:DWORD dst_unused:UNUSED_PAD src0_sel:BYTE_0 src1_sel:DWORD
	v_or_b32_sdwa v44, v46, v48 dst_sel:WORD_1 dst_unused:UNUSED_PAD src0_sel:BYTE_0 src1_sel:DWORD
	v_lshlrev_b16_e32 v43, 8, v43
	v_or_b32_sdwa v42, v42, v44 dst_sel:DWORD dst_unused:UNUSED_PAD src0_sel:WORD_0 src1_sel:DWORD
	v_or_b32_sdwa v44, v50, v52 dst_sel:DWORD dst_unused:UNUSED_PAD src0_sel:BYTE_0 src1_sel:DWORD
	v_or_b32_sdwa v43, v54, v43 dst_sel:WORD_1 dst_unused:UNUSED_PAD src0_sel:BYTE_0 src1_sel:DWORD
	v_or_b32_sdwa v43, v44, v43 dst_sel:DWORD dst_unused:UNUSED_PAD src0_sel:WORD_0 src1_sel:DWORD
	s_barrier
	ds_write_b64 v1, v[42:43]
	v_mov_b32_e32 v42, v35
	s_waitcnt lgkmcnt(0)
	s_barrier
	s_and_saveexec_b64 s[14:15], s[10:11]
	s_cbranch_execz .LBB58_166
; %bb.163:                              ;   in Loop: Header=BB58_2 Depth=1
	s_mov_b64 s[16:17], 0
	v_mov_b32_e32 v42, v35
	v_mov_b32_e32 v43, v36
.LBB58_164:                             ;   Parent Loop BB58_2 Depth=1
                                        ; =>  This Inner Loop Header: Depth=2
	v_sub_u32_e32 v44, v43, v42
	v_lshrrev_b32_e32 v44, 1, v44
	v_add_u32_e32 v44, v44, v42
	v_add_u32_e32 v45, v7, v44
	v_xad_u32 v46, v44, -1, v37
	ds_read_i8 v45, v45
	ds_read_i8 v46, v46
	v_add_u32_e32 v47, 1, v44
	s_waitcnt lgkmcnt(0)
	v_cmp_lt_i16_e32 vcc, v46, v45
	v_cndmask_b32_e32 v43, v43, v44, vcc
	v_cndmask_b32_e32 v42, v47, v42, vcc
	v_cmp_ge_i32_e32 vcc, v42, v43
	s_or_b64 s[16:17], vcc, s[16:17]
	s_andn2_b64 exec, exec, s[16:17]
	s_cbranch_execnz .LBB58_164
; %bb.165:                              ;   in Loop: Header=BB58_2 Depth=1
	s_or_b64 exec, exec, s[16:17]
.LBB58_166:                             ;   in Loop: Header=BB58_2 Depth=1
	s_or_b64 exec, exec, s[14:15]
	v_add_u32_e32 v46, v42, v7
	v_sub_u32_e32 v47, v37, v42
	ds_read_u8 v42, v46
	ds_read_u8 v43, v47
	v_cmp_le_i32_e64 s[14:15], v18, v46
	v_cmp_gt_i32_e32 vcc, v19, v47
                                        ; implicit-def: $vgpr44
	s_waitcnt lgkmcnt(1)
	v_bfe_i32 v42, v42, 0, 8
	s_waitcnt lgkmcnt(0)
	v_bfe_i32 v43, v43, 0, 8
	v_cmp_lt_i16_e64 s[16:17], v43, v42
	s_or_b64 s[14:15], s[14:15], s[16:17]
	s_and_b64 s[14:15], vcc, s[14:15]
	s_xor_b64 s[16:17], s[14:15], -1
	s_and_saveexec_b64 s[18:19], s[16:17]
	s_xor_b64 s[16:17], exec, s[18:19]
; %bb.167:                              ;   in Loop: Header=BB58_2 Depth=1
	ds_read_u8 v44, v46 offset:1
; %bb.168:                              ;   in Loop: Header=BB58_2 Depth=1
	s_or_saveexec_b64 s[16:17], s[16:17]
	v_mov_b32_e32 v45, v43
	s_xor_b64 exec, exec, s[16:17]
	s_cbranch_execz .LBB58_170
; %bb.169:                              ;   in Loop: Header=BB58_2 Depth=1
	ds_read_u8 v45, v47 offset:1
	s_waitcnt lgkmcnt(1)
	v_mov_b32_e32 v44, v42
.LBB58_170:                             ;   in Loop: Header=BB58_2 Depth=1
	s_or_b64 exec, exec, s[16:17]
	v_add_u32_e32 v49, 1, v46
	v_add_u32_e32 v48, 1, v47
	v_cndmask_b32_e64 v49, v49, v46, s[14:15]
	v_cndmask_b32_e64 v48, v47, v48, s[14:15]
	v_cmp_ge_i32_e64 s[16:17], v49, v18
	s_waitcnt lgkmcnt(0)
	v_cmp_lt_i16_sdwa s[18:19], sext(v45), sext(v44) src0_sel:BYTE_0 src1_sel:BYTE_0
	v_cmp_lt_i32_e32 vcc, v48, v19
	s_or_b64 s[16:17], s[16:17], s[18:19]
	s_and_b64 s[16:17], vcc, s[16:17]
	s_xor_b64 s[18:19], s[16:17], -1
                                        ; implicit-def: $vgpr46
	s_and_saveexec_b64 s[20:21], s[18:19]
	s_xor_b64 s[18:19], exec, s[20:21]
; %bb.171:                              ;   in Loop: Header=BB58_2 Depth=1
	ds_read_u8 v46, v49 offset:1
; %bb.172:                              ;   in Loop: Header=BB58_2 Depth=1
	s_or_saveexec_b64 s[18:19], s[18:19]
	v_mov_b32_e32 v47, v45
	s_xor_b64 exec, exec, s[18:19]
	s_cbranch_execz .LBB58_174
; %bb.173:                              ;   in Loop: Header=BB58_2 Depth=1
	ds_read_u8 v47, v48 offset:1
	s_waitcnt lgkmcnt(1)
	v_mov_b32_e32 v46, v44
.LBB58_174:                             ;   in Loop: Header=BB58_2 Depth=1
	s_or_b64 exec, exec, s[18:19]
	v_add_u32_e32 v51, 1, v49
	v_add_u32_e32 v50, 1, v48
	v_cndmask_b32_e64 v51, v51, v49, s[16:17]
	v_cndmask_b32_e64 v50, v48, v50, s[16:17]
	v_cmp_ge_i32_e64 s[18:19], v51, v18
	s_waitcnt lgkmcnt(0)
	v_cmp_lt_i16_sdwa s[20:21], sext(v47), sext(v46) src0_sel:BYTE_0 src1_sel:BYTE_0
	v_cmp_lt_i32_e32 vcc, v50, v19
	s_or_b64 s[18:19], s[18:19], s[20:21]
	s_and_b64 s[18:19], vcc, s[18:19]
	s_xor_b64 s[20:21], s[18:19], -1
                                        ; implicit-def: $vgpr48
	s_and_saveexec_b64 s[22:23], s[20:21]
	s_xor_b64 s[20:21], exec, s[22:23]
; %bb.175:                              ;   in Loop: Header=BB58_2 Depth=1
	ds_read_u8 v48, v51 offset:1
; %bb.176:                              ;   in Loop: Header=BB58_2 Depth=1
	s_or_saveexec_b64 s[20:21], s[20:21]
	v_mov_b32_e32 v49, v47
	s_xor_b64 exec, exec, s[20:21]
	s_cbranch_execz .LBB58_178
; %bb.177:                              ;   in Loop: Header=BB58_2 Depth=1
	ds_read_u8 v49, v50 offset:1
	s_waitcnt lgkmcnt(1)
	v_mov_b32_e32 v48, v46
.LBB58_178:                             ;   in Loop: Header=BB58_2 Depth=1
	s_or_b64 exec, exec, s[20:21]
	v_add_u32_e32 v53, 1, v51
	v_add_u32_e32 v52, 1, v50
	v_cndmask_b32_e64 v53, v53, v51, s[18:19]
	v_cndmask_b32_e64 v52, v50, v52, s[18:19]
	v_cmp_ge_i32_e64 s[20:21], v53, v18
	s_waitcnt lgkmcnt(0)
	v_cmp_lt_i16_sdwa s[22:23], sext(v49), sext(v48) src0_sel:BYTE_0 src1_sel:BYTE_0
	v_cmp_lt_i32_e32 vcc, v52, v19
	s_or_b64 s[20:21], s[20:21], s[22:23]
	s_and_b64 s[20:21], vcc, s[20:21]
	s_xor_b64 s[22:23], s[20:21], -1
                                        ; implicit-def: $vgpr50
	s_and_saveexec_b64 s[24:25], s[22:23]
	s_xor_b64 s[22:23], exec, s[24:25]
; %bb.179:                              ;   in Loop: Header=BB58_2 Depth=1
	ds_read_u8 v50, v53 offset:1
; %bb.180:                              ;   in Loop: Header=BB58_2 Depth=1
	s_or_saveexec_b64 s[22:23], s[22:23]
	v_mov_b32_e32 v51, v49
	s_xor_b64 exec, exec, s[22:23]
	s_cbranch_execz .LBB58_182
; %bb.181:                              ;   in Loop: Header=BB58_2 Depth=1
	ds_read_u8 v51, v52 offset:1
	s_waitcnt lgkmcnt(1)
	v_mov_b32_e32 v50, v48
.LBB58_182:                             ;   in Loop: Header=BB58_2 Depth=1
	s_or_b64 exec, exec, s[22:23]
	v_add_u32_e32 v55, 1, v53
	v_add_u32_e32 v54, 1, v52
	v_cndmask_b32_e64 v55, v55, v53, s[20:21]
	v_cndmask_b32_e64 v54, v52, v54, s[20:21]
	v_cmp_ge_i32_e64 s[22:23], v55, v18
	s_waitcnt lgkmcnt(0)
	v_cmp_lt_i16_sdwa s[24:25], sext(v51), sext(v50) src0_sel:BYTE_0 src1_sel:BYTE_0
	v_cmp_lt_i32_e32 vcc, v54, v19
	s_or_b64 s[22:23], s[22:23], s[24:25]
	s_and_b64 s[22:23], vcc, s[22:23]
	s_xor_b64 s[24:25], s[22:23], -1
                                        ; implicit-def: $vgpr52
	s_and_saveexec_b64 s[26:27], s[24:25]
	s_xor_b64 s[24:25], exec, s[26:27]
; %bb.183:                              ;   in Loop: Header=BB58_2 Depth=1
	ds_read_u8 v52, v55 offset:1
; %bb.184:                              ;   in Loop: Header=BB58_2 Depth=1
	s_or_saveexec_b64 s[24:25], s[24:25]
	v_mov_b32_e32 v53, v51
	s_xor_b64 exec, exec, s[24:25]
	s_cbranch_execz .LBB58_186
; %bb.185:                              ;   in Loop: Header=BB58_2 Depth=1
	ds_read_u8 v53, v54 offset:1
	s_waitcnt lgkmcnt(1)
	v_mov_b32_e32 v52, v50
.LBB58_186:                             ;   in Loop: Header=BB58_2 Depth=1
	s_or_b64 exec, exec, s[24:25]
	v_add_u32_e32 v57, 1, v55
	v_add_u32_e32 v56, 1, v54
	v_cndmask_b32_e64 v58, v57, v55, s[22:23]
	v_cndmask_b32_e64 v56, v54, v56, s[22:23]
	v_cmp_ge_i32_e64 s[24:25], v58, v18
	s_waitcnt lgkmcnt(0)
	v_cmp_lt_i16_sdwa s[26:27], sext(v53), sext(v52) src0_sel:BYTE_0 src1_sel:BYTE_0
	v_cmp_lt_i32_e32 vcc, v56, v19
	s_or_b64 s[24:25], s[24:25], s[26:27]
	s_and_b64 vcc, vcc, s[24:25]
	s_xor_b64 s[24:25], vcc, -1
                                        ; implicit-def: $vgpr54
	s_and_saveexec_b64 s[26:27], s[24:25]
	s_xor_b64 s[24:25], exec, s[26:27]
; %bb.187:                              ;   in Loop: Header=BB58_2 Depth=1
	ds_read_u8 v54, v58 offset:1
; %bb.188:                              ;   in Loop: Header=BB58_2 Depth=1
	s_or_saveexec_b64 s[24:25], s[24:25]
	v_mov_b32_e32 v55, v53
	s_xor_b64 exec, exec, s[24:25]
	s_cbranch_execz .LBB58_190
; %bb.189:                              ;   in Loop: Header=BB58_2 Depth=1
	ds_read_u8 v55, v56 offset:1
	s_waitcnt lgkmcnt(1)
	v_mov_b32_e32 v54, v52
.LBB58_190:                             ;   in Loop: Header=BB58_2 Depth=1
	s_or_b64 exec, exec, s[24:25]
	v_add_u32_e32 v59, 1, v58
	v_add_u32_e32 v57, 1, v56
	v_cndmask_b32_e32 v58, v59, v58, vcc
	v_cndmask_b32_e32 v57, v56, v57, vcc
	v_cmp_ge_i32_e64 s[26:27], v58, v18
	s_waitcnt lgkmcnt(0)
	v_cmp_lt_i16_sdwa s[44:45], sext(v55), sext(v54) src0_sel:BYTE_0 src1_sel:BYTE_0
	v_cmp_lt_i32_e64 s[24:25], v57, v19
	s_or_b64 s[26:27], s[26:27], s[44:45]
	s_and_b64 s[24:25], s[24:25], s[26:27]
	s_xor_b64 s[26:27], s[24:25], -1
                                        ; implicit-def: $vgpr56
	s_and_saveexec_b64 s[44:45], s[26:27]
	s_xor_b64 s[26:27], exec, s[44:45]
; %bb.191:                              ;   in Loop: Header=BB58_2 Depth=1
	ds_read_u8 v56, v58 offset:1
; %bb.192:                              ;   in Loop: Header=BB58_2 Depth=1
	s_or_saveexec_b64 s[26:27], s[26:27]
	v_mov_b32_e32 v59, v55
	s_xor_b64 exec, exec, s[26:27]
	s_cbranch_execz .LBB58_194
; %bb.193:                              ;   in Loop: Header=BB58_2 Depth=1
	ds_read_u8 v59, v57 offset:1
	s_waitcnt lgkmcnt(1)
	v_mov_b32_e32 v56, v54
.LBB58_194:                             ;   in Loop: Header=BB58_2 Depth=1
	s_or_b64 exec, exec, s[26:27]
	v_cndmask_b32_e64 v54, v54, v55, s[24:25]
	v_add_u32_e32 v55, 1, v57
	v_add_u32_e32 v60, 1, v58
	v_cndmask_b32_e64 v55, v57, v55, s[24:25]
	v_cndmask_b32_e64 v57, v60, v58, s[24:25]
	v_cndmask_b32_sdwa v52, v52, v53, vcc dst_sel:BYTE_1 dst_unused:UNUSED_PAD src0_sel:DWORD src1_sel:DWORD
	s_mov_b64 vcc, s[20:21]
	v_cndmask_b32_e64 v44, v44, v45, s[16:17]
	v_cndmask_b32_e64 v42, v42, v43, s[14:15]
	v_cmp_ge_i32_e64 s[14:15], v57, v18
	s_waitcnt lgkmcnt(0)
	v_cmp_lt_i16_sdwa s[16:17], sext(v59), sext(v56) src0_sel:BYTE_0 src1_sel:BYTE_0
	v_cndmask_b32_sdwa v48, v48, v49, vcc dst_sel:BYTE_1 dst_unused:UNUSED_PAD src0_sel:DWORD src1_sel:DWORD
	v_cmp_lt_i32_e32 vcc, v55, v19
	s_or_b64 s[14:15], s[14:15], s[16:17]
	s_and_b64 vcc, vcc, s[14:15]
	v_cndmask_b32_e64 v46, v46, v47, s[18:19]
	v_cndmask_b32_e32 v43, v56, v59, vcc
	v_lshlrev_b16_e32 v44, 8, v44
	v_cndmask_b32_e64 v50, v50, v51, s[22:23]
	v_or_b32_sdwa v42, v42, v44 dst_sel:DWORD dst_unused:UNUSED_PAD src0_sel:BYTE_0 src1_sel:DWORD
	v_or_b32_sdwa v44, v46, v48 dst_sel:WORD_1 dst_unused:UNUSED_PAD src0_sel:BYTE_0 src1_sel:DWORD
	v_lshlrev_b16_e32 v43, 8, v43
	v_or_b32_sdwa v42, v42, v44 dst_sel:DWORD dst_unused:UNUSED_PAD src0_sel:WORD_0 src1_sel:DWORD
	v_or_b32_sdwa v44, v50, v52 dst_sel:DWORD dst_unused:UNUSED_PAD src0_sel:BYTE_0 src1_sel:DWORD
	v_or_b32_sdwa v43, v54, v43 dst_sel:WORD_1 dst_unused:UNUSED_PAD src0_sel:BYTE_0 src1_sel:DWORD
	v_or_b32_sdwa v43, v44, v43 dst_sel:DWORD dst_unused:UNUSED_PAD src0_sel:WORD_0 src1_sel:DWORD
	v_mov_b32_e32 v46, v39
	s_barrier
	ds_write_b64 v1, v[42:43]
	s_waitcnt lgkmcnt(0)
	s_barrier
	s_and_saveexec_b64 s[14:15], s[12:13]
	s_cbranch_execz .LBB58_198
; %bb.195:                              ;   in Loop: Header=BB58_2 Depth=1
	s_mov_b64 s[16:17], 0
	v_mov_b32_e32 v46, v39
	v_mov_b32_e32 v42, v40
.LBB58_196:                             ;   Parent Loop BB58_2 Depth=1
                                        ; =>  This Inner Loop Header: Depth=2
	v_sub_u32_e32 v43, v42, v46
	v_lshrrev_b32_e32 v43, 1, v43
	v_add_u32_e32 v43, v43, v46
	v_xad_u32 v44, v43, -1, v41
	ds_read_i8 v45, v43
	ds_read_i8 v44, v44
	v_add_u32_e32 v47, 1, v43
	s_waitcnt lgkmcnt(0)
	v_cmp_lt_i16_e32 vcc, v44, v45
	v_cndmask_b32_e32 v42, v42, v43, vcc
	v_cndmask_b32_e32 v46, v47, v46, vcc
	v_cmp_ge_i32_e32 vcc, v46, v42
	s_or_b64 s[16:17], vcc, s[16:17]
	s_andn2_b64 exec, exec, s[16:17]
	s_cbranch_execnz .LBB58_196
; %bb.197:                              ;   in Loop: Header=BB58_2 Depth=1
	s_or_b64 exec, exec, s[16:17]
.LBB58_198:                             ;   in Loop: Header=BB58_2 Depth=1
	s_or_b64 exec, exec, s[14:15]
	v_sub_u32_e32 v47, v41, v46
	ds_read_u8 v42, v46
	ds_read_u8 v43, v47
	v_cmp_le_i32_e64 s[14:15], v38, v46
	v_cmp_gt_i32_e32 vcc, s42, v47
                                        ; implicit-def: $vgpr44
	s_waitcnt lgkmcnt(1)
	v_bfe_i32 v42, v42, 0, 8
	s_waitcnt lgkmcnt(0)
	v_bfe_i32 v43, v43, 0, 8
	v_cmp_lt_i16_e64 s[16:17], v43, v42
	s_or_b64 s[14:15], s[14:15], s[16:17]
	s_and_b64 vcc, vcc, s[14:15]
	s_xor_b64 s[14:15], vcc, -1
	s_and_saveexec_b64 s[16:17], s[14:15]
	s_xor_b64 s[14:15], exec, s[16:17]
; %bb.199:                              ;   in Loop: Header=BB58_2 Depth=1
	ds_read_u8 v44, v46 offset:1
; %bb.200:                              ;   in Loop: Header=BB58_2 Depth=1
	s_or_saveexec_b64 s[14:15], s[14:15]
	v_mov_b32_e32 v45, v43
	s_xor_b64 exec, exec, s[14:15]
	s_cbranch_execz .LBB58_202
; %bb.201:                              ;   in Loop: Header=BB58_2 Depth=1
	ds_read_u8 v45, v47 offset:1
	s_waitcnt lgkmcnt(1)
	v_mov_b32_e32 v44, v42
.LBB58_202:                             ;   in Loop: Header=BB58_2 Depth=1
	s_or_b64 exec, exec, s[14:15]
	v_add_u32_e32 v49, 1, v46
	v_add_u32_e32 v48, 1, v47
	v_cndmask_b32_e32 v49, v49, v46, vcc
	v_cndmask_b32_e32 v48, v47, v48, vcc
	v_cmp_ge_i32_e64 s[16:17], v49, v38
	s_waitcnt lgkmcnt(0)
	v_cmp_lt_i16_sdwa s[18:19], sext(v45), sext(v44) src0_sel:BYTE_0 src1_sel:BYTE_0
	v_cmp_gt_i32_e64 s[14:15], s42, v48
	s_or_b64 s[16:17], s[16:17], s[18:19]
	s_and_b64 s[14:15], s[14:15], s[16:17]
	s_xor_b64 s[16:17], s[14:15], -1
                                        ; implicit-def: $vgpr46
	s_and_saveexec_b64 s[18:19], s[16:17]
	s_xor_b64 s[16:17], exec, s[18:19]
; %bb.203:                              ;   in Loop: Header=BB58_2 Depth=1
	ds_read_u8 v46, v49 offset:1
; %bb.204:                              ;   in Loop: Header=BB58_2 Depth=1
	s_or_saveexec_b64 s[16:17], s[16:17]
	v_mov_b32_e32 v47, v45
	s_xor_b64 exec, exec, s[16:17]
	s_cbranch_execz .LBB58_206
; %bb.205:                              ;   in Loop: Header=BB58_2 Depth=1
	ds_read_u8 v47, v48 offset:1
	s_waitcnt lgkmcnt(1)
	v_mov_b32_e32 v46, v44
.LBB58_206:                             ;   in Loop: Header=BB58_2 Depth=1
	s_or_b64 exec, exec, s[16:17]
	v_add_u32_e32 v51, 1, v49
	v_add_u32_e32 v50, 1, v48
	v_cndmask_b32_e64 v51, v51, v49, s[14:15]
	v_cndmask_b32_e64 v50, v48, v50, s[14:15]
	v_cmp_ge_i32_e64 s[18:19], v51, v38
	s_waitcnt lgkmcnt(0)
	v_cmp_lt_i16_sdwa s[20:21], sext(v47), sext(v46) src0_sel:BYTE_0 src1_sel:BYTE_0
	v_cmp_gt_i32_e64 s[16:17], s42, v50
	s_or_b64 s[18:19], s[18:19], s[20:21]
	s_and_b64 s[16:17], s[16:17], s[18:19]
	s_xor_b64 s[18:19], s[16:17], -1
                                        ; implicit-def: $vgpr48
	s_and_saveexec_b64 s[20:21], s[18:19]
	s_xor_b64 s[18:19], exec, s[20:21]
; %bb.207:                              ;   in Loop: Header=BB58_2 Depth=1
	ds_read_u8 v48, v51 offset:1
; %bb.208:                              ;   in Loop: Header=BB58_2 Depth=1
	s_or_saveexec_b64 s[18:19], s[18:19]
	v_mov_b32_e32 v49, v47
	s_xor_b64 exec, exec, s[18:19]
	s_cbranch_execz .LBB58_210
; %bb.209:                              ;   in Loop: Header=BB58_2 Depth=1
	ds_read_u8 v49, v50 offset:1
	s_waitcnt lgkmcnt(1)
	v_mov_b32_e32 v48, v46
.LBB58_210:                             ;   in Loop: Header=BB58_2 Depth=1
	s_or_b64 exec, exec, s[18:19]
	v_add_u32_e32 v53, 1, v51
	v_add_u32_e32 v52, 1, v50
	v_cndmask_b32_e64 v53, v53, v51, s[16:17]
	v_cndmask_b32_e64 v52, v50, v52, s[16:17]
	v_cmp_ge_i32_e64 s[20:21], v53, v38
	s_waitcnt lgkmcnt(0)
	v_cmp_lt_i16_sdwa s[22:23], sext(v49), sext(v48) src0_sel:BYTE_0 src1_sel:BYTE_0
	v_cmp_gt_i32_e64 s[18:19], s42, v52
	s_or_b64 s[20:21], s[20:21], s[22:23]
	s_and_b64 s[18:19], s[18:19], s[20:21]
	s_xor_b64 s[20:21], s[18:19], -1
                                        ; implicit-def: $vgpr50
	s_and_saveexec_b64 s[22:23], s[20:21]
	s_xor_b64 s[20:21], exec, s[22:23]
; %bb.211:                              ;   in Loop: Header=BB58_2 Depth=1
	ds_read_u8 v50, v53 offset:1
; %bb.212:                              ;   in Loop: Header=BB58_2 Depth=1
	s_or_saveexec_b64 s[20:21], s[20:21]
	v_mov_b32_e32 v51, v49
	s_xor_b64 exec, exec, s[20:21]
	s_cbranch_execz .LBB58_214
; %bb.213:                              ;   in Loop: Header=BB58_2 Depth=1
	ds_read_u8 v51, v52 offset:1
	s_waitcnt lgkmcnt(1)
	v_mov_b32_e32 v50, v48
.LBB58_214:                             ;   in Loop: Header=BB58_2 Depth=1
	s_or_b64 exec, exec, s[20:21]
	v_add_u32_e32 v55, 1, v53
	v_add_u32_e32 v54, 1, v52
	v_cndmask_b32_e64 v55, v55, v53, s[18:19]
	v_cndmask_b32_e64 v54, v52, v54, s[18:19]
	v_cmp_ge_i32_e64 s[22:23], v55, v38
	s_waitcnt lgkmcnt(0)
	v_cmp_lt_i16_sdwa s[24:25], sext(v51), sext(v50) src0_sel:BYTE_0 src1_sel:BYTE_0
	v_cmp_gt_i32_e64 s[20:21], s42, v54
	s_or_b64 s[22:23], s[22:23], s[24:25]
	s_and_b64 s[20:21], s[20:21], s[22:23]
	s_xor_b64 s[22:23], s[20:21], -1
                                        ; implicit-def: $vgpr52
	s_and_saveexec_b64 s[24:25], s[22:23]
	s_xor_b64 s[22:23], exec, s[24:25]
; %bb.215:                              ;   in Loop: Header=BB58_2 Depth=1
	ds_read_u8 v52, v55 offset:1
; %bb.216:                              ;   in Loop: Header=BB58_2 Depth=1
	s_or_saveexec_b64 s[22:23], s[22:23]
	v_mov_b32_e32 v53, v51
	s_xor_b64 exec, exec, s[22:23]
	s_cbranch_execz .LBB58_218
; %bb.217:                              ;   in Loop: Header=BB58_2 Depth=1
	ds_read_u8 v53, v54 offset:1
	s_waitcnt lgkmcnt(1)
	v_mov_b32_e32 v52, v50
.LBB58_218:                             ;   in Loop: Header=BB58_2 Depth=1
	s_or_b64 exec, exec, s[22:23]
	v_add_u32_e32 v57, 1, v55
	v_add_u32_e32 v56, 1, v54
	v_cndmask_b32_e64 v57, v57, v55, s[20:21]
	v_cndmask_b32_e64 v56, v54, v56, s[20:21]
	v_cmp_ge_i32_e64 s[24:25], v57, v38
	s_waitcnt lgkmcnt(0)
	v_cmp_lt_i16_sdwa s[26:27], sext(v53), sext(v52) src0_sel:BYTE_0 src1_sel:BYTE_0
	v_cmp_gt_i32_e64 s[22:23], s42, v56
	s_or_b64 s[24:25], s[24:25], s[26:27]
	s_and_b64 s[22:23], s[22:23], s[24:25]
	s_xor_b64 s[24:25], s[22:23], -1
                                        ; implicit-def: $vgpr54
	s_and_saveexec_b64 s[26:27], s[24:25]
	s_xor_b64 s[24:25], exec, s[26:27]
; %bb.219:                              ;   in Loop: Header=BB58_2 Depth=1
	ds_read_u8 v54, v57 offset:1
; %bb.220:                              ;   in Loop: Header=BB58_2 Depth=1
	s_or_saveexec_b64 s[24:25], s[24:25]
	v_mov_b32_e32 v55, v53
	s_xor_b64 exec, exec, s[24:25]
	s_cbranch_execz .LBB58_222
; %bb.221:                              ;   in Loop: Header=BB58_2 Depth=1
	ds_read_u8 v55, v56 offset:1
	s_waitcnt lgkmcnt(1)
	v_mov_b32_e32 v54, v52
.LBB58_222:                             ;   in Loop: Header=BB58_2 Depth=1
	s_or_b64 exec, exec, s[24:25]
	v_add_u32_e32 v59, 1, v57
	v_add_u32_e32 v58, 1, v56
	v_cndmask_b32_e64 v59, v59, v57, s[22:23]
	v_cndmask_b32_e64 v56, v56, v58, s[22:23]
	v_cmp_ge_i32_e64 s[26:27], v59, v38
	s_waitcnt lgkmcnt(0)
	v_cmp_lt_i16_sdwa s[44:45], sext(v55), sext(v54) src0_sel:BYTE_0 src1_sel:BYTE_0
	v_cmp_gt_i32_e64 s[24:25], s42, v56
	s_or_b64 s[26:27], s[26:27], s[44:45]
	s_and_b64 s[24:25], s[24:25], s[26:27]
	s_xor_b64 s[26:27], s[24:25], -1
                                        ; implicit-def: $vgpr57
                                        ; implicit-def: $vgpr58
	s_and_saveexec_b64 s[44:45], s[26:27]
	s_xor_b64 s[26:27], exec, s[44:45]
; %bb.223:                              ;   in Loop: Header=BB58_2 Depth=1
	ds_read_u8 v57, v59 offset:1
	v_add_u32_e32 v58, 1, v59
                                        ; implicit-def: $vgpr59
; %bb.224:                              ;   in Loop: Header=BB58_2 Depth=1
	s_or_saveexec_b64 s[26:27], s[26:27]
	v_mov_b32_e32 v60, v55
	s_xor_b64 exec, exec, s[26:27]
	s_cbranch_execz .LBB58_1
; %bb.225:                              ;   in Loop: Header=BB58_2 Depth=1
	ds_read_u8 v60, v56 offset:1
	v_add_u32_e32 v56, 1, v56
	v_mov_b32_e32 v58, v59
	s_waitcnt lgkmcnt(1)
	v_mov_b32_e32 v57, v54
	s_branch .LBB58_1
.LBB58_226:
	s_add_u32 s0, s30, s33
	s_addc_u32 s1, s31, 0
	v_mov_b32_e32 v1, s1
	v_add_co_u32_e32 v0, vcc, s0, v0
	v_addc_co_u32_e32 v1, vcc, 0, v1, vcc
	global_store_byte v[0:1], v59, off
	global_store_byte v[0:1], v44, off offset:128
	global_store_byte v[0:1], v45, off offset:256
	;; [unrolled: 1-line block ×7, first 2 shown]
	s_endpgm
	.section	.rodata,"a",@progbits
	.p2align	6, 0x0
	.amdhsa_kernel _Z16sort_keys_kernelIaLj128ELj8EN10test_utils4lessELj10EEvPKT_PS2_T2_
		.amdhsa_group_segment_fixed_size 1025
		.amdhsa_private_segment_fixed_size 0
		.amdhsa_kernarg_size 20
		.amdhsa_user_sgpr_count 6
		.amdhsa_user_sgpr_private_segment_buffer 1
		.amdhsa_user_sgpr_dispatch_ptr 0
		.amdhsa_user_sgpr_queue_ptr 0
		.amdhsa_user_sgpr_kernarg_segment_ptr 1
		.amdhsa_user_sgpr_dispatch_id 0
		.amdhsa_user_sgpr_flat_scratch_init 0
		.amdhsa_user_sgpr_private_segment_size 0
		.amdhsa_uses_dynamic_stack 0
		.amdhsa_system_sgpr_private_segment_wavefront_offset 0
		.amdhsa_system_sgpr_workgroup_id_x 1
		.amdhsa_system_sgpr_workgroup_id_y 0
		.amdhsa_system_sgpr_workgroup_id_z 0
		.amdhsa_system_sgpr_workgroup_info 0
		.amdhsa_system_vgpr_workitem_id 0
		.amdhsa_next_free_vgpr 61
		.amdhsa_next_free_sgpr 46
		.amdhsa_reserve_vcc 1
		.amdhsa_reserve_flat_scratch 0
		.amdhsa_float_round_mode_32 0
		.amdhsa_float_round_mode_16_64 0
		.amdhsa_float_denorm_mode_32 3
		.amdhsa_float_denorm_mode_16_64 3
		.amdhsa_dx10_clamp 1
		.amdhsa_ieee_mode 1
		.amdhsa_fp16_overflow 0
		.amdhsa_exception_fp_ieee_invalid_op 0
		.amdhsa_exception_fp_denorm_src 0
		.amdhsa_exception_fp_ieee_div_zero 0
		.amdhsa_exception_fp_ieee_overflow 0
		.amdhsa_exception_fp_ieee_underflow 0
		.amdhsa_exception_fp_ieee_inexact 0
		.amdhsa_exception_int_div_zero 0
	.end_amdhsa_kernel
	.section	.text._Z16sort_keys_kernelIaLj128ELj8EN10test_utils4lessELj10EEvPKT_PS2_T2_,"axG",@progbits,_Z16sort_keys_kernelIaLj128ELj8EN10test_utils4lessELj10EEvPKT_PS2_T2_,comdat
.Lfunc_end58:
	.size	_Z16sort_keys_kernelIaLj128ELj8EN10test_utils4lessELj10EEvPKT_PS2_T2_, .Lfunc_end58-_Z16sort_keys_kernelIaLj128ELj8EN10test_utils4lessELj10EEvPKT_PS2_T2_
                                        ; -- End function
	.set _Z16sort_keys_kernelIaLj128ELj8EN10test_utils4lessELj10EEvPKT_PS2_T2_.num_vgpr, 61
	.set _Z16sort_keys_kernelIaLj128ELj8EN10test_utils4lessELj10EEvPKT_PS2_T2_.num_agpr, 0
	.set _Z16sort_keys_kernelIaLj128ELj8EN10test_utils4lessELj10EEvPKT_PS2_T2_.numbered_sgpr, 46
	.set _Z16sort_keys_kernelIaLj128ELj8EN10test_utils4lessELj10EEvPKT_PS2_T2_.num_named_barrier, 0
	.set _Z16sort_keys_kernelIaLj128ELj8EN10test_utils4lessELj10EEvPKT_PS2_T2_.private_seg_size, 0
	.set _Z16sort_keys_kernelIaLj128ELj8EN10test_utils4lessELj10EEvPKT_PS2_T2_.uses_vcc, 1
	.set _Z16sort_keys_kernelIaLj128ELj8EN10test_utils4lessELj10EEvPKT_PS2_T2_.uses_flat_scratch, 0
	.set _Z16sort_keys_kernelIaLj128ELj8EN10test_utils4lessELj10EEvPKT_PS2_T2_.has_dyn_sized_stack, 0
	.set _Z16sort_keys_kernelIaLj128ELj8EN10test_utils4lessELj10EEvPKT_PS2_T2_.has_recursion, 0
	.set _Z16sort_keys_kernelIaLj128ELj8EN10test_utils4lessELj10EEvPKT_PS2_T2_.has_indirect_call, 0
	.section	.AMDGPU.csdata,"",@progbits
; Kernel info:
; codeLenInByte = 9748
; TotalNumSgprs: 50
; NumVgprs: 61
; ScratchSize: 0
; MemoryBound: 0
; FloatMode: 240
; IeeeMode: 1
; LDSByteSize: 1025 bytes/workgroup (compile time only)
; SGPRBlocks: 6
; VGPRBlocks: 15
; NumSGPRsForWavesPerEU: 50
; NumVGPRsForWavesPerEU: 61
; Occupancy: 4
; WaveLimiterHint : 1
; COMPUTE_PGM_RSRC2:SCRATCH_EN: 0
; COMPUTE_PGM_RSRC2:USER_SGPR: 6
; COMPUTE_PGM_RSRC2:TRAP_HANDLER: 0
; COMPUTE_PGM_RSRC2:TGID_X_EN: 1
; COMPUTE_PGM_RSRC2:TGID_Y_EN: 0
; COMPUTE_PGM_RSRC2:TGID_Z_EN: 0
; COMPUTE_PGM_RSRC2:TIDIG_COMP_CNT: 0
	.section	.text._Z17sort_pairs_kernelIaLj128ELj8EN10test_utils4lessELj10EEvPKT_PS2_T2_,"axG",@progbits,_Z17sort_pairs_kernelIaLj128ELj8EN10test_utils4lessELj10EEvPKT_PS2_T2_,comdat
	.protected	_Z17sort_pairs_kernelIaLj128ELj8EN10test_utils4lessELj10EEvPKT_PS2_T2_ ; -- Begin function _Z17sort_pairs_kernelIaLj128ELj8EN10test_utils4lessELj10EEvPKT_PS2_T2_
	.globl	_Z17sort_pairs_kernelIaLj128ELj8EN10test_utils4lessELj10EEvPKT_PS2_T2_
	.p2align	8
	.type	_Z17sort_pairs_kernelIaLj128ELj8EN10test_utils4lessELj10EEvPKT_PS2_T2_,@function
_Z17sort_pairs_kernelIaLj128ELj8EN10test_utils4lessELj10EEvPKT_PS2_T2_: ; @_Z17sort_pairs_kernelIaLj128ELj8EN10test_utils4lessELj10EEvPKT_PS2_T2_
; %bb.0:
	s_load_dwordx4 s[0:3], s[4:5], 0x0
	s_lshl_b32 s4, s6, 10
                                        ; implicit-def: $vgpr82 : SGPR spill to VGPR lane
	v_lshlrev_b32_e32 v5, 3, v0
	v_writelane_b32 v82, s4, 0
	v_and_b32_e32 v6, 0x3f0, v5
	s_waitcnt lgkmcnt(0)
	s_add_u32 s0, s0, s4
	v_writelane_b32 v82, s0, 1
	v_writelane_b32 v82, s1, 2
	;; [unrolled: 1-line block ×4, first 2 shown]
	s_addc_u32 s1, s1, 0
	s_nop 0
	global_load_ubyte v1, v0, s[0:1]
	global_load_ubyte v2, v0, s[0:1] offset:256
	global_load_ubyte v3, v0, s[0:1] offset:512
	;; [unrolled: 1-line block ×7, first 2 shown]
	v_and_b32_e32 v7, 0x3e0, v5
	v_or_b32_e32 v12, 8, v6
	v_add_u32_e32 v13, 16, v6
	v_and_b32_e32 v28, 8, v5
	v_or_b32_e32 v14, 16, v7
	v_add_u32_e32 v15, 32, v7
	v_sub_u32_e32 v36, v13, v12
	v_and_b32_e32 v29, 24, v5
	v_sub_u32_e32 v37, v15, v14
	v_sub_u32_e32 v26, v12, v6
	;; [unrolled: 1-line block ×3, first 2 shown]
	v_cmp_ge_i32_e32 vcc, v28, v36
	v_and_b32_e32 v8, 0x3c0, v5
	v_add_u32_e32 v24, v12, v28
	v_sub_u32_e32 v27, v14, v7
	v_sub_u32_e32 v45, v29, v37
	v_min_i32_e32 v26, v28, v26
	v_cndmask_b32_e32 v28, 0, v44, vcc
	v_cmp_ge_i32_e32 vcc, v29, v37
	s_mov_b32 s88, 0xc0c0004
	v_and_b32_e32 v9, 0x380, v5
	v_or_b32_e32 v16, 32, v8
	v_add_u32_e32 v17, 64, v8
	v_add_u32_e32 v25, v14, v29
	v_min_i32_e32 v27, v29, v27
	v_cndmask_b32_e32 v29, 0, v45, vcc
	s_movk_i32 s0, 0x100
	v_and_b32_e32 v34, 56, v5
	v_and_b32_e32 v10, 0x300, v5
	v_or_b32_e32 v18, 64, v9
	v_add_u32_e32 v19, 0x80, v9
	v_sub_u32_e32 v39, v17, v16
	v_and_b32_e32 v35, 0x78, v5
	v_and_b32_e32 v11, 0x200, v5
	v_or_b32_e32 v20, 0x80, v10
	v_add_u32_e32 v21, 0x100, v10
	v_sub_u32_e32 v40, v19, v18
	v_sub_u32_e32 v46, v34, v39
	v_cmp_ge_i32_e32 vcc, v34, v39
	v_and_b32_e32 v38, 0xf8, v5
	v_or_b32_e32 v22, 0x100, v11
	v_add_u32_e32 v23, 0x200, v11
	v_sub_u32_e32 v42, v21, v20
	v_sub_u32_e32 v47, v35, v40
	v_and_b32_e32 v41, 0x1f8, v5
	v_sub_u32_e32 v43, v23, v22
	v_sub_u32_e32 v48, v38, v42
	;; [unrolled: 1-line block ×3, first 2 shown]
	v_cmp_lt_i32_e64 s[2:3], v28, v26
	v_writelane_b32 v82, s2, 5
	s_mov_b32 s89, 0
	v_writelane_b32 v82, s3, 6
	v_cmp_lt_i32_e64 s[2:3], v29, v27
	s_movk_i32 s90, 0xff
	s_mov_b32 s91, 0x7060405
	s_mov_b32 s92, 0xc0c0001
	;; [unrolled: 1-line block ×7, first 2 shown]
	s_movk_i32 s87, 0x400
	s_waitcnt vmcnt(7)
	v_add_u16_e32 v36, 1, v1
	s_waitcnt vmcnt(6)
	v_add_u16_e32 v37, 1, v2
	;; [unrolled: 2-line block ×4, first 2 shown]
	s_waitcnt vmcnt(3)
	v_lshlrev_b16_e32 v53, 8, v30
	s_waitcnt vmcnt(2)
	v_lshlrev_b16_e32 v52, 8, v31
	;; [unrolled: 2-line block ×4, first 2 shown]
	v_perm_b32 v1, v1, v33, s88
	v_perm_b32 v2, v2, v32, s88
	;; [unrolled: 1-line block ×4, first 2 shown]
	v_or_b32_sdwa v31, v50, v36 dst_sel:DWORD dst_unused:UNUSED_PAD src0_sel:DWORD src1_sel:BYTE_0
	v_or_b32_sdwa v32, v51, v37 dst_sel:DWORD dst_unused:UNUSED_PAD src0_sel:DWORD src1_sel:BYTE_0
	;; [unrolled: 1-line block ×4, first 2 shown]
	v_lshl_or_b32 v4, v2, 16, v1
	v_lshl_or_b32 v3, v30, 16, v3
	v_add_u16_e32 v1, 0x100, v31
	v_add_u16_sdwa v2, v32, s0 dst_sel:WORD_1 dst_unused:UNUSED_PAD src0_sel:DWORD src1_sel:DWORD
	v_add_u16_e32 v30, 0x100, v33
	v_add_u16_sdwa v31, v36, s0 dst_sel:WORD_1 dst_unused:UNUSED_PAD src0_sel:DWORD src1_sel:DWORD
	v_or_b32_e32 v1, v1, v2
	v_or_b32_e32 v2, v30, v31
	v_cndmask_b32_e32 v30, 0, v46, vcc
	v_cmp_ge_i32_e32 vcc, v35, v40
	v_sub_u32_e32 v31, v16, v8
	v_cndmask_b32_e32 v33, 0, v47, vcc
	v_cmp_ge_i32_e32 vcc, v38, v42
	v_min_i32_e32 v31, v34, v31
	v_add_u32_e32 v32, v16, v34
	v_sub_u32_e32 v34, v18, v9
	v_cndmask_b32_e32 v36, 0, v48, vcc
	v_sub_u32_e32 v37, v20, v10
	v_cmp_ge_i32_e32 vcc, v41, v43
	v_sub_u32_e32 v40, v22, v11
	v_mov_b32_e32 v42, 0x200
	v_min_i32_e32 v34, v35, v34
	v_min_i32_e32 v37, v38, v37
	v_cndmask_b32_e32 v39, 0, v49, vcc
	v_min_i32_e32 v40, v41, v40
	v_sub_u32_e64 v43, v5, v42 clamp
	v_min_i32_e32 v44, 0x200, v5
	v_cmp_lt_i32_e64 s[4:5], v30, v31
	v_cmp_lt_i32_e64 s[6:7], v33, v34
	v_add_u32_e32 v35, v18, v35
	v_cmp_lt_i32_e64 s[8:9], v36, v37
	v_add_u32_e32 v38, v20, v38
	;; [unrolled: 2-line block ×4, first 2 shown]
	s_branch .LBB59_2
.LBB59_1:                               ;   in Loop: Header=BB59_2 Depth=1
	s_or_b64 exec, exec, s[26:27]
	v_cndmask_b32_e32 v52, v52, v53, vcc
	v_cndmask_b32_e64 v53, v54, v55, s[14:15]
	v_cndmask_b32_e64 v56, v57, v56, s[14:15]
	v_cmp_ge_i32_e64 s[14:15], v78, v42
	s_waitcnt lgkmcnt(0)
	v_cmp_lt_i16_sdwa s[0:1], sext(v81), sext(v79) src0_sel:BYTE_0 src1_sel:BYTE_0
	v_cndmask_b32_e32 v51, v50, v51, vcc
	v_cmp_gt_i32_e32 vcc, s87, v76
	s_or_b64 s[0:1], s[14:15], s[0:1]
	s_and_b64 vcc, vcc, s[0:1]
	v_perm_b32 v47, v47, v48, s88
	v_perm_b32 v46, v49, v46, s88
	v_perm_b32 v1, v1, v2, s88
	v_perm_b32 v2, v3, v4, s88
	v_cndmask_b32_e64 v55, v62, v63, s[18:19]
	v_cndmask_b32_e64 v60, v61, v60, s[16:17]
	v_cndmask_b32_e32 v57, v78, v76, vcc
	v_lshl_or_b32 v47, v46, 16, v47
	v_lshl_or_b32 v46, v2, 16, v1
	v_cndmask_b32_e64 v54, v58, v59, s[16:17]
	v_cndmask_b32_e64 v58, v66, v67, s[20:21]
	;; [unrolled: 1-line block ×5, first 2 shown]
	s_barrier
	ds_write_b64 v5, v[46:47]
	s_waitcnt lgkmcnt(0)
	s_barrier
	ds_read_u8 v46, v51
	ds_read_u8 v47, v77
	;; [unrolled: 1-line block ×8, first 2 shown]
	v_lshlrev_b16_e32 v1, 8, v53
	v_lshlrev_b16_e32 v2, 8, v55
	v_cndmask_b32_e64 v59, v70, v71, s[22:23]
	v_cndmask_b32_e32 v50, v79, v81, vcc
	v_or_b32_sdwa v1, v52, v1 dst_sel:DWORD dst_unused:UNUSED_PAD src0_sel:BYTE_0 src1_sel:DWORD
	v_or_b32_sdwa v2, v54, v2 dst_sel:WORD_1 dst_unused:UNUSED_PAD src0_sel:BYTE_0 src1_sel:DWORD
	v_cndmask_b32_e64 v62, v74, v75, s[24:25]
	v_or_b32_sdwa v4, v1, v2 dst_sel:DWORD dst_unused:UNUSED_PAD src0_sel:WORD_0 src1_sel:DWORD
	v_lshlrev_b16_e32 v1, 8, v59
	v_lshlrev_b16_e32 v2, 8, v50
	v_or_b32_sdwa v1, v58, v1 dst_sel:DWORD dst_unused:UNUSED_PAD src0_sel:BYTE_0 src1_sel:DWORD
	v_or_b32_sdwa v2, v62, v2 dst_sel:WORD_1 dst_unused:UNUSED_PAD src0_sel:BYTE_0 src1_sel:DWORD
	v_or_b32_sdwa v3, v1, v2 dst_sel:DWORD dst_unused:UNUSED_PAD src0_sel:WORD_0 src1_sel:DWORD
	s_waitcnt lgkmcnt(4)
	v_perm_b32 v1, v46, v49, s88
	s_waitcnt lgkmcnt(2)
	v_perm_b32 v2, v51, v56, s88
	s_add_i32 s89, s89, 1
	v_lshl_or_b32 v1, v2, 16, v1
	s_waitcnt lgkmcnt(0)
	v_perm_b32 v2, v57, v60, s88
	v_perm_b32 v61, v47, v48, s88
	s_cmp_eq_u32 s89, 10
	v_lshl_or_b32 v2, v61, 16, v2
	s_cbranch_scc1 .LBB59_226
.LBB59_2:                               ; =>This Loop Header: Depth=1
                                        ;     Child Loop BB59_4 Depth 2
                                        ;     Child Loop BB59_36 Depth 2
	;; [unrolled: 1-line block ×7, first 2 shown]
	v_lshrrev_b32_e32 v47, 8, v4
	v_perm_b32 v46, v4, v4, s91
	v_cmp_lt_i16_sdwa s[14:15], sext(v47), sext(v4) src0_sel:BYTE_0 src1_sel:BYTE_0
	v_cndmask_b32_e64 v4, v4, v46, s[14:15]
	v_lshrrev_b32_e32 v46, 16, v4
	v_perm_b32 v47, 0, v46, s92
	v_lshrrev_b32_e32 v48, 24, v4
	v_lshlrev_b32_e32 v47, 16, v47
	v_and_or_b32 v47, v4, s93, v47
	v_cmp_lt_i16_sdwa s[16:17], sext(v48), sext(v46) src0_sel:BYTE_0 src1_sel:BYTE_0
	v_cndmask_b32_e64 v4, v4, v47, s[16:17]
	v_lshrrev_b32_e32 v47, 8, v3
	v_perm_b32 v46, v3, v3, s91
	v_cmp_lt_i16_sdwa s[18:19], sext(v47), sext(v3) src0_sel:BYTE_0 src1_sel:BYTE_0
	v_cndmask_b32_e64 v3, v3, v46, s[18:19]
	v_lshrrev_b32_e32 v46, 24, v3
	v_lshrrev_b32_e32 v47, 16, v3
	v_perm_b32 v48, v3, v3, s94
	v_cmp_lt_i16_sdwa s[20:21], sext(v46), sext(v47) src0_sel:BYTE_0 src1_sel:BYTE_0
	v_lshrrev_b32_e32 v46, 16, v4
	v_lshrrev_b32_e32 v47, 8, v4
	v_cndmask_b32_e64 v3, v3, v48, s[20:21]
	v_perm_b32 v48, v4, v4, s95
	v_cmp_lt_i16_sdwa s[22:23], sext(v46), sext(v47) src0_sel:BYTE_0 src1_sel:BYTE_0
	v_cndmask_b32_e64 v4, v4, v48, s[22:23]
	v_and_b32_sdwa v47, v4, s90 dst_sel:DWORD dst_unused:UNUSED_PAD src0_sel:WORD_1 src1_sel:DWORD
	v_lshlrev_b16_e32 v48, 8, v3
	v_or_b32_sdwa v47, v47, v48 dst_sel:WORD_1 dst_unused:UNUSED_PAD src0_sel:DWORD src1_sel:DWORD
	v_lshrrev_b32_e32 v48, 24, v4
	v_perm_b32 v46, v4, v3, s33
	v_cmp_lt_i16_sdwa s[24:25], sext(v3), sext(v48) src0_sel:BYTE_0 src1_sel:BYTE_0
	v_and_or_b32 v47, v4, s93, v47
	v_cndmask_b32_e64 v3, v3, v46, s[24:25]
	v_cndmask_b32_e64 v4, v4, v47, s[24:25]
	v_lshrrev_b32_e32 v46, 16, v3
	v_lshrrev_b32_e32 v47, 8, v3
	v_cmp_lt_i16_sdwa s[26:27], sext(v46), sext(v47) src0_sel:BYTE_0 src1_sel:BYTE_0
	v_perm_b32 v46, 0, v4, s92
	v_lshrrev_b32_e32 v47, 8, v4
	v_and_or_b32 v46, v4, s86, v46
	v_cmp_lt_i16_sdwa s[28:29], sext(v47), sext(v4) src0_sel:BYTE_0 src1_sel:BYTE_0
	v_cndmask_b32_e64 v4, v4, v46, s[28:29]
	v_lshrrev_b32_e32 v46, 16, v4
	v_perm_b32 v48, v3, v3, s95
	v_perm_b32 v47, 0, v46, s92
	v_cndmask_b32_e64 v3, v3, v48, s[26:27]
	v_lshrrev_b32_e32 v48, 24, v4
	v_lshlrev_b32_e32 v47, 16, v47
	v_and_or_b32 v47, v4, s93, v47
	v_cmp_lt_i16_sdwa s[30:31], sext(v48), sext(v46) src0_sel:BYTE_0 src1_sel:BYTE_0
	v_cndmask_b32_e64 v4, v4, v47, s[30:31]
	v_lshrrev_b32_e32 v47, 8, v3
	v_perm_b32 v46, v3, v3, s91
	v_cmp_lt_i16_sdwa s[34:35], sext(v47), sext(v3) src0_sel:BYTE_0 src1_sel:BYTE_0
	v_cndmask_b32_e64 v3, v3, v46, s[34:35]
	v_lshrrev_b32_e32 v46, 24, v3
	v_lshrrev_b32_e32 v47, 16, v3
	v_perm_b32 v48, v3, v3, s94
	v_cmp_lt_i16_sdwa s[36:37], sext(v46), sext(v47) src0_sel:BYTE_0 src1_sel:BYTE_0
	v_lshrrev_b32_e32 v46, 16, v4
	v_lshrrev_b32_e32 v47, 8, v4
	v_cndmask_b32_e64 v3, v3, v48, s[36:37]
	v_perm_b32 v48, v4, v4, s95
	v_cmp_lt_i16_sdwa s[38:39], sext(v46), sext(v47) src0_sel:BYTE_0 src1_sel:BYTE_0
	v_cndmask_b32_e64 v4, v4, v48, s[38:39]
	v_and_b32_sdwa v47, v4, s90 dst_sel:DWORD dst_unused:UNUSED_PAD src0_sel:WORD_1 src1_sel:DWORD
	v_lshlrev_b16_e32 v48, 8, v3
	v_or_b32_sdwa v47, v47, v48 dst_sel:WORD_1 dst_unused:UNUSED_PAD src0_sel:DWORD src1_sel:DWORD
	v_lshrrev_b32_e32 v48, 24, v4
	v_perm_b32 v46, v4, v3, s33
	v_cmp_lt_i16_sdwa s[40:41], sext(v3), sext(v48) src0_sel:BYTE_0 src1_sel:BYTE_0
	v_and_or_b32 v47, v4, s93, v47
	v_cndmask_b32_e64 v3, v3, v46, s[40:41]
	v_cndmask_b32_e64 v4, v4, v47, s[40:41]
	v_lshrrev_b32_e32 v46, 16, v3
	v_lshrrev_b32_e32 v47, 8, v3
	v_cmp_lt_i16_sdwa s[42:43], sext(v46), sext(v47) src0_sel:BYTE_0 src1_sel:BYTE_0
	v_perm_b32 v46, 0, v4, s92
	v_lshrrev_b32_e32 v47, 8, v4
	v_and_or_b32 v46, v4, s86, v46
	v_cmp_lt_i16_sdwa s[44:45], sext(v47), sext(v4) src0_sel:BYTE_0 src1_sel:BYTE_0
	v_cndmask_b32_e64 v4, v4, v46, s[44:45]
	v_lshrrev_b32_e32 v46, 16, v4
	v_perm_b32 v48, v3, v3, s95
	v_perm_b32 v47, 0, v46, s92
	v_cndmask_b32_e64 v3, v3, v48, s[42:43]
	;; [unrolled: 40-line block ×3, first 2 shown]
	v_lshrrev_b32_e32 v48, 24, v4
	v_lshlrev_b32_e32 v47, 16, v47
	v_and_or_b32 v47, v4, s93, v47
	v_cmp_lt_i16_sdwa s[60:61], sext(v48), sext(v46) src0_sel:BYTE_0 src1_sel:BYTE_0
	v_cndmask_b32_e64 v4, v4, v47, s[60:61]
	v_lshrrev_b32_e32 v47, 8, v3
	v_perm_b32 v46, v3, v3, s91
	v_cmp_lt_i16_sdwa s[62:63], sext(v47), sext(v3) src0_sel:BYTE_0 src1_sel:BYTE_0
	v_cndmask_b32_e64 v3, v3, v46, s[62:63]
	v_lshrrev_b32_e32 v46, 24, v3
	v_lshrrev_b32_e32 v47, 16, v3
	v_perm_b32 v48, v3, v3, s94
	v_cmp_lt_i16_sdwa s[64:65], sext(v46), sext(v47) src0_sel:BYTE_0 src1_sel:BYTE_0
	v_cndmask_b32_e64 v46, v3, v48, s[64:65]
	v_lshrrev_b32_e32 v3, 16, v4
	v_lshrrev_b32_e32 v47, 8, v4
	v_perm_b32 v48, v4, v4, s95
	v_cmp_lt_i16_sdwa s[66:67], sext(v3), sext(v47) src0_sel:BYTE_0 src1_sel:BYTE_0
	v_cndmask_b32_e64 v3, v4, v48, s[66:67]
	v_and_b32_sdwa v47, v3, s90 dst_sel:DWORD dst_unused:UNUSED_PAD src0_sel:WORD_1 src1_sel:DWORD
	v_lshlrev_b16_e32 v48, 8, v46
	v_or_b32_sdwa v47, v47, v48 dst_sel:WORD_1 dst_unused:UNUSED_PAD src0_sel:DWORD src1_sel:DWORD
	v_lshrrev_b32_e32 v48, 24, v3
	v_perm_b32 v4, v3, v46, s33
	v_cmp_lt_i16_sdwa s[68:69], sext(v46), sext(v48) src0_sel:BYTE_0 src1_sel:BYTE_0
	v_and_or_b32 v47, v3, s93, v47
	v_cndmask_b32_e64 v4, v46, v4, s[68:69]
	v_cndmask_b32_e64 v3, v3, v47, s[68:69]
	v_lshrrev_b32_e32 v46, 16, v4
	v_lshrrev_b32_e32 v47, 8, v4
	v_perm_b32 v48, v4, v4, s95
	v_cmp_lt_i16_sdwa s[70:71], sext(v46), sext(v47) src0_sel:BYTE_0 src1_sel:BYTE_0
	v_readlane_b32 s0, v82, 5
	v_cndmask_b32_e64 v4, v4, v48, s[70:71]
	v_mov_b32_e32 v51, v28
	v_readlane_b32 s1, v82, 6
	s_barrier
	ds_write_b64 v5, v[3:4]
	s_waitcnt lgkmcnt(0)
	s_barrier
	s_and_saveexec_b64 s[72:73], s[0:1]
	s_cbranch_execz .LBB59_6
; %bb.3:                                ;   in Loop: Header=BB59_2 Depth=1
	s_mov_b64 s[74:75], 0
	v_mov_b32_e32 v51, v28
	v_mov_b32_e32 v3, v26
.LBB59_4:                               ;   Parent Loop BB59_2 Depth=1
                                        ; =>  This Inner Loop Header: Depth=2
	v_sub_u32_e32 v4, v3, v51
	v_lshrrev_b32_e32 v4, 1, v4
	v_add_u32_e32 v4, v4, v51
	v_add_u32_e32 v46, v6, v4
	v_xad_u32 v47, v4, -1, v24
	ds_read_i8 v46, v46
	ds_read_i8 v47, v47
	v_add_u32_e32 v48, 1, v4
	s_waitcnt lgkmcnt(0)
	v_cmp_lt_i16_e32 vcc, v47, v46
	v_cndmask_b32_e32 v3, v3, v4, vcc
	v_cndmask_b32_e32 v51, v48, v51, vcc
	v_cmp_ge_i32_e32 vcc, v51, v3
	s_or_b64 s[74:75], vcc, s[74:75]
	s_andn2_b64 exec, exec, s[74:75]
	s_cbranch_execnz .LBB59_4
; %bb.5:                                ;   in Loop: Header=BB59_2 Depth=1
	s_or_b64 exec, exec, s[74:75]
.LBB59_6:                               ;   in Loop: Header=BB59_2 Depth=1
	s_or_b64 exec, exec, s[72:73]
	v_add_u32_e32 v50, v51, v6
	v_sub_u32_e32 v51, v24, v51
	ds_read_u8 v52, v50
	ds_read_u8 v53, v51
	v_cmp_le_i32_e64 s[72:73], v12, v50
	v_cmp_gt_i32_e32 vcc, v13, v51
	v_lshrrev_b64 v[3:4], 24, v[1:2]
	s_waitcnt lgkmcnt(1)
	v_bfe_i32 v52, v52, 0, 8
	s_waitcnt lgkmcnt(0)
	v_bfe_i32 v53, v53, 0, 8
	v_cmp_lt_i16_e64 s[74:75], v53, v52
	s_or_b64 s[72:73], s[72:73], s[74:75]
	s_and_b64 s[72:73], vcc, s[72:73]
	v_lshrrev_b32_e32 v46, 8, v2
	v_lshrrev_b32_e32 v47, 16, v2
	;; [unrolled: 1-line block ×5, first 2 shown]
	s_xor_b64 s[74:75], s[72:73], -1
                                        ; implicit-def: $vgpr54
	s_and_saveexec_b64 s[76:77], s[74:75]
	s_xor_b64 s[74:75], exec, s[76:77]
; %bb.7:                                ;   in Loop: Header=BB59_2 Depth=1
	ds_read_u8 v54, v50 offset:1
; %bb.8:                                ;   in Loop: Header=BB59_2 Depth=1
	s_or_saveexec_b64 s[74:75], s[74:75]
	v_mov_b32_e32 v55, v53
	s_xor_b64 exec, exec, s[74:75]
	s_cbranch_execz .LBB59_10
; %bb.9:                                ;   in Loop: Header=BB59_2 Depth=1
	ds_read_u8 v55, v51 offset:1
	s_waitcnt lgkmcnt(1)
	v_mov_b32_e32 v54, v52
.LBB59_10:                              ;   in Loop: Header=BB59_2 Depth=1
	s_or_b64 exec, exec, s[74:75]
	v_add_u32_e32 v57, 1, v50
	v_add_u32_e32 v56, 1, v51
	v_cndmask_b32_e64 v57, v57, v50, s[72:73]
	v_cndmask_b32_e64 v56, v51, v56, s[72:73]
	v_cmp_ge_i32_e64 s[74:75], v57, v12
	s_waitcnt lgkmcnt(0)
	v_cmp_lt_i16_sdwa s[76:77], sext(v55), sext(v54) src0_sel:BYTE_0 src1_sel:BYTE_0
	v_cmp_lt_i32_e32 vcc, v56, v13
	s_or_b64 s[74:75], s[74:75], s[76:77]
	s_and_b64 s[74:75], vcc, s[74:75]
	s_xor_b64 s[76:77], s[74:75], -1
                                        ; implicit-def: $vgpr58
	s_and_saveexec_b64 s[78:79], s[76:77]
	s_xor_b64 s[76:77], exec, s[78:79]
; %bb.11:                               ;   in Loop: Header=BB59_2 Depth=1
	ds_read_u8 v58, v57 offset:1
; %bb.12:                               ;   in Loop: Header=BB59_2 Depth=1
	s_or_saveexec_b64 s[76:77], s[76:77]
	v_mov_b32_e32 v59, v55
	s_xor_b64 exec, exec, s[76:77]
	s_cbranch_execz .LBB59_14
; %bb.13:                               ;   in Loop: Header=BB59_2 Depth=1
	ds_read_u8 v59, v56 offset:1
	s_waitcnt lgkmcnt(1)
	v_mov_b32_e32 v58, v54
.LBB59_14:                              ;   in Loop: Header=BB59_2 Depth=1
	s_or_b64 exec, exec, s[76:77]
	v_add_u32_e32 v61, 1, v57
	v_add_u32_e32 v60, 1, v56
	v_cndmask_b32_e64 v61, v61, v57, s[74:75]
	v_cndmask_b32_e64 v60, v56, v60, s[74:75]
	v_cmp_ge_i32_e64 s[76:77], v61, v12
	s_waitcnt lgkmcnt(0)
	v_cmp_lt_i16_sdwa s[78:79], sext(v59), sext(v58) src0_sel:BYTE_0 src1_sel:BYTE_0
	v_cmp_lt_i32_e32 vcc, v60, v13
	s_or_b64 s[76:77], s[76:77], s[78:79]
	s_and_b64 s[76:77], vcc, s[76:77]
	s_xor_b64 s[78:79], s[76:77], -1
                                        ; implicit-def: $vgpr62
	s_and_saveexec_b64 s[80:81], s[78:79]
	s_xor_b64 s[78:79], exec, s[80:81]
; %bb.15:                               ;   in Loop: Header=BB59_2 Depth=1
	ds_read_u8 v62, v61 offset:1
; %bb.16:                               ;   in Loop: Header=BB59_2 Depth=1
	s_or_saveexec_b64 s[78:79], s[78:79]
	v_mov_b32_e32 v63, v59
	s_xor_b64 exec, exec, s[78:79]
	s_cbranch_execz .LBB59_18
; %bb.17:                               ;   in Loop: Header=BB59_2 Depth=1
	ds_read_u8 v63, v60 offset:1
	s_waitcnt lgkmcnt(1)
	v_mov_b32_e32 v62, v58
.LBB59_18:                              ;   in Loop: Header=BB59_2 Depth=1
	s_or_b64 exec, exec, s[78:79]
	v_add_u32_e32 v65, 1, v61
	v_add_u32_e32 v64, 1, v60
	v_cndmask_b32_e64 v65, v65, v61, s[76:77]
	v_cndmask_b32_e64 v64, v60, v64, s[76:77]
	v_cmp_ge_i32_e64 s[78:79], v65, v12
	s_waitcnt lgkmcnt(0)
	v_cmp_lt_i16_sdwa s[80:81], sext(v63), sext(v62) src0_sel:BYTE_0 src1_sel:BYTE_0
	v_cmp_lt_i32_e32 vcc, v64, v13
	s_or_b64 s[78:79], s[78:79], s[80:81]
	s_and_b64 s[78:79], vcc, s[78:79]
	s_xor_b64 s[80:81], s[78:79], -1
                                        ; implicit-def: $vgpr66
	s_and_saveexec_b64 s[82:83], s[80:81]
	s_xor_b64 s[80:81], exec, s[82:83]
; %bb.19:                               ;   in Loop: Header=BB59_2 Depth=1
	ds_read_u8 v66, v65 offset:1
; %bb.20:                               ;   in Loop: Header=BB59_2 Depth=1
	s_or_saveexec_b64 s[80:81], s[80:81]
	v_mov_b32_e32 v68, v63
	s_xor_b64 exec, exec, s[80:81]
	s_cbranch_execz .LBB59_22
; %bb.21:                               ;   in Loop: Header=BB59_2 Depth=1
	ds_read_u8 v68, v64 offset:1
	s_waitcnt lgkmcnt(1)
	v_mov_b32_e32 v66, v62
.LBB59_22:                              ;   in Loop: Header=BB59_2 Depth=1
	s_or_b64 exec, exec, s[80:81]
	v_add_u32_e32 v69, 1, v65
	v_add_u32_e32 v67, 1, v64
	v_cndmask_b32_e64 v71, v69, v65, s[78:79]
	v_cndmask_b32_e64 v70, v64, v67, s[78:79]
	v_cmp_ge_i32_e64 s[80:81], v71, v12
	s_waitcnt lgkmcnt(0)
	v_cmp_lt_i16_sdwa s[82:83], sext(v68), sext(v66) src0_sel:BYTE_0 src1_sel:BYTE_0
	v_cmp_lt_i32_e32 vcc, v70, v13
	s_or_b64 s[80:81], s[80:81], s[82:83]
	s_and_b64 s[80:81], vcc, s[80:81]
	s_xor_b64 s[82:83], s[80:81], -1
                                        ; implicit-def: $vgpr72
	s_and_saveexec_b64 s[84:85], s[82:83]
	s_xor_b64 s[82:83], exec, s[84:85]
; %bb.23:                               ;   in Loop: Header=BB59_2 Depth=1
	ds_read_u8 v72, v71 offset:1
; %bb.24:                               ;   in Loop: Header=BB59_2 Depth=1
	s_or_saveexec_b64 s[82:83], s[82:83]
	v_mov_b32_e32 v73, v68
	s_xor_b64 exec, exec, s[82:83]
	s_cbranch_execz .LBB59_26
; %bb.25:                               ;   in Loop: Header=BB59_2 Depth=1
	ds_read_u8 v73, v70 offset:1
	s_waitcnt lgkmcnt(1)
	v_mov_b32_e32 v72, v66
.LBB59_26:                              ;   in Loop: Header=BB59_2 Depth=1
	s_or_b64 exec, exec, s[82:83]
	v_add_u32_e32 v69, 1, v71
	v_add_u32_e32 v67, 1, v70
	v_cndmask_b32_e64 v75, v69, v71, s[80:81]
	v_cndmask_b32_e64 v74, v70, v67, s[80:81]
	v_cmp_ge_i32_e64 s[82:83], v75, v12
	s_waitcnt lgkmcnt(0)
	v_cmp_lt_i16_sdwa s[84:85], sext(v73), sext(v72) src0_sel:BYTE_0 src1_sel:BYTE_0
	v_cmp_lt_i32_e32 vcc, v74, v13
	s_or_b64 s[82:83], s[82:83], s[84:85]
	s_and_b64 vcc, vcc, s[82:83]
	s_xor_b64 s[82:83], vcc, -1
                                        ; implicit-def: $vgpr76
	s_and_saveexec_b64 s[84:85], s[82:83]
	s_xor_b64 s[82:83], exec, s[84:85]
; %bb.27:                               ;   in Loop: Header=BB59_2 Depth=1
	ds_read_u8 v76, v75 offset:1
; %bb.28:                               ;   in Loop: Header=BB59_2 Depth=1
	s_or_saveexec_b64 s[82:83], s[82:83]
	v_mov_b32_e32 v77, v73
	s_xor_b64 exec, exec, s[82:83]
	s_cbranch_execz .LBB59_30
; %bb.29:                               ;   in Loop: Header=BB59_2 Depth=1
	ds_read_u8 v77, v74 offset:1
	s_waitcnt lgkmcnt(1)
	v_mov_b32_e32 v76, v72
.LBB59_30:                              ;   in Loop: Header=BB59_2 Depth=1
	s_or_b64 exec, exec, s[82:83]
	v_add_u32_e32 v69, 1, v75
	v_add_u32_e32 v67, 1, v74
	v_cndmask_b32_e32 v79, v69, v75, vcc
	v_cndmask_b32_e32 v78, v74, v67, vcc
	v_cmp_ge_i32_e64 s[84:85], v79, v12
	s_waitcnt lgkmcnt(0)
	v_cmp_lt_i16_sdwa s[0:1], sext(v77), sext(v76) src0_sel:BYTE_0 src1_sel:BYTE_0
	v_cmp_lt_i32_e64 s[82:83], v78, v13
	s_or_b64 s[0:1], s[84:85], s[0:1]
	s_and_b64 s[82:83], s[82:83], s[0:1]
	s_xor_b64 s[0:1], s[82:83], -1
                                        ; implicit-def: $vgpr67
	s_and_saveexec_b64 s[84:85], s[0:1]
	s_xor_b64 s[84:85], exec, s[84:85]
; %bb.31:                               ;   in Loop: Header=BB59_2 Depth=1
	ds_read_u8 v67, v79 offset:1
; %bb.32:                               ;   in Loop: Header=BB59_2 Depth=1
	s_or_saveexec_b64 s[84:85], s[84:85]
	v_mov_b32_e32 v69, v77
	s_xor_b64 exec, exec, s[84:85]
	s_cbranch_execz .LBB59_34
; %bb.33:                               ;   in Loop: Header=BB59_2 Depth=1
	ds_read_u8 v69, v78 offset:1
	s_waitcnt lgkmcnt(1)
	v_mov_b32_e32 v67, v76
.LBB59_34:                              ;   in Loop: Header=BB59_2 Depth=1
	s_or_b64 exec, exec, s[84:85]
	v_perm_b32 v2, v2, v46, s88
	v_perm_b32 v46, v47, v49, s88
	v_lshl_or_b32 v2, v46, 16, v2
	v_perm_b32 v46, v4, v1, s88
	v_perm_b32 v1, v1, v4, s88
	;; [unrolled: 1-line block ×3, first 2 shown]
	v_cndmask_b32_e64 v1, v1, v46, s[14:15]
	v_lshl_or_b32 v1, v3, 16, v1
	v_perm_b32 v3, 0, v3, s92
	v_lshlrev_b32_e32 v3, 16, v3
	v_and_or_b32 v3, v1, s93, v3
	v_cndmask_b32_e64 v1, v1, v3, s[16:17]
	v_perm_b32 v3, v2, v2, s91
	v_cndmask_b32_e64 v2, v2, v3, s[18:19]
	v_perm_b32 v3, v2, v2, s94
	v_cndmask_b32_e64 v2, v2, v3, s[20:21]
	v_perm_b32 v3, v1, v1, s95
	v_cndmask_b32_e64 v1, v1, v3, s[22:23]
	v_and_b32_sdwa v4, v1, s90 dst_sel:DWORD dst_unused:UNUSED_PAD src0_sel:WORD_1 src1_sel:DWORD
	v_lshlrev_b16_e32 v46, 8, v2
	v_or_b32_sdwa v4, v4, v46 dst_sel:WORD_1 dst_unused:UNUSED_PAD src0_sel:DWORD src1_sel:DWORD
	v_and_or_b32 v4, v1, s93, v4
	v_perm_b32 v3, v1, v2, s33
	v_cndmask_b32_e64 v1, v1, v4, s[24:25]
	v_perm_b32 v4, 0, v1, s92
	v_cndmask_b32_e64 v2, v2, v3, s[24:25]
	v_and_or_b32 v4, v1, s86, v4
	v_perm_b32 v3, v2, v2, s95
	v_cndmask_b32_e64 v1, v1, v4, s[28:29]
	v_cndmask_b32_e64 v2, v2, v3, s[26:27]
	v_lshrrev_b32_e32 v3, 16, v1
	v_perm_b32 v3, 0, v3, s92
	v_lshlrev_b32_e32 v3, 16, v3
	v_and_or_b32 v3, v1, s93, v3
	v_cndmask_b32_e64 v1, v1, v3, s[30:31]
	v_perm_b32 v3, v2, v2, s91
	v_cndmask_b32_e64 v2, v2, v3, s[34:35]
	v_perm_b32 v3, v2, v2, s94
	v_cndmask_b32_e64 v2, v2, v3, s[36:37]
	v_perm_b32 v3, v1, v1, s95
	v_cndmask_b32_e64 v1, v1, v3, s[38:39]
	v_and_b32_sdwa v4, v1, s90 dst_sel:DWORD dst_unused:UNUSED_PAD src0_sel:WORD_1 src1_sel:DWORD
	v_lshlrev_b16_e32 v46, 8, v2
	v_or_b32_sdwa v4, v4, v46 dst_sel:WORD_1 dst_unused:UNUSED_PAD src0_sel:DWORD src1_sel:DWORD
	v_and_or_b32 v4, v1, s93, v4
	v_perm_b32 v3, v1, v2, s33
	v_cndmask_b32_e64 v1, v1, v4, s[40:41]
	v_perm_b32 v4, 0, v1, s92
	v_cndmask_b32_e64 v2, v2, v3, s[40:41]
	v_and_or_b32 v4, v1, s86, v4
	v_perm_b32 v3, v2, v2, s95
	v_cndmask_b32_e64 v1, v1, v4, s[44:45]
	v_cndmask_b32_e64 v2, v2, v3, s[42:43]
	v_lshrrev_b32_e32 v3, 16, v1
	;; [unrolled: 23-line block ×3, first 2 shown]
	v_perm_b32 v3, 0, v3, s92
	v_lshlrev_b32_e32 v3, 16, v3
	v_and_or_b32 v3, v1, s93, v3
	v_cndmask_b32_e64 v1, v1, v3, s[60:61]
	v_perm_b32 v3, v2, v2, s91
	v_cndmask_b32_e64 v2, v2, v3, s[62:63]
	v_perm_b32 v3, v2, v2, s94
	v_add_u32_e32 v80, 1, v79
	v_cndmask_b32_e64 v2, v2, v3, s[64:65]
	v_perm_b32 v3, v1, v1, s95
	v_cndmask_b32_e64 v76, v76, v77, s[82:83]
	v_add_u32_e32 v77, 1, v78
	v_cndmask_b32_e64 v80, v80, v79, s[82:83]
	v_cndmask_b32_e64 v1, v1, v3, s[66:67]
	;; [unrolled: 1-line block ×3, first 2 shown]
	v_perm_b32 v3, v1, v2, s33
	v_and_b32_sdwa v4, v1, s90 dst_sel:DWORD dst_unused:UNUSED_PAD src0_sel:WORD_1 src1_sel:DWORD
	v_lshlrev_b16_e32 v46, 8, v2
	v_cmp_ge_i32_e64 s[14:15], v80, v12
	s_waitcnt lgkmcnt(0)
	v_cmp_lt_i16_sdwa s[0:1], sext(v69), sext(v67) src0_sel:BYTE_0 src1_sel:BYTE_0
	v_cndmask_b32_sdwa v72, v72, v73, vcc dst_sel:BYTE_1 dst_unused:UNUSED_PAD src0_sel:DWORD src1_sel:DWORD
	v_cndmask_b32_e32 v73, v75, v74, vcc
	v_or_b32_sdwa v4, v4, v46 dst_sel:WORD_1 dst_unused:UNUSED_PAD src0_sel:DWORD src1_sel:DWORD
	v_cndmask_b32_e64 v2, v2, v3, s[68:69]
	v_cmp_lt_i32_e32 vcc, v77, v13
	s_or_b64 s[0:1], s[14:15], s[0:1]
	v_and_or_b32 v4, v1, s93, v4
	v_perm_b32 v3, v2, v2, s95
	s_and_b64 vcc, vcc, s[0:1]
	v_cndmask_b32_e64 v50, v50, v51, s[72:73]
	v_cndmask_b32_e64 v1, v1, v4, s[68:69]
	;; [unrolled: 1-line block ×3, first 2 shown]
	v_cndmask_b32_e32 v3, v80, v77, vcc
	v_cndmask_b32_e64 v78, v79, v78, s[82:83]
	v_cndmask_b32_e64 v66, v66, v68, s[80:81]
	;; [unrolled: 1-line block ×9, first 2 shown]
	s_barrier
	ds_write_b64 v5, v[1:2]
	s_waitcnt lgkmcnt(0)
	s_barrier
	ds_read_u8 v1, v50
	ds_read_u8 v46, v3
	;; [unrolled: 1-line block ×8, first 2 shown]
	v_cndmask_b32_e64 v52, v52, v53, s[72:73]
	v_lshlrev_b16_e32 v50, 8, v54
	v_cndmask_b32_e32 v51, v67, v69, vcc
	v_or_b32_sdwa v50, v52, v50 dst_sel:DWORD dst_unused:UNUSED_PAD src0_sel:BYTE_0 src1_sel:DWORD
	v_lshlrev_b16_e32 v52, 8, v62
	v_or_b32_sdwa v52, v58, v52 dst_sel:WORD_1 dst_unused:UNUSED_PAD src0_sel:BYTE_0 src1_sel:DWORD
	v_lshlrev_b16_e32 v51, 8, v51
	v_or_b32_sdwa v50, v50, v52 dst_sel:DWORD dst_unused:UNUSED_PAD src0_sel:WORD_0 src1_sel:DWORD
	v_or_b32_sdwa v52, v66, v72 dst_sel:DWORD dst_unused:UNUSED_PAD src0_sel:BYTE_0 src1_sel:DWORD
	v_or_b32_sdwa v51, v76, v51 dst_sel:WORD_1 dst_unused:UNUSED_PAD src0_sel:BYTE_0 src1_sel:DWORD
	v_or_b32_sdwa v51, v52, v51 dst_sel:DWORD dst_unused:UNUSED_PAD src0_sel:WORD_0 src1_sel:DWORD
	s_waitcnt lgkmcnt(0)
	s_barrier
	ds_write_b64 v5, v[50:51]
	v_mov_b32_e32 v51, v29
	s_waitcnt lgkmcnt(0)
	s_barrier
	s_and_saveexec_b64 s[14:15], s[2:3]
	s_cbranch_execz .LBB59_38
; %bb.35:                               ;   in Loop: Header=BB59_2 Depth=1
	s_mov_b64 s[16:17], 0
	v_mov_b32_e32 v51, v29
	v_mov_b32_e32 v50, v27
.LBB59_36:                              ;   Parent Loop BB59_2 Depth=1
                                        ; =>  This Inner Loop Header: Depth=2
	v_sub_u32_e32 v52, v50, v51
	v_lshrrev_b32_e32 v52, 1, v52
	v_add_u32_e32 v52, v52, v51
	v_add_u32_e32 v53, v7, v52
	v_xad_u32 v54, v52, -1, v25
	ds_read_i8 v53, v53
	ds_read_i8 v54, v54
	v_add_u32_e32 v55, 1, v52
	s_waitcnt lgkmcnt(0)
	v_cmp_lt_i16_e32 vcc, v54, v53
	v_cndmask_b32_e32 v50, v50, v52, vcc
	v_cndmask_b32_e32 v51, v55, v51, vcc
	v_cmp_ge_i32_e32 vcc, v51, v50
	s_or_b64 s[16:17], vcc, s[16:17]
	s_andn2_b64 exec, exec, s[16:17]
	s_cbranch_execnz .LBB59_36
; %bb.37:                               ;   in Loop: Header=BB59_2 Depth=1
	s_or_b64 exec, exec, s[16:17]
.LBB59_38:                              ;   in Loop: Header=BB59_2 Depth=1
	s_or_b64 exec, exec, s[14:15]
	v_add_u32_e32 v50, v51, v7
	v_sub_u32_e32 v51, v25, v51
	ds_read_u8 v52, v50
	ds_read_u8 v53, v51
	v_cmp_le_i32_e64 s[14:15], v14, v50
	v_cmp_gt_i32_e32 vcc, v15, v51
                                        ; implicit-def: $vgpr54
	s_waitcnt lgkmcnt(1)
	v_bfe_i32 v52, v52, 0, 8
	s_waitcnt lgkmcnt(0)
	v_bfe_i32 v53, v53, 0, 8
	v_cmp_lt_i16_e64 s[16:17], v53, v52
	s_or_b64 s[0:1], s[14:15], s[16:17]
	s_and_b64 s[14:15], vcc, s[0:1]
	s_xor_b64 s[0:1], s[14:15], -1
	s_and_saveexec_b64 s[16:17], s[0:1]
	s_xor_b64 s[16:17], exec, s[16:17]
; %bb.39:                               ;   in Loop: Header=BB59_2 Depth=1
	ds_read_u8 v54, v50 offset:1
; %bb.40:                               ;   in Loop: Header=BB59_2 Depth=1
	s_or_saveexec_b64 s[16:17], s[16:17]
	v_mov_b32_e32 v55, v53
	s_xor_b64 exec, exec, s[16:17]
	s_cbranch_execz .LBB59_42
; %bb.41:                               ;   in Loop: Header=BB59_2 Depth=1
	ds_read_u8 v55, v51 offset:1
	s_waitcnt lgkmcnt(1)
	v_mov_b32_e32 v54, v52
.LBB59_42:                              ;   in Loop: Header=BB59_2 Depth=1
	s_or_b64 exec, exec, s[16:17]
	v_add_u32_e32 v57, 1, v50
	v_add_u32_e32 v56, 1, v51
	v_cndmask_b32_e64 v57, v57, v50, s[14:15]
	v_cndmask_b32_e64 v56, v51, v56, s[14:15]
	v_cmp_ge_i32_e64 s[16:17], v57, v14
	s_waitcnt lgkmcnt(0)
	v_cmp_lt_i16_sdwa s[0:1], sext(v55), sext(v54) src0_sel:BYTE_0 src1_sel:BYTE_0
	v_cmp_lt_i32_e32 vcc, v56, v15
	s_or_b64 s[0:1], s[16:17], s[0:1]
	s_and_b64 s[16:17], vcc, s[0:1]
	s_xor_b64 s[0:1], s[16:17], -1
                                        ; implicit-def: $vgpr58
	s_and_saveexec_b64 s[18:19], s[0:1]
	s_xor_b64 s[18:19], exec, s[18:19]
; %bb.43:                               ;   in Loop: Header=BB59_2 Depth=1
	ds_read_u8 v58, v57 offset:1
; %bb.44:                               ;   in Loop: Header=BB59_2 Depth=1
	s_or_saveexec_b64 s[18:19], s[18:19]
	v_mov_b32_e32 v59, v55
	s_xor_b64 exec, exec, s[18:19]
	s_cbranch_execz .LBB59_46
; %bb.45:                               ;   in Loop: Header=BB59_2 Depth=1
	ds_read_u8 v59, v56 offset:1
	s_waitcnt lgkmcnt(1)
	v_mov_b32_e32 v58, v54
.LBB59_46:                              ;   in Loop: Header=BB59_2 Depth=1
	s_or_b64 exec, exec, s[18:19]
	v_add_u32_e32 v61, 1, v57
	v_add_u32_e32 v60, 1, v56
	v_cndmask_b32_e64 v61, v61, v57, s[16:17]
	v_cndmask_b32_e64 v60, v56, v60, s[16:17]
	v_cmp_ge_i32_e64 s[18:19], v61, v14
	s_waitcnt lgkmcnt(0)
	v_cmp_lt_i16_sdwa s[0:1], sext(v59), sext(v58) src0_sel:BYTE_0 src1_sel:BYTE_0
	v_cmp_lt_i32_e32 vcc, v60, v15
	s_or_b64 s[0:1], s[18:19], s[0:1]
	s_and_b64 s[18:19], vcc, s[0:1]
	s_xor_b64 s[0:1], s[18:19], -1
                                        ; implicit-def: $vgpr62
	s_and_saveexec_b64 s[20:21], s[0:1]
	s_xor_b64 s[20:21], exec, s[20:21]
; %bb.47:                               ;   in Loop: Header=BB59_2 Depth=1
	ds_read_u8 v62, v61 offset:1
; %bb.48:                               ;   in Loop: Header=BB59_2 Depth=1
	s_or_saveexec_b64 s[20:21], s[20:21]
	v_mov_b32_e32 v63, v59
	s_xor_b64 exec, exec, s[20:21]
	s_cbranch_execz .LBB59_50
; %bb.49:                               ;   in Loop: Header=BB59_2 Depth=1
	ds_read_u8 v63, v60 offset:1
	s_waitcnt lgkmcnt(1)
	v_mov_b32_e32 v62, v58
.LBB59_50:                              ;   in Loop: Header=BB59_2 Depth=1
	s_or_b64 exec, exec, s[20:21]
	v_add_u32_e32 v65, 1, v61
	v_add_u32_e32 v64, 1, v60
	v_cndmask_b32_e64 v65, v65, v61, s[18:19]
	v_cndmask_b32_e64 v64, v60, v64, s[18:19]
	v_cmp_ge_i32_e64 s[20:21], v65, v14
	s_waitcnt lgkmcnt(0)
	v_cmp_lt_i16_sdwa s[0:1], sext(v63), sext(v62) src0_sel:BYTE_0 src1_sel:BYTE_0
	v_cmp_lt_i32_e32 vcc, v64, v15
	s_or_b64 s[0:1], s[20:21], s[0:1]
	s_and_b64 s[20:21], vcc, s[0:1]
	s_xor_b64 s[0:1], s[20:21], -1
                                        ; implicit-def: $vgpr66
	s_and_saveexec_b64 s[22:23], s[0:1]
	s_xor_b64 s[22:23], exec, s[22:23]
; %bb.51:                               ;   in Loop: Header=BB59_2 Depth=1
	ds_read_u8 v66, v65 offset:1
; %bb.52:                               ;   in Loop: Header=BB59_2 Depth=1
	s_or_saveexec_b64 s[22:23], s[22:23]
	v_mov_b32_e32 v67, v63
	s_xor_b64 exec, exec, s[22:23]
	s_cbranch_execz .LBB59_54
; %bb.53:                               ;   in Loop: Header=BB59_2 Depth=1
	ds_read_u8 v67, v64 offset:1
	s_waitcnt lgkmcnt(1)
	v_mov_b32_e32 v66, v62
.LBB59_54:                              ;   in Loop: Header=BB59_2 Depth=1
	s_or_b64 exec, exec, s[22:23]
	v_add_u32_e32 v69, 1, v65
	v_add_u32_e32 v68, 1, v64
	v_cndmask_b32_e64 v69, v69, v65, s[20:21]
	v_cndmask_b32_e64 v68, v64, v68, s[20:21]
	v_cmp_ge_i32_e64 s[22:23], v69, v14
	s_waitcnt lgkmcnt(0)
	v_cmp_lt_i16_sdwa s[0:1], sext(v67), sext(v66) src0_sel:BYTE_0 src1_sel:BYTE_0
	v_cmp_lt_i32_e32 vcc, v68, v15
	s_or_b64 s[0:1], s[22:23], s[0:1]
	s_and_b64 s[22:23], vcc, s[0:1]
	s_xor_b64 s[0:1], s[22:23], -1
                                        ; implicit-def: $vgpr70
	s_and_saveexec_b64 s[24:25], s[0:1]
	s_xor_b64 s[24:25], exec, s[24:25]
; %bb.55:                               ;   in Loop: Header=BB59_2 Depth=1
	ds_read_u8 v70, v69 offset:1
; %bb.56:                               ;   in Loop: Header=BB59_2 Depth=1
	s_or_saveexec_b64 s[24:25], s[24:25]
	v_mov_b32_e32 v71, v67
	s_xor_b64 exec, exec, s[24:25]
	s_cbranch_execz .LBB59_58
; %bb.57:                               ;   in Loop: Header=BB59_2 Depth=1
	ds_read_u8 v71, v68 offset:1
	s_waitcnt lgkmcnt(1)
	v_mov_b32_e32 v70, v66
.LBB59_58:                              ;   in Loop: Header=BB59_2 Depth=1
	s_or_b64 exec, exec, s[24:25]
	v_add_u32_e32 v73, 1, v69
	v_add_u32_e32 v72, 1, v68
	v_cndmask_b32_e64 v73, v73, v69, s[22:23]
	v_cndmask_b32_e64 v72, v68, v72, s[22:23]
	v_cmp_ge_i32_e64 s[24:25], v73, v14
	s_waitcnt lgkmcnt(0)
	v_cmp_lt_i16_sdwa s[0:1], sext(v71), sext(v70) src0_sel:BYTE_0 src1_sel:BYTE_0
	v_cmp_lt_i32_e32 vcc, v72, v15
	s_or_b64 s[0:1], s[24:25], s[0:1]
	s_and_b64 vcc, vcc, s[0:1]
	s_xor_b64 s[0:1], vcc, -1
                                        ; implicit-def: $vgpr74
	s_and_saveexec_b64 s[24:25], s[0:1]
	s_xor_b64 s[24:25], exec, s[24:25]
; %bb.59:                               ;   in Loop: Header=BB59_2 Depth=1
	ds_read_u8 v74, v73 offset:1
; %bb.60:                               ;   in Loop: Header=BB59_2 Depth=1
	s_or_saveexec_b64 s[24:25], s[24:25]
	v_mov_b32_e32 v75, v71
	s_xor_b64 exec, exec, s[24:25]
	s_cbranch_execz .LBB59_62
; %bb.61:                               ;   in Loop: Header=BB59_2 Depth=1
	ds_read_u8 v75, v72 offset:1
	s_waitcnt lgkmcnt(1)
	v_mov_b32_e32 v74, v70
.LBB59_62:                              ;   in Loop: Header=BB59_2 Depth=1
	s_or_b64 exec, exec, s[24:25]
	v_add_u32_e32 v78, 1, v73
	v_add_u32_e32 v76, 1, v72
	v_cndmask_b32_e32 v78, v78, v73, vcc
	v_cndmask_b32_e32 v77, v72, v76, vcc
	v_cmp_ge_i32_e64 s[26:27], v78, v14
	s_waitcnt lgkmcnt(0)
	v_cmp_lt_i16_sdwa s[0:1], sext(v75), sext(v74) src0_sel:BYTE_0 src1_sel:BYTE_0
	v_cmp_lt_i32_e64 s[24:25], v77, v15
	s_or_b64 s[0:1], s[26:27], s[0:1]
	s_and_b64 s[24:25], s[24:25], s[0:1]
	s_xor_b64 s[0:1], s[24:25], -1
                                        ; implicit-def: $vgpr76
	s_and_saveexec_b64 s[26:27], s[0:1]
	s_xor_b64 s[26:27], exec, s[26:27]
; %bb.63:                               ;   in Loop: Header=BB59_2 Depth=1
	ds_read_u8 v76, v78 offset:1
; %bb.64:                               ;   in Loop: Header=BB59_2 Depth=1
	s_or_saveexec_b64 s[26:27], s[26:27]
	v_mov_b32_e32 v79, v75
	s_xor_b64 exec, exec, s[26:27]
	s_cbranch_execz .LBB59_66
; %bb.65:                               ;   in Loop: Header=BB59_2 Depth=1
	ds_read_u8 v79, v77 offset:1
	s_waitcnt lgkmcnt(1)
	v_mov_b32_e32 v76, v74
.LBB59_66:                              ;   in Loop: Header=BB59_2 Depth=1
	s_or_b64 exec, exec, s[26:27]
	v_add_u32_e32 v80, 1, v78
	v_cndmask_b32_e64 v74, v74, v75, s[24:25]
	v_add_u32_e32 v75, 1, v77
	v_cndmask_b32_e64 v80, v80, v78, s[24:25]
	v_cndmask_b32_e64 v75, v77, v75, s[24:25]
	;; [unrolled: 1-line block ×4, first 2 shown]
	v_cmp_ge_i32_e64 s[14:15], v80, v14
	s_waitcnt lgkmcnt(0)
	v_cmp_lt_i16_sdwa s[0:1], sext(v79), sext(v76) src0_sel:BYTE_0 src1_sel:BYTE_0
	v_cndmask_b32_sdwa v70, v70, v71, vcc dst_sel:BYTE_1 dst_unused:UNUSED_PAD src0_sel:DWORD src1_sel:DWORD
	v_cndmask_b32_e32 v71, v73, v72, vcc
	v_cmp_lt_i32_e32 vcc, v75, v15
	s_or_b64 s[0:1], s[14:15], s[0:1]
	v_perm_b32 v47, v47, v48, s88
	v_perm_b32 v46, v49, v46, s88
	;; [unrolled: 1-line block ×4, first 2 shown]
	s_and_b64 vcc, vcc, s[0:1]
	v_lshl_or_b32 v47, v46, 16, v47
	v_lshl_or_b32 v46, v2, 16, v1
	v_cndmask_b32_e64 v77, v78, v77, s[24:25]
	v_cndmask_b32_e64 v66, v66, v67, s[22:23]
	;; [unrolled: 1-line block ×9, first 2 shown]
	v_cndmask_b32_e32 v53, v80, v75, vcc
	s_barrier
	ds_write_b64 v5, v[46:47]
	s_waitcnt lgkmcnt(0)
	s_barrier
	ds_read_u8 v1, v50
	ds_read_u8 v46, v53
	;; [unrolled: 1-line block ×8, first 2 shown]
	v_lshlrev_b16_e32 v50, 8, v54
	v_cndmask_b32_e32 v51, v76, v79, vcc
	v_or_b32_sdwa v50, v52, v50 dst_sel:DWORD dst_unused:UNUSED_PAD src0_sel:BYTE_0 src1_sel:DWORD
	v_lshlrev_b16_e32 v52, 8, v62
	v_or_b32_sdwa v52, v58, v52 dst_sel:WORD_1 dst_unused:UNUSED_PAD src0_sel:BYTE_0 src1_sel:DWORD
	v_lshlrev_b16_e32 v51, 8, v51
	v_or_b32_sdwa v50, v50, v52 dst_sel:DWORD dst_unused:UNUSED_PAD src0_sel:WORD_0 src1_sel:DWORD
	v_or_b32_sdwa v52, v66, v70 dst_sel:DWORD dst_unused:UNUSED_PAD src0_sel:BYTE_0 src1_sel:DWORD
	v_or_b32_sdwa v51, v74, v51 dst_sel:WORD_1 dst_unused:UNUSED_PAD src0_sel:BYTE_0 src1_sel:DWORD
	v_or_b32_sdwa v51, v52, v51 dst_sel:DWORD dst_unused:UNUSED_PAD src0_sel:WORD_0 src1_sel:DWORD
	s_waitcnt lgkmcnt(0)
	s_barrier
	ds_write_b64 v5, v[50:51]
	v_mov_b32_e32 v51, v30
	s_waitcnt lgkmcnt(0)
	s_barrier
	s_and_saveexec_b64 s[14:15], s[4:5]
	s_cbranch_execz .LBB59_70
; %bb.67:                               ;   in Loop: Header=BB59_2 Depth=1
	s_mov_b64 s[16:17], 0
	v_mov_b32_e32 v51, v30
	v_mov_b32_e32 v50, v31
.LBB59_68:                              ;   Parent Loop BB59_2 Depth=1
                                        ; =>  This Inner Loop Header: Depth=2
	v_sub_u32_e32 v52, v50, v51
	v_lshrrev_b32_e32 v52, 1, v52
	v_add_u32_e32 v52, v52, v51
	v_add_u32_e32 v53, v8, v52
	v_xad_u32 v54, v52, -1, v32
	ds_read_i8 v53, v53
	ds_read_i8 v54, v54
	v_add_u32_e32 v55, 1, v52
	s_waitcnt lgkmcnt(0)
	v_cmp_lt_i16_e32 vcc, v54, v53
	v_cndmask_b32_e32 v50, v50, v52, vcc
	v_cndmask_b32_e32 v51, v55, v51, vcc
	v_cmp_ge_i32_e32 vcc, v51, v50
	s_or_b64 s[16:17], vcc, s[16:17]
	s_andn2_b64 exec, exec, s[16:17]
	s_cbranch_execnz .LBB59_68
; %bb.69:                               ;   in Loop: Header=BB59_2 Depth=1
	s_or_b64 exec, exec, s[16:17]
.LBB59_70:                              ;   in Loop: Header=BB59_2 Depth=1
	s_or_b64 exec, exec, s[14:15]
	v_add_u32_e32 v50, v51, v8
	v_sub_u32_e32 v51, v32, v51
	ds_read_u8 v52, v50
	ds_read_u8 v53, v51
	v_cmp_le_i32_e64 s[14:15], v16, v50
	v_cmp_gt_i32_e32 vcc, v17, v51
                                        ; implicit-def: $vgpr54
	s_waitcnt lgkmcnt(1)
	v_bfe_i32 v52, v52, 0, 8
	s_waitcnt lgkmcnt(0)
	v_bfe_i32 v53, v53, 0, 8
	v_cmp_lt_i16_e64 s[16:17], v53, v52
	s_or_b64 s[0:1], s[14:15], s[16:17]
	s_and_b64 s[14:15], vcc, s[0:1]
	s_xor_b64 s[0:1], s[14:15], -1
	s_and_saveexec_b64 s[16:17], s[0:1]
	s_xor_b64 s[16:17], exec, s[16:17]
; %bb.71:                               ;   in Loop: Header=BB59_2 Depth=1
	ds_read_u8 v54, v50 offset:1
; %bb.72:                               ;   in Loop: Header=BB59_2 Depth=1
	s_or_saveexec_b64 s[16:17], s[16:17]
	v_mov_b32_e32 v55, v53
	s_xor_b64 exec, exec, s[16:17]
	s_cbranch_execz .LBB59_74
; %bb.73:                               ;   in Loop: Header=BB59_2 Depth=1
	ds_read_u8 v55, v51 offset:1
	s_waitcnt lgkmcnt(1)
	v_mov_b32_e32 v54, v52
.LBB59_74:                              ;   in Loop: Header=BB59_2 Depth=1
	s_or_b64 exec, exec, s[16:17]
	v_add_u32_e32 v57, 1, v50
	v_add_u32_e32 v56, 1, v51
	v_cndmask_b32_e64 v57, v57, v50, s[14:15]
	v_cndmask_b32_e64 v56, v51, v56, s[14:15]
	v_cmp_ge_i32_e64 s[16:17], v57, v16
	s_waitcnt lgkmcnt(0)
	v_cmp_lt_i16_sdwa s[0:1], sext(v55), sext(v54) src0_sel:BYTE_0 src1_sel:BYTE_0
	v_cmp_lt_i32_e32 vcc, v56, v17
	s_or_b64 s[0:1], s[16:17], s[0:1]
	s_and_b64 s[16:17], vcc, s[0:1]
	s_xor_b64 s[0:1], s[16:17], -1
                                        ; implicit-def: $vgpr58
	s_and_saveexec_b64 s[18:19], s[0:1]
	s_xor_b64 s[18:19], exec, s[18:19]
; %bb.75:                               ;   in Loop: Header=BB59_2 Depth=1
	ds_read_u8 v58, v57 offset:1
; %bb.76:                               ;   in Loop: Header=BB59_2 Depth=1
	s_or_saveexec_b64 s[18:19], s[18:19]
	v_mov_b32_e32 v59, v55
	s_xor_b64 exec, exec, s[18:19]
	s_cbranch_execz .LBB59_78
; %bb.77:                               ;   in Loop: Header=BB59_2 Depth=1
	ds_read_u8 v59, v56 offset:1
	s_waitcnt lgkmcnt(1)
	v_mov_b32_e32 v58, v54
.LBB59_78:                              ;   in Loop: Header=BB59_2 Depth=1
	s_or_b64 exec, exec, s[18:19]
	v_add_u32_e32 v61, 1, v57
	v_add_u32_e32 v60, 1, v56
	v_cndmask_b32_e64 v61, v61, v57, s[16:17]
	v_cndmask_b32_e64 v60, v56, v60, s[16:17]
	v_cmp_ge_i32_e64 s[18:19], v61, v16
	s_waitcnt lgkmcnt(0)
	v_cmp_lt_i16_sdwa s[0:1], sext(v59), sext(v58) src0_sel:BYTE_0 src1_sel:BYTE_0
	v_cmp_lt_i32_e32 vcc, v60, v17
	s_or_b64 s[0:1], s[18:19], s[0:1]
	s_and_b64 s[18:19], vcc, s[0:1]
	s_xor_b64 s[0:1], s[18:19], -1
                                        ; implicit-def: $vgpr62
	s_and_saveexec_b64 s[20:21], s[0:1]
	s_xor_b64 s[20:21], exec, s[20:21]
; %bb.79:                               ;   in Loop: Header=BB59_2 Depth=1
	ds_read_u8 v62, v61 offset:1
; %bb.80:                               ;   in Loop: Header=BB59_2 Depth=1
	s_or_saveexec_b64 s[20:21], s[20:21]
	v_mov_b32_e32 v63, v59
	s_xor_b64 exec, exec, s[20:21]
	s_cbranch_execz .LBB59_82
; %bb.81:                               ;   in Loop: Header=BB59_2 Depth=1
	ds_read_u8 v63, v60 offset:1
	s_waitcnt lgkmcnt(1)
	v_mov_b32_e32 v62, v58
.LBB59_82:                              ;   in Loop: Header=BB59_2 Depth=1
	s_or_b64 exec, exec, s[20:21]
	v_add_u32_e32 v65, 1, v61
	v_add_u32_e32 v64, 1, v60
	v_cndmask_b32_e64 v65, v65, v61, s[18:19]
	v_cndmask_b32_e64 v64, v60, v64, s[18:19]
	v_cmp_ge_i32_e64 s[20:21], v65, v16
	s_waitcnt lgkmcnt(0)
	v_cmp_lt_i16_sdwa s[0:1], sext(v63), sext(v62) src0_sel:BYTE_0 src1_sel:BYTE_0
	v_cmp_lt_i32_e32 vcc, v64, v17
	s_or_b64 s[0:1], s[20:21], s[0:1]
	s_and_b64 s[20:21], vcc, s[0:1]
	s_xor_b64 s[0:1], s[20:21], -1
                                        ; implicit-def: $vgpr66
	s_and_saveexec_b64 s[22:23], s[0:1]
	s_xor_b64 s[22:23], exec, s[22:23]
; %bb.83:                               ;   in Loop: Header=BB59_2 Depth=1
	ds_read_u8 v66, v65 offset:1
; %bb.84:                               ;   in Loop: Header=BB59_2 Depth=1
	s_or_saveexec_b64 s[22:23], s[22:23]
	v_mov_b32_e32 v67, v63
	s_xor_b64 exec, exec, s[22:23]
	s_cbranch_execz .LBB59_86
; %bb.85:                               ;   in Loop: Header=BB59_2 Depth=1
	ds_read_u8 v67, v64 offset:1
	s_waitcnt lgkmcnt(1)
	v_mov_b32_e32 v66, v62
.LBB59_86:                              ;   in Loop: Header=BB59_2 Depth=1
	s_or_b64 exec, exec, s[22:23]
	v_add_u32_e32 v69, 1, v65
	v_add_u32_e32 v68, 1, v64
	v_cndmask_b32_e64 v69, v69, v65, s[20:21]
	v_cndmask_b32_e64 v68, v64, v68, s[20:21]
	v_cmp_ge_i32_e64 s[22:23], v69, v16
	s_waitcnt lgkmcnt(0)
	v_cmp_lt_i16_sdwa s[0:1], sext(v67), sext(v66) src0_sel:BYTE_0 src1_sel:BYTE_0
	v_cmp_lt_i32_e32 vcc, v68, v17
	s_or_b64 s[0:1], s[22:23], s[0:1]
	s_and_b64 s[22:23], vcc, s[0:1]
	s_xor_b64 s[0:1], s[22:23], -1
                                        ; implicit-def: $vgpr70
	s_and_saveexec_b64 s[24:25], s[0:1]
	s_xor_b64 s[24:25], exec, s[24:25]
; %bb.87:                               ;   in Loop: Header=BB59_2 Depth=1
	ds_read_u8 v70, v69 offset:1
; %bb.88:                               ;   in Loop: Header=BB59_2 Depth=1
	s_or_saveexec_b64 s[24:25], s[24:25]
	v_mov_b32_e32 v71, v67
	s_xor_b64 exec, exec, s[24:25]
	s_cbranch_execz .LBB59_90
; %bb.89:                               ;   in Loop: Header=BB59_2 Depth=1
	ds_read_u8 v71, v68 offset:1
	s_waitcnt lgkmcnt(1)
	v_mov_b32_e32 v70, v66
.LBB59_90:                              ;   in Loop: Header=BB59_2 Depth=1
	s_or_b64 exec, exec, s[24:25]
	v_add_u32_e32 v73, 1, v69
	v_add_u32_e32 v72, 1, v68
	v_cndmask_b32_e64 v73, v73, v69, s[22:23]
	v_cndmask_b32_e64 v72, v68, v72, s[22:23]
	v_cmp_ge_i32_e64 s[24:25], v73, v16
	s_waitcnt lgkmcnt(0)
	v_cmp_lt_i16_sdwa s[0:1], sext(v71), sext(v70) src0_sel:BYTE_0 src1_sel:BYTE_0
	v_cmp_lt_i32_e32 vcc, v72, v17
	s_or_b64 s[0:1], s[24:25], s[0:1]
	s_and_b64 vcc, vcc, s[0:1]
	s_xor_b64 s[0:1], vcc, -1
                                        ; implicit-def: $vgpr74
	s_and_saveexec_b64 s[24:25], s[0:1]
	s_xor_b64 s[24:25], exec, s[24:25]
; %bb.91:                               ;   in Loop: Header=BB59_2 Depth=1
	ds_read_u8 v74, v73 offset:1
; %bb.92:                               ;   in Loop: Header=BB59_2 Depth=1
	s_or_saveexec_b64 s[24:25], s[24:25]
	v_mov_b32_e32 v75, v71
	s_xor_b64 exec, exec, s[24:25]
	s_cbranch_execz .LBB59_94
; %bb.93:                               ;   in Loop: Header=BB59_2 Depth=1
	ds_read_u8 v75, v72 offset:1
	s_waitcnt lgkmcnt(1)
	v_mov_b32_e32 v74, v70
.LBB59_94:                              ;   in Loop: Header=BB59_2 Depth=1
	s_or_b64 exec, exec, s[24:25]
	v_add_u32_e32 v78, 1, v73
	v_add_u32_e32 v76, 1, v72
	v_cndmask_b32_e32 v78, v78, v73, vcc
	v_cndmask_b32_e32 v77, v72, v76, vcc
	v_cmp_ge_i32_e64 s[26:27], v78, v16
	s_waitcnt lgkmcnt(0)
	v_cmp_lt_i16_sdwa s[0:1], sext(v75), sext(v74) src0_sel:BYTE_0 src1_sel:BYTE_0
	v_cmp_lt_i32_e64 s[24:25], v77, v17
	s_or_b64 s[0:1], s[26:27], s[0:1]
	s_and_b64 s[24:25], s[24:25], s[0:1]
	s_xor_b64 s[0:1], s[24:25], -1
                                        ; implicit-def: $vgpr76
	s_and_saveexec_b64 s[26:27], s[0:1]
	s_xor_b64 s[26:27], exec, s[26:27]
; %bb.95:                               ;   in Loop: Header=BB59_2 Depth=1
	ds_read_u8 v76, v78 offset:1
; %bb.96:                               ;   in Loop: Header=BB59_2 Depth=1
	s_or_saveexec_b64 s[26:27], s[26:27]
	v_mov_b32_e32 v79, v75
	s_xor_b64 exec, exec, s[26:27]
	s_cbranch_execz .LBB59_98
; %bb.97:                               ;   in Loop: Header=BB59_2 Depth=1
	ds_read_u8 v79, v77 offset:1
	s_waitcnt lgkmcnt(1)
	v_mov_b32_e32 v76, v74
.LBB59_98:                              ;   in Loop: Header=BB59_2 Depth=1
	s_or_b64 exec, exec, s[26:27]
	v_add_u32_e32 v80, 1, v78
	v_cndmask_b32_e64 v74, v74, v75, s[24:25]
	v_add_u32_e32 v75, 1, v77
	v_cndmask_b32_e64 v80, v80, v78, s[24:25]
	v_cndmask_b32_e64 v75, v77, v75, s[24:25]
	;; [unrolled: 1-line block ×4, first 2 shown]
	v_cmp_ge_i32_e64 s[14:15], v80, v16
	s_waitcnt lgkmcnt(0)
	v_cmp_lt_i16_sdwa s[0:1], sext(v79), sext(v76) src0_sel:BYTE_0 src1_sel:BYTE_0
	v_cndmask_b32_sdwa v70, v70, v71, vcc dst_sel:BYTE_1 dst_unused:UNUSED_PAD src0_sel:DWORD src1_sel:DWORD
	v_cndmask_b32_e32 v71, v73, v72, vcc
	v_cmp_lt_i32_e32 vcc, v75, v17
	s_or_b64 s[0:1], s[14:15], s[0:1]
	v_perm_b32 v47, v47, v48, s88
	v_perm_b32 v46, v49, v46, s88
	;; [unrolled: 1-line block ×4, first 2 shown]
	s_and_b64 vcc, vcc, s[0:1]
	v_lshl_or_b32 v47, v46, 16, v47
	v_lshl_or_b32 v46, v2, 16, v1
	v_cndmask_b32_e64 v77, v78, v77, s[24:25]
	v_cndmask_b32_e64 v66, v66, v67, s[22:23]
	;; [unrolled: 1-line block ×9, first 2 shown]
	v_cndmask_b32_e32 v53, v80, v75, vcc
	s_barrier
	ds_write_b64 v5, v[46:47]
	s_waitcnt lgkmcnt(0)
	s_barrier
	ds_read_u8 v1, v50
	ds_read_u8 v46, v53
	;; [unrolled: 1-line block ×8, first 2 shown]
	v_lshlrev_b16_e32 v50, 8, v54
	v_cndmask_b32_e32 v51, v76, v79, vcc
	v_or_b32_sdwa v50, v52, v50 dst_sel:DWORD dst_unused:UNUSED_PAD src0_sel:BYTE_0 src1_sel:DWORD
	v_lshlrev_b16_e32 v52, 8, v62
	v_or_b32_sdwa v52, v58, v52 dst_sel:WORD_1 dst_unused:UNUSED_PAD src0_sel:BYTE_0 src1_sel:DWORD
	v_lshlrev_b16_e32 v51, 8, v51
	v_or_b32_sdwa v50, v50, v52 dst_sel:DWORD dst_unused:UNUSED_PAD src0_sel:WORD_0 src1_sel:DWORD
	v_or_b32_sdwa v52, v66, v70 dst_sel:DWORD dst_unused:UNUSED_PAD src0_sel:BYTE_0 src1_sel:DWORD
	v_or_b32_sdwa v51, v74, v51 dst_sel:WORD_1 dst_unused:UNUSED_PAD src0_sel:BYTE_0 src1_sel:DWORD
	v_or_b32_sdwa v51, v52, v51 dst_sel:DWORD dst_unused:UNUSED_PAD src0_sel:WORD_0 src1_sel:DWORD
	s_waitcnt lgkmcnt(0)
	s_barrier
	ds_write_b64 v5, v[50:51]
	v_mov_b32_e32 v51, v33
	s_waitcnt lgkmcnt(0)
	s_barrier
	s_and_saveexec_b64 s[14:15], s[6:7]
	s_cbranch_execz .LBB59_102
; %bb.99:                               ;   in Loop: Header=BB59_2 Depth=1
	s_mov_b64 s[16:17], 0
	v_mov_b32_e32 v51, v33
	v_mov_b32_e32 v50, v34
.LBB59_100:                             ;   Parent Loop BB59_2 Depth=1
                                        ; =>  This Inner Loop Header: Depth=2
	v_sub_u32_e32 v52, v50, v51
	v_lshrrev_b32_e32 v52, 1, v52
	v_add_u32_e32 v52, v52, v51
	v_add_u32_e32 v53, v9, v52
	v_xad_u32 v54, v52, -1, v35
	ds_read_i8 v53, v53
	ds_read_i8 v54, v54
	v_add_u32_e32 v55, 1, v52
	s_waitcnt lgkmcnt(0)
	v_cmp_lt_i16_e32 vcc, v54, v53
	v_cndmask_b32_e32 v50, v50, v52, vcc
	v_cndmask_b32_e32 v51, v55, v51, vcc
	v_cmp_ge_i32_e32 vcc, v51, v50
	s_or_b64 s[16:17], vcc, s[16:17]
	s_andn2_b64 exec, exec, s[16:17]
	s_cbranch_execnz .LBB59_100
; %bb.101:                              ;   in Loop: Header=BB59_2 Depth=1
	s_or_b64 exec, exec, s[16:17]
.LBB59_102:                             ;   in Loop: Header=BB59_2 Depth=1
	s_or_b64 exec, exec, s[14:15]
	v_add_u32_e32 v50, v51, v9
	v_sub_u32_e32 v51, v35, v51
	ds_read_u8 v52, v50
	ds_read_u8 v53, v51
	v_cmp_le_i32_e64 s[14:15], v18, v50
	v_cmp_gt_i32_e32 vcc, v19, v51
                                        ; implicit-def: $vgpr54
	s_waitcnt lgkmcnt(1)
	v_bfe_i32 v52, v52, 0, 8
	s_waitcnt lgkmcnt(0)
	v_bfe_i32 v53, v53, 0, 8
	v_cmp_lt_i16_e64 s[16:17], v53, v52
	s_or_b64 s[0:1], s[14:15], s[16:17]
	s_and_b64 s[14:15], vcc, s[0:1]
	s_xor_b64 s[0:1], s[14:15], -1
	s_and_saveexec_b64 s[16:17], s[0:1]
	s_xor_b64 s[16:17], exec, s[16:17]
; %bb.103:                              ;   in Loop: Header=BB59_2 Depth=1
	ds_read_u8 v54, v50 offset:1
; %bb.104:                              ;   in Loop: Header=BB59_2 Depth=1
	s_or_saveexec_b64 s[16:17], s[16:17]
	v_mov_b32_e32 v55, v53
	s_xor_b64 exec, exec, s[16:17]
	s_cbranch_execz .LBB59_106
; %bb.105:                              ;   in Loop: Header=BB59_2 Depth=1
	ds_read_u8 v55, v51 offset:1
	s_waitcnt lgkmcnt(1)
	v_mov_b32_e32 v54, v52
.LBB59_106:                             ;   in Loop: Header=BB59_2 Depth=1
	s_or_b64 exec, exec, s[16:17]
	v_add_u32_e32 v57, 1, v50
	v_add_u32_e32 v56, 1, v51
	v_cndmask_b32_e64 v57, v57, v50, s[14:15]
	v_cndmask_b32_e64 v56, v51, v56, s[14:15]
	v_cmp_ge_i32_e64 s[16:17], v57, v18
	s_waitcnt lgkmcnt(0)
	v_cmp_lt_i16_sdwa s[0:1], sext(v55), sext(v54) src0_sel:BYTE_0 src1_sel:BYTE_0
	v_cmp_lt_i32_e32 vcc, v56, v19
	s_or_b64 s[0:1], s[16:17], s[0:1]
	s_and_b64 s[16:17], vcc, s[0:1]
	s_xor_b64 s[0:1], s[16:17], -1
                                        ; implicit-def: $vgpr58
	s_and_saveexec_b64 s[18:19], s[0:1]
	s_xor_b64 s[18:19], exec, s[18:19]
; %bb.107:                              ;   in Loop: Header=BB59_2 Depth=1
	ds_read_u8 v58, v57 offset:1
; %bb.108:                              ;   in Loop: Header=BB59_2 Depth=1
	s_or_saveexec_b64 s[18:19], s[18:19]
	v_mov_b32_e32 v59, v55
	s_xor_b64 exec, exec, s[18:19]
	s_cbranch_execz .LBB59_110
; %bb.109:                              ;   in Loop: Header=BB59_2 Depth=1
	ds_read_u8 v59, v56 offset:1
	s_waitcnt lgkmcnt(1)
	v_mov_b32_e32 v58, v54
.LBB59_110:                             ;   in Loop: Header=BB59_2 Depth=1
	s_or_b64 exec, exec, s[18:19]
	v_add_u32_e32 v61, 1, v57
	v_add_u32_e32 v60, 1, v56
	v_cndmask_b32_e64 v61, v61, v57, s[16:17]
	v_cndmask_b32_e64 v60, v56, v60, s[16:17]
	v_cmp_ge_i32_e64 s[18:19], v61, v18
	s_waitcnt lgkmcnt(0)
	v_cmp_lt_i16_sdwa s[0:1], sext(v59), sext(v58) src0_sel:BYTE_0 src1_sel:BYTE_0
	v_cmp_lt_i32_e32 vcc, v60, v19
	s_or_b64 s[0:1], s[18:19], s[0:1]
	s_and_b64 s[18:19], vcc, s[0:1]
	s_xor_b64 s[0:1], s[18:19], -1
                                        ; implicit-def: $vgpr62
	s_and_saveexec_b64 s[20:21], s[0:1]
	s_xor_b64 s[20:21], exec, s[20:21]
; %bb.111:                              ;   in Loop: Header=BB59_2 Depth=1
	ds_read_u8 v62, v61 offset:1
; %bb.112:                              ;   in Loop: Header=BB59_2 Depth=1
	s_or_saveexec_b64 s[20:21], s[20:21]
	v_mov_b32_e32 v63, v59
	s_xor_b64 exec, exec, s[20:21]
	s_cbranch_execz .LBB59_114
; %bb.113:                              ;   in Loop: Header=BB59_2 Depth=1
	ds_read_u8 v63, v60 offset:1
	s_waitcnt lgkmcnt(1)
	v_mov_b32_e32 v62, v58
.LBB59_114:                             ;   in Loop: Header=BB59_2 Depth=1
	s_or_b64 exec, exec, s[20:21]
	v_add_u32_e32 v65, 1, v61
	v_add_u32_e32 v64, 1, v60
	v_cndmask_b32_e64 v65, v65, v61, s[18:19]
	v_cndmask_b32_e64 v64, v60, v64, s[18:19]
	v_cmp_ge_i32_e64 s[20:21], v65, v18
	s_waitcnt lgkmcnt(0)
	v_cmp_lt_i16_sdwa s[0:1], sext(v63), sext(v62) src0_sel:BYTE_0 src1_sel:BYTE_0
	v_cmp_lt_i32_e32 vcc, v64, v19
	s_or_b64 s[0:1], s[20:21], s[0:1]
	s_and_b64 s[20:21], vcc, s[0:1]
	s_xor_b64 s[0:1], s[20:21], -1
                                        ; implicit-def: $vgpr66
	s_and_saveexec_b64 s[22:23], s[0:1]
	s_xor_b64 s[22:23], exec, s[22:23]
; %bb.115:                              ;   in Loop: Header=BB59_2 Depth=1
	ds_read_u8 v66, v65 offset:1
; %bb.116:                              ;   in Loop: Header=BB59_2 Depth=1
	s_or_saveexec_b64 s[22:23], s[22:23]
	v_mov_b32_e32 v67, v63
	s_xor_b64 exec, exec, s[22:23]
	s_cbranch_execz .LBB59_118
; %bb.117:                              ;   in Loop: Header=BB59_2 Depth=1
	ds_read_u8 v67, v64 offset:1
	s_waitcnt lgkmcnt(1)
	v_mov_b32_e32 v66, v62
.LBB59_118:                             ;   in Loop: Header=BB59_2 Depth=1
	s_or_b64 exec, exec, s[22:23]
	v_add_u32_e32 v69, 1, v65
	v_add_u32_e32 v68, 1, v64
	v_cndmask_b32_e64 v69, v69, v65, s[20:21]
	v_cndmask_b32_e64 v68, v64, v68, s[20:21]
	v_cmp_ge_i32_e64 s[22:23], v69, v18
	s_waitcnt lgkmcnt(0)
	v_cmp_lt_i16_sdwa s[0:1], sext(v67), sext(v66) src0_sel:BYTE_0 src1_sel:BYTE_0
	v_cmp_lt_i32_e32 vcc, v68, v19
	s_or_b64 s[0:1], s[22:23], s[0:1]
	s_and_b64 s[22:23], vcc, s[0:1]
	s_xor_b64 s[0:1], s[22:23], -1
                                        ; implicit-def: $vgpr70
	s_and_saveexec_b64 s[24:25], s[0:1]
	s_xor_b64 s[24:25], exec, s[24:25]
; %bb.119:                              ;   in Loop: Header=BB59_2 Depth=1
	ds_read_u8 v70, v69 offset:1
; %bb.120:                              ;   in Loop: Header=BB59_2 Depth=1
	s_or_saveexec_b64 s[24:25], s[24:25]
	v_mov_b32_e32 v71, v67
	s_xor_b64 exec, exec, s[24:25]
	s_cbranch_execz .LBB59_122
; %bb.121:                              ;   in Loop: Header=BB59_2 Depth=1
	ds_read_u8 v71, v68 offset:1
	s_waitcnt lgkmcnt(1)
	v_mov_b32_e32 v70, v66
.LBB59_122:                             ;   in Loop: Header=BB59_2 Depth=1
	s_or_b64 exec, exec, s[24:25]
	v_add_u32_e32 v73, 1, v69
	v_add_u32_e32 v72, 1, v68
	v_cndmask_b32_e64 v73, v73, v69, s[22:23]
	v_cndmask_b32_e64 v72, v68, v72, s[22:23]
	v_cmp_ge_i32_e64 s[24:25], v73, v18
	s_waitcnt lgkmcnt(0)
	v_cmp_lt_i16_sdwa s[0:1], sext(v71), sext(v70) src0_sel:BYTE_0 src1_sel:BYTE_0
	v_cmp_lt_i32_e32 vcc, v72, v19
	s_or_b64 s[0:1], s[24:25], s[0:1]
	s_and_b64 vcc, vcc, s[0:1]
	s_xor_b64 s[0:1], vcc, -1
                                        ; implicit-def: $vgpr74
	s_and_saveexec_b64 s[24:25], s[0:1]
	s_xor_b64 s[24:25], exec, s[24:25]
; %bb.123:                              ;   in Loop: Header=BB59_2 Depth=1
	ds_read_u8 v74, v73 offset:1
; %bb.124:                              ;   in Loop: Header=BB59_2 Depth=1
	s_or_saveexec_b64 s[24:25], s[24:25]
	v_mov_b32_e32 v75, v71
	s_xor_b64 exec, exec, s[24:25]
	s_cbranch_execz .LBB59_126
; %bb.125:                              ;   in Loop: Header=BB59_2 Depth=1
	ds_read_u8 v75, v72 offset:1
	s_waitcnt lgkmcnt(1)
	v_mov_b32_e32 v74, v70
.LBB59_126:                             ;   in Loop: Header=BB59_2 Depth=1
	s_or_b64 exec, exec, s[24:25]
	v_add_u32_e32 v78, 1, v73
	v_add_u32_e32 v76, 1, v72
	v_cndmask_b32_e32 v78, v78, v73, vcc
	v_cndmask_b32_e32 v77, v72, v76, vcc
	v_cmp_ge_i32_e64 s[26:27], v78, v18
	s_waitcnt lgkmcnt(0)
	v_cmp_lt_i16_sdwa s[0:1], sext(v75), sext(v74) src0_sel:BYTE_0 src1_sel:BYTE_0
	v_cmp_lt_i32_e64 s[24:25], v77, v19
	s_or_b64 s[0:1], s[26:27], s[0:1]
	s_and_b64 s[24:25], s[24:25], s[0:1]
	s_xor_b64 s[0:1], s[24:25], -1
                                        ; implicit-def: $vgpr76
	s_and_saveexec_b64 s[26:27], s[0:1]
	s_xor_b64 s[26:27], exec, s[26:27]
; %bb.127:                              ;   in Loop: Header=BB59_2 Depth=1
	ds_read_u8 v76, v78 offset:1
; %bb.128:                              ;   in Loop: Header=BB59_2 Depth=1
	s_or_saveexec_b64 s[26:27], s[26:27]
	v_mov_b32_e32 v79, v75
	s_xor_b64 exec, exec, s[26:27]
	s_cbranch_execz .LBB59_130
; %bb.129:                              ;   in Loop: Header=BB59_2 Depth=1
	ds_read_u8 v79, v77 offset:1
	s_waitcnt lgkmcnt(1)
	v_mov_b32_e32 v76, v74
.LBB59_130:                             ;   in Loop: Header=BB59_2 Depth=1
	s_or_b64 exec, exec, s[26:27]
	v_add_u32_e32 v80, 1, v78
	v_cndmask_b32_e64 v74, v74, v75, s[24:25]
	v_add_u32_e32 v75, 1, v77
	v_cndmask_b32_e64 v80, v80, v78, s[24:25]
	v_cndmask_b32_e64 v75, v77, v75, s[24:25]
	;; [unrolled: 1-line block ×4, first 2 shown]
	v_cmp_ge_i32_e64 s[14:15], v80, v18
	s_waitcnt lgkmcnt(0)
	v_cmp_lt_i16_sdwa s[0:1], sext(v79), sext(v76) src0_sel:BYTE_0 src1_sel:BYTE_0
	v_cndmask_b32_sdwa v70, v70, v71, vcc dst_sel:BYTE_1 dst_unused:UNUSED_PAD src0_sel:DWORD src1_sel:DWORD
	v_cndmask_b32_e32 v71, v73, v72, vcc
	v_cmp_lt_i32_e32 vcc, v75, v19
	s_or_b64 s[0:1], s[14:15], s[0:1]
	v_perm_b32 v47, v47, v48, s88
	v_perm_b32 v46, v49, v46, s88
	;; [unrolled: 1-line block ×4, first 2 shown]
	s_and_b64 vcc, vcc, s[0:1]
	v_lshl_or_b32 v47, v46, 16, v47
	v_lshl_or_b32 v46, v2, 16, v1
	v_cndmask_b32_e64 v77, v78, v77, s[24:25]
	v_cndmask_b32_e64 v66, v66, v67, s[22:23]
	;; [unrolled: 1-line block ×9, first 2 shown]
	v_cndmask_b32_e32 v53, v80, v75, vcc
	s_barrier
	ds_write_b64 v5, v[46:47]
	s_waitcnt lgkmcnt(0)
	s_barrier
	ds_read_u8 v1, v50
	ds_read_u8 v46, v53
	;; [unrolled: 1-line block ×8, first 2 shown]
	v_lshlrev_b16_e32 v50, 8, v54
	v_cndmask_b32_e32 v51, v76, v79, vcc
	v_or_b32_sdwa v50, v52, v50 dst_sel:DWORD dst_unused:UNUSED_PAD src0_sel:BYTE_0 src1_sel:DWORD
	v_lshlrev_b16_e32 v52, 8, v62
	v_or_b32_sdwa v52, v58, v52 dst_sel:WORD_1 dst_unused:UNUSED_PAD src0_sel:BYTE_0 src1_sel:DWORD
	v_lshlrev_b16_e32 v51, 8, v51
	v_or_b32_sdwa v50, v50, v52 dst_sel:DWORD dst_unused:UNUSED_PAD src0_sel:WORD_0 src1_sel:DWORD
	v_or_b32_sdwa v52, v66, v70 dst_sel:DWORD dst_unused:UNUSED_PAD src0_sel:BYTE_0 src1_sel:DWORD
	v_or_b32_sdwa v51, v74, v51 dst_sel:WORD_1 dst_unused:UNUSED_PAD src0_sel:BYTE_0 src1_sel:DWORD
	v_or_b32_sdwa v51, v52, v51 dst_sel:DWORD dst_unused:UNUSED_PAD src0_sel:WORD_0 src1_sel:DWORD
	s_waitcnt lgkmcnt(0)
	s_barrier
	ds_write_b64 v5, v[50:51]
	v_mov_b32_e32 v51, v36
	s_waitcnt lgkmcnt(0)
	s_barrier
	s_and_saveexec_b64 s[14:15], s[8:9]
	s_cbranch_execz .LBB59_134
; %bb.131:                              ;   in Loop: Header=BB59_2 Depth=1
	s_mov_b64 s[16:17], 0
	v_mov_b32_e32 v51, v36
	v_mov_b32_e32 v50, v37
.LBB59_132:                             ;   Parent Loop BB59_2 Depth=1
                                        ; =>  This Inner Loop Header: Depth=2
	v_sub_u32_e32 v52, v50, v51
	v_lshrrev_b32_e32 v52, 1, v52
	v_add_u32_e32 v52, v52, v51
	v_add_u32_e32 v53, v10, v52
	v_xad_u32 v54, v52, -1, v38
	ds_read_i8 v53, v53
	ds_read_i8 v54, v54
	v_add_u32_e32 v55, 1, v52
	s_waitcnt lgkmcnt(0)
	v_cmp_lt_i16_e32 vcc, v54, v53
	v_cndmask_b32_e32 v50, v50, v52, vcc
	v_cndmask_b32_e32 v51, v55, v51, vcc
	v_cmp_ge_i32_e32 vcc, v51, v50
	s_or_b64 s[16:17], vcc, s[16:17]
	s_andn2_b64 exec, exec, s[16:17]
	s_cbranch_execnz .LBB59_132
; %bb.133:                              ;   in Loop: Header=BB59_2 Depth=1
	s_or_b64 exec, exec, s[16:17]
.LBB59_134:                             ;   in Loop: Header=BB59_2 Depth=1
	s_or_b64 exec, exec, s[14:15]
	v_add_u32_e32 v50, v51, v10
	v_sub_u32_e32 v51, v38, v51
	ds_read_u8 v52, v50
	ds_read_u8 v53, v51
	v_cmp_le_i32_e64 s[14:15], v20, v50
	v_cmp_gt_i32_e32 vcc, v21, v51
                                        ; implicit-def: $vgpr54
	s_waitcnt lgkmcnt(1)
	v_bfe_i32 v52, v52, 0, 8
	s_waitcnt lgkmcnt(0)
	v_bfe_i32 v53, v53, 0, 8
	v_cmp_lt_i16_e64 s[16:17], v53, v52
	s_or_b64 s[0:1], s[14:15], s[16:17]
	s_and_b64 s[14:15], vcc, s[0:1]
	s_xor_b64 s[0:1], s[14:15], -1
	s_and_saveexec_b64 s[16:17], s[0:1]
	s_xor_b64 s[16:17], exec, s[16:17]
; %bb.135:                              ;   in Loop: Header=BB59_2 Depth=1
	ds_read_u8 v54, v50 offset:1
; %bb.136:                              ;   in Loop: Header=BB59_2 Depth=1
	s_or_saveexec_b64 s[16:17], s[16:17]
	v_mov_b32_e32 v55, v53
	s_xor_b64 exec, exec, s[16:17]
	s_cbranch_execz .LBB59_138
; %bb.137:                              ;   in Loop: Header=BB59_2 Depth=1
	ds_read_u8 v55, v51 offset:1
	s_waitcnt lgkmcnt(1)
	v_mov_b32_e32 v54, v52
.LBB59_138:                             ;   in Loop: Header=BB59_2 Depth=1
	s_or_b64 exec, exec, s[16:17]
	v_add_u32_e32 v57, 1, v50
	v_add_u32_e32 v56, 1, v51
	v_cndmask_b32_e64 v57, v57, v50, s[14:15]
	v_cndmask_b32_e64 v56, v51, v56, s[14:15]
	v_cmp_ge_i32_e64 s[16:17], v57, v20
	s_waitcnt lgkmcnt(0)
	v_cmp_lt_i16_sdwa s[0:1], sext(v55), sext(v54) src0_sel:BYTE_0 src1_sel:BYTE_0
	v_cmp_lt_i32_e32 vcc, v56, v21
	s_or_b64 s[0:1], s[16:17], s[0:1]
	s_and_b64 s[16:17], vcc, s[0:1]
	s_xor_b64 s[0:1], s[16:17], -1
                                        ; implicit-def: $vgpr58
	s_and_saveexec_b64 s[18:19], s[0:1]
	s_xor_b64 s[18:19], exec, s[18:19]
; %bb.139:                              ;   in Loop: Header=BB59_2 Depth=1
	ds_read_u8 v58, v57 offset:1
; %bb.140:                              ;   in Loop: Header=BB59_2 Depth=1
	s_or_saveexec_b64 s[18:19], s[18:19]
	v_mov_b32_e32 v59, v55
	s_xor_b64 exec, exec, s[18:19]
	s_cbranch_execz .LBB59_142
; %bb.141:                              ;   in Loop: Header=BB59_2 Depth=1
	ds_read_u8 v59, v56 offset:1
	s_waitcnt lgkmcnt(1)
	v_mov_b32_e32 v58, v54
.LBB59_142:                             ;   in Loop: Header=BB59_2 Depth=1
	s_or_b64 exec, exec, s[18:19]
	v_add_u32_e32 v61, 1, v57
	v_add_u32_e32 v60, 1, v56
	v_cndmask_b32_e64 v61, v61, v57, s[16:17]
	v_cndmask_b32_e64 v60, v56, v60, s[16:17]
	v_cmp_ge_i32_e64 s[18:19], v61, v20
	s_waitcnt lgkmcnt(0)
	v_cmp_lt_i16_sdwa s[0:1], sext(v59), sext(v58) src0_sel:BYTE_0 src1_sel:BYTE_0
	v_cmp_lt_i32_e32 vcc, v60, v21
	s_or_b64 s[0:1], s[18:19], s[0:1]
	s_and_b64 s[18:19], vcc, s[0:1]
	s_xor_b64 s[0:1], s[18:19], -1
                                        ; implicit-def: $vgpr62
	s_and_saveexec_b64 s[20:21], s[0:1]
	s_xor_b64 s[20:21], exec, s[20:21]
; %bb.143:                              ;   in Loop: Header=BB59_2 Depth=1
	ds_read_u8 v62, v61 offset:1
; %bb.144:                              ;   in Loop: Header=BB59_2 Depth=1
	s_or_saveexec_b64 s[20:21], s[20:21]
	v_mov_b32_e32 v63, v59
	s_xor_b64 exec, exec, s[20:21]
	s_cbranch_execz .LBB59_146
; %bb.145:                              ;   in Loop: Header=BB59_2 Depth=1
	ds_read_u8 v63, v60 offset:1
	s_waitcnt lgkmcnt(1)
	v_mov_b32_e32 v62, v58
.LBB59_146:                             ;   in Loop: Header=BB59_2 Depth=1
	s_or_b64 exec, exec, s[20:21]
	v_add_u32_e32 v65, 1, v61
	v_add_u32_e32 v64, 1, v60
	v_cndmask_b32_e64 v65, v65, v61, s[18:19]
	v_cndmask_b32_e64 v64, v60, v64, s[18:19]
	v_cmp_ge_i32_e64 s[20:21], v65, v20
	s_waitcnt lgkmcnt(0)
	v_cmp_lt_i16_sdwa s[0:1], sext(v63), sext(v62) src0_sel:BYTE_0 src1_sel:BYTE_0
	v_cmp_lt_i32_e32 vcc, v64, v21
	s_or_b64 s[0:1], s[20:21], s[0:1]
	s_and_b64 s[20:21], vcc, s[0:1]
	s_xor_b64 s[0:1], s[20:21], -1
                                        ; implicit-def: $vgpr66
	s_and_saveexec_b64 s[22:23], s[0:1]
	s_xor_b64 s[22:23], exec, s[22:23]
; %bb.147:                              ;   in Loop: Header=BB59_2 Depth=1
	ds_read_u8 v66, v65 offset:1
; %bb.148:                              ;   in Loop: Header=BB59_2 Depth=1
	s_or_saveexec_b64 s[22:23], s[22:23]
	v_mov_b32_e32 v67, v63
	s_xor_b64 exec, exec, s[22:23]
	s_cbranch_execz .LBB59_150
; %bb.149:                              ;   in Loop: Header=BB59_2 Depth=1
	ds_read_u8 v67, v64 offset:1
	s_waitcnt lgkmcnt(1)
	v_mov_b32_e32 v66, v62
.LBB59_150:                             ;   in Loop: Header=BB59_2 Depth=1
	s_or_b64 exec, exec, s[22:23]
	v_add_u32_e32 v69, 1, v65
	v_add_u32_e32 v68, 1, v64
	v_cndmask_b32_e64 v69, v69, v65, s[20:21]
	v_cndmask_b32_e64 v68, v64, v68, s[20:21]
	v_cmp_ge_i32_e64 s[22:23], v69, v20
	s_waitcnt lgkmcnt(0)
	v_cmp_lt_i16_sdwa s[0:1], sext(v67), sext(v66) src0_sel:BYTE_0 src1_sel:BYTE_0
	v_cmp_lt_i32_e32 vcc, v68, v21
	s_or_b64 s[0:1], s[22:23], s[0:1]
	s_and_b64 s[22:23], vcc, s[0:1]
	s_xor_b64 s[0:1], s[22:23], -1
                                        ; implicit-def: $vgpr70
	s_and_saveexec_b64 s[24:25], s[0:1]
	s_xor_b64 s[24:25], exec, s[24:25]
; %bb.151:                              ;   in Loop: Header=BB59_2 Depth=1
	ds_read_u8 v70, v69 offset:1
; %bb.152:                              ;   in Loop: Header=BB59_2 Depth=1
	s_or_saveexec_b64 s[24:25], s[24:25]
	v_mov_b32_e32 v71, v67
	s_xor_b64 exec, exec, s[24:25]
	s_cbranch_execz .LBB59_154
; %bb.153:                              ;   in Loop: Header=BB59_2 Depth=1
	ds_read_u8 v71, v68 offset:1
	s_waitcnt lgkmcnt(1)
	v_mov_b32_e32 v70, v66
.LBB59_154:                             ;   in Loop: Header=BB59_2 Depth=1
	s_or_b64 exec, exec, s[24:25]
	v_add_u32_e32 v73, 1, v69
	v_add_u32_e32 v72, 1, v68
	v_cndmask_b32_e64 v73, v73, v69, s[22:23]
	v_cndmask_b32_e64 v72, v68, v72, s[22:23]
	v_cmp_ge_i32_e64 s[24:25], v73, v20
	s_waitcnt lgkmcnt(0)
	v_cmp_lt_i16_sdwa s[0:1], sext(v71), sext(v70) src0_sel:BYTE_0 src1_sel:BYTE_0
	v_cmp_lt_i32_e32 vcc, v72, v21
	s_or_b64 s[0:1], s[24:25], s[0:1]
	s_and_b64 vcc, vcc, s[0:1]
	s_xor_b64 s[0:1], vcc, -1
                                        ; implicit-def: $vgpr74
	s_and_saveexec_b64 s[24:25], s[0:1]
	s_xor_b64 s[24:25], exec, s[24:25]
; %bb.155:                              ;   in Loop: Header=BB59_2 Depth=1
	ds_read_u8 v74, v73 offset:1
; %bb.156:                              ;   in Loop: Header=BB59_2 Depth=1
	s_or_saveexec_b64 s[24:25], s[24:25]
	v_mov_b32_e32 v75, v71
	s_xor_b64 exec, exec, s[24:25]
	s_cbranch_execz .LBB59_158
; %bb.157:                              ;   in Loop: Header=BB59_2 Depth=1
	ds_read_u8 v75, v72 offset:1
	s_waitcnt lgkmcnt(1)
	v_mov_b32_e32 v74, v70
.LBB59_158:                             ;   in Loop: Header=BB59_2 Depth=1
	s_or_b64 exec, exec, s[24:25]
	v_add_u32_e32 v78, 1, v73
	v_add_u32_e32 v76, 1, v72
	v_cndmask_b32_e32 v78, v78, v73, vcc
	v_cndmask_b32_e32 v77, v72, v76, vcc
	v_cmp_ge_i32_e64 s[26:27], v78, v20
	s_waitcnt lgkmcnt(0)
	v_cmp_lt_i16_sdwa s[0:1], sext(v75), sext(v74) src0_sel:BYTE_0 src1_sel:BYTE_0
	v_cmp_lt_i32_e64 s[24:25], v77, v21
	s_or_b64 s[0:1], s[26:27], s[0:1]
	s_and_b64 s[24:25], s[24:25], s[0:1]
	s_xor_b64 s[0:1], s[24:25], -1
                                        ; implicit-def: $vgpr76
	s_and_saveexec_b64 s[26:27], s[0:1]
	s_xor_b64 s[26:27], exec, s[26:27]
; %bb.159:                              ;   in Loop: Header=BB59_2 Depth=1
	ds_read_u8 v76, v78 offset:1
; %bb.160:                              ;   in Loop: Header=BB59_2 Depth=1
	s_or_saveexec_b64 s[26:27], s[26:27]
	v_mov_b32_e32 v79, v75
	s_xor_b64 exec, exec, s[26:27]
	s_cbranch_execz .LBB59_162
; %bb.161:                              ;   in Loop: Header=BB59_2 Depth=1
	ds_read_u8 v79, v77 offset:1
	s_waitcnt lgkmcnt(1)
	v_mov_b32_e32 v76, v74
.LBB59_162:                             ;   in Loop: Header=BB59_2 Depth=1
	s_or_b64 exec, exec, s[26:27]
	v_add_u32_e32 v80, 1, v78
	v_cndmask_b32_e64 v74, v74, v75, s[24:25]
	v_add_u32_e32 v75, 1, v77
	v_cndmask_b32_e64 v80, v80, v78, s[24:25]
	v_cndmask_b32_e64 v75, v77, v75, s[24:25]
	;; [unrolled: 1-line block ×4, first 2 shown]
	v_cmp_ge_i32_e64 s[14:15], v80, v20
	s_waitcnt lgkmcnt(0)
	v_cmp_lt_i16_sdwa s[0:1], sext(v79), sext(v76) src0_sel:BYTE_0 src1_sel:BYTE_0
	v_cndmask_b32_sdwa v70, v70, v71, vcc dst_sel:BYTE_1 dst_unused:UNUSED_PAD src0_sel:DWORD src1_sel:DWORD
	v_cndmask_b32_e32 v71, v73, v72, vcc
	v_cmp_lt_i32_e32 vcc, v75, v21
	s_or_b64 s[0:1], s[14:15], s[0:1]
	v_perm_b32 v47, v47, v48, s88
	v_perm_b32 v46, v49, v46, s88
	v_perm_b32 v1, v1, v2, s88
	v_perm_b32 v2, v3, v4, s88
	s_and_b64 vcc, vcc, s[0:1]
	v_lshl_or_b32 v47, v46, 16, v47
	v_lshl_or_b32 v46, v2, 16, v1
	v_cndmask_b32_e64 v77, v78, v77, s[24:25]
	v_cndmask_b32_e64 v66, v66, v67, s[22:23]
	;; [unrolled: 1-line block ×9, first 2 shown]
	v_cndmask_b32_e32 v53, v80, v75, vcc
	s_barrier
	ds_write_b64 v5, v[46:47]
	s_waitcnt lgkmcnt(0)
	s_barrier
	ds_read_u8 v1, v50
	ds_read_u8 v46, v53
	;; [unrolled: 1-line block ×8, first 2 shown]
	v_lshlrev_b16_e32 v50, 8, v54
	v_cndmask_b32_e32 v51, v76, v79, vcc
	v_or_b32_sdwa v50, v52, v50 dst_sel:DWORD dst_unused:UNUSED_PAD src0_sel:BYTE_0 src1_sel:DWORD
	v_lshlrev_b16_e32 v52, 8, v62
	v_or_b32_sdwa v52, v58, v52 dst_sel:WORD_1 dst_unused:UNUSED_PAD src0_sel:BYTE_0 src1_sel:DWORD
	v_lshlrev_b16_e32 v51, 8, v51
	v_or_b32_sdwa v50, v50, v52 dst_sel:DWORD dst_unused:UNUSED_PAD src0_sel:WORD_0 src1_sel:DWORD
	v_or_b32_sdwa v52, v66, v70 dst_sel:DWORD dst_unused:UNUSED_PAD src0_sel:BYTE_0 src1_sel:DWORD
	v_or_b32_sdwa v51, v74, v51 dst_sel:WORD_1 dst_unused:UNUSED_PAD src0_sel:BYTE_0 src1_sel:DWORD
	v_or_b32_sdwa v51, v52, v51 dst_sel:DWORD dst_unused:UNUSED_PAD src0_sel:WORD_0 src1_sel:DWORD
	s_waitcnt lgkmcnt(0)
	s_barrier
	ds_write_b64 v5, v[50:51]
	v_mov_b32_e32 v51, v39
	s_waitcnt lgkmcnt(0)
	s_barrier
	s_and_saveexec_b64 s[14:15], s[10:11]
	s_cbranch_execz .LBB59_166
; %bb.163:                              ;   in Loop: Header=BB59_2 Depth=1
	s_mov_b64 s[16:17], 0
	v_mov_b32_e32 v51, v39
	v_mov_b32_e32 v50, v40
.LBB59_164:                             ;   Parent Loop BB59_2 Depth=1
                                        ; =>  This Inner Loop Header: Depth=2
	v_sub_u32_e32 v52, v50, v51
	v_lshrrev_b32_e32 v52, 1, v52
	v_add_u32_e32 v52, v52, v51
	v_add_u32_e32 v53, v11, v52
	v_xad_u32 v54, v52, -1, v41
	ds_read_i8 v53, v53
	ds_read_i8 v54, v54
	v_add_u32_e32 v55, 1, v52
	s_waitcnt lgkmcnt(0)
	v_cmp_lt_i16_e32 vcc, v54, v53
	v_cndmask_b32_e32 v50, v50, v52, vcc
	v_cndmask_b32_e32 v51, v55, v51, vcc
	v_cmp_ge_i32_e32 vcc, v51, v50
	s_or_b64 s[16:17], vcc, s[16:17]
	s_andn2_b64 exec, exec, s[16:17]
	s_cbranch_execnz .LBB59_164
; %bb.165:                              ;   in Loop: Header=BB59_2 Depth=1
	s_or_b64 exec, exec, s[16:17]
.LBB59_166:                             ;   in Loop: Header=BB59_2 Depth=1
	s_or_b64 exec, exec, s[14:15]
	v_add_u32_e32 v50, v51, v11
	v_sub_u32_e32 v51, v41, v51
	ds_read_u8 v52, v50
	ds_read_u8 v53, v51
	v_cmp_le_i32_e64 s[14:15], v22, v50
	v_cmp_gt_i32_e32 vcc, v23, v51
                                        ; implicit-def: $vgpr54
	s_waitcnt lgkmcnt(1)
	v_bfe_i32 v52, v52, 0, 8
	s_waitcnt lgkmcnt(0)
	v_bfe_i32 v53, v53, 0, 8
	v_cmp_lt_i16_e64 s[16:17], v53, v52
	s_or_b64 s[0:1], s[14:15], s[16:17]
	s_and_b64 s[14:15], vcc, s[0:1]
	s_xor_b64 s[0:1], s[14:15], -1
	s_and_saveexec_b64 s[16:17], s[0:1]
	s_xor_b64 s[16:17], exec, s[16:17]
; %bb.167:                              ;   in Loop: Header=BB59_2 Depth=1
	ds_read_u8 v54, v50 offset:1
; %bb.168:                              ;   in Loop: Header=BB59_2 Depth=1
	s_or_saveexec_b64 s[16:17], s[16:17]
	v_mov_b32_e32 v55, v53
	s_xor_b64 exec, exec, s[16:17]
	s_cbranch_execz .LBB59_170
; %bb.169:                              ;   in Loop: Header=BB59_2 Depth=1
	ds_read_u8 v55, v51 offset:1
	s_waitcnt lgkmcnt(1)
	v_mov_b32_e32 v54, v52
.LBB59_170:                             ;   in Loop: Header=BB59_2 Depth=1
	s_or_b64 exec, exec, s[16:17]
	v_add_u32_e32 v57, 1, v50
	v_add_u32_e32 v56, 1, v51
	v_cndmask_b32_e64 v57, v57, v50, s[14:15]
	v_cndmask_b32_e64 v56, v51, v56, s[14:15]
	v_cmp_ge_i32_e64 s[16:17], v57, v22
	s_waitcnt lgkmcnt(0)
	v_cmp_lt_i16_sdwa s[0:1], sext(v55), sext(v54) src0_sel:BYTE_0 src1_sel:BYTE_0
	v_cmp_lt_i32_e32 vcc, v56, v23
	s_or_b64 s[0:1], s[16:17], s[0:1]
	s_and_b64 s[16:17], vcc, s[0:1]
	s_xor_b64 s[0:1], s[16:17], -1
                                        ; implicit-def: $vgpr58
	s_and_saveexec_b64 s[18:19], s[0:1]
	s_xor_b64 s[18:19], exec, s[18:19]
; %bb.171:                              ;   in Loop: Header=BB59_2 Depth=1
	ds_read_u8 v58, v57 offset:1
; %bb.172:                              ;   in Loop: Header=BB59_2 Depth=1
	s_or_saveexec_b64 s[18:19], s[18:19]
	v_mov_b32_e32 v59, v55
	s_xor_b64 exec, exec, s[18:19]
	s_cbranch_execz .LBB59_174
; %bb.173:                              ;   in Loop: Header=BB59_2 Depth=1
	ds_read_u8 v59, v56 offset:1
	s_waitcnt lgkmcnt(1)
	v_mov_b32_e32 v58, v54
.LBB59_174:                             ;   in Loop: Header=BB59_2 Depth=1
	s_or_b64 exec, exec, s[18:19]
	v_add_u32_e32 v61, 1, v57
	v_add_u32_e32 v60, 1, v56
	v_cndmask_b32_e64 v61, v61, v57, s[16:17]
	v_cndmask_b32_e64 v60, v56, v60, s[16:17]
	v_cmp_ge_i32_e64 s[18:19], v61, v22
	s_waitcnt lgkmcnt(0)
	v_cmp_lt_i16_sdwa s[0:1], sext(v59), sext(v58) src0_sel:BYTE_0 src1_sel:BYTE_0
	v_cmp_lt_i32_e32 vcc, v60, v23
	s_or_b64 s[0:1], s[18:19], s[0:1]
	s_and_b64 s[18:19], vcc, s[0:1]
	s_xor_b64 s[0:1], s[18:19], -1
                                        ; implicit-def: $vgpr62
	s_and_saveexec_b64 s[20:21], s[0:1]
	s_xor_b64 s[20:21], exec, s[20:21]
; %bb.175:                              ;   in Loop: Header=BB59_2 Depth=1
	ds_read_u8 v62, v61 offset:1
; %bb.176:                              ;   in Loop: Header=BB59_2 Depth=1
	s_or_saveexec_b64 s[20:21], s[20:21]
	v_mov_b32_e32 v63, v59
	s_xor_b64 exec, exec, s[20:21]
	s_cbranch_execz .LBB59_178
; %bb.177:                              ;   in Loop: Header=BB59_2 Depth=1
	ds_read_u8 v63, v60 offset:1
	s_waitcnt lgkmcnt(1)
	v_mov_b32_e32 v62, v58
.LBB59_178:                             ;   in Loop: Header=BB59_2 Depth=1
	s_or_b64 exec, exec, s[20:21]
	v_add_u32_e32 v65, 1, v61
	v_add_u32_e32 v64, 1, v60
	v_cndmask_b32_e64 v65, v65, v61, s[18:19]
	v_cndmask_b32_e64 v64, v60, v64, s[18:19]
	v_cmp_ge_i32_e64 s[20:21], v65, v22
	s_waitcnt lgkmcnt(0)
	v_cmp_lt_i16_sdwa s[0:1], sext(v63), sext(v62) src0_sel:BYTE_0 src1_sel:BYTE_0
	v_cmp_lt_i32_e32 vcc, v64, v23
	s_or_b64 s[0:1], s[20:21], s[0:1]
	s_and_b64 s[20:21], vcc, s[0:1]
	s_xor_b64 s[0:1], s[20:21], -1
                                        ; implicit-def: $vgpr66
	s_and_saveexec_b64 s[22:23], s[0:1]
	s_xor_b64 s[22:23], exec, s[22:23]
; %bb.179:                              ;   in Loop: Header=BB59_2 Depth=1
	ds_read_u8 v66, v65 offset:1
; %bb.180:                              ;   in Loop: Header=BB59_2 Depth=1
	s_or_saveexec_b64 s[22:23], s[22:23]
	v_mov_b32_e32 v67, v63
	s_xor_b64 exec, exec, s[22:23]
	s_cbranch_execz .LBB59_182
; %bb.181:                              ;   in Loop: Header=BB59_2 Depth=1
	ds_read_u8 v67, v64 offset:1
	s_waitcnt lgkmcnt(1)
	v_mov_b32_e32 v66, v62
.LBB59_182:                             ;   in Loop: Header=BB59_2 Depth=1
	s_or_b64 exec, exec, s[22:23]
	v_add_u32_e32 v69, 1, v65
	v_add_u32_e32 v68, 1, v64
	v_cndmask_b32_e64 v69, v69, v65, s[20:21]
	v_cndmask_b32_e64 v68, v64, v68, s[20:21]
	v_cmp_ge_i32_e64 s[22:23], v69, v22
	s_waitcnt lgkmcnt(0)
	v_cmp_lt_i16_sdwa s[0:1], sext(v67), sext(v66) src0_sel:BYTE_0 src1_sel:BYTE_0
	v_cmp_lt_i32_e32 vcc, v68, v23
	s_or_b64 s[0:1], s[22:23], s[0:1]
	s_and_b64 s[22:23], vcc, s[0:1]
	s_xor_b64 s[0:1], s[22:23], -1
                                        ; implicit-def: $vgpr70
	s_and_saveexec_b64 s[24:25], s[0:1]
	s_xor_b64 s[24:25], exec, s[24:25]
; %bb.183:                              ;   in Loop: Header=BB59_2 Depth=1
	ds_read_u8 v70, v69 offset:1
; %bb.184:                              ;   in Loop: Header=BB59_2 Depth=1
	s_or_saveexec_b64 s[24:25], s[24:25]
	v_mov_b32_e32 v71, v67
	s_xor_b64 exec, exec, s[24:25]
	s_cbranch_execz .LBB59_186
; %bb.185:                              ;   in Loop: Header=BB59_2 Depth=1
	ds_read_u8 v71, v68 offset:1
	s_waitcnt lgkmcnt(1)
	v_mov_b32_e32 v70, v66
.LBB59_186:                             ;   in Loop: Header=BB59_2 Depth=1
	s_or_b64 exec, exec, s[24:25]
	v_add_u32_e32 v73, 1, v69
	v_add_u32_e32 v72, 1, v68
	v_cndmask_b32_e64 v73, v73, v69, s[22:23]
	v_cndmask_b32_e64 v72, v68, v72, s[22:23]
	v_cmp_ge_i32_e64 s[24:25], v73, v22
	s_waitcnt lgkmcnt(0)
	v_cmp_lt_i16_sdwa s[0:1], sext(v71), sext(v70) src0_sel:BYTE_0 src1_sel:BYTE_0
	v_cmp_lt_i32_e32 vcc, v72, v23
	s_or_b64 s[0:1], s[24:25], s[0:1]
	s_and_b64 vcc, vcc, s[0:1]
	s_xor_b64 s[0:1], vcc, -1
                                        ; implicit-def: $vgpr74
	s_and_saveexec_b64 s[24:25], s[0:1]
	s_xor_b64 s[24:25], exec, s[24:25]
; %bb.187:                              ;   in Loop: Header=BB59_2 Depth=1
	ds_read_u8 v74, v73 offset:1
; %bb.188:                              ;   in Loop: Header=BB59_2 Depth=1
	s_or_saveexec_b64 s[24:25], s[24:25]
	v_mov_b32_e32 v75, v71
	s_xor_b64 exec, exec, s[24:25]
	s_cbranch_execz .LBB59_190
; %bb.189:                              ;   in Loop: Header=BB59_2 Depth=1
	ds_read_u8 v75, v72 offset:1
	s_waitcnt lgkmcnt(1)
	v_mov_b32_e32 v74, v70
.LBB59_190:                             ;   in Loop: Header=BB59_2 Depth=1
	s_or_b64 exec, exec, s[24:25]
	v_add_u32_e32 v78, 1, v73
	v_add_u32_e32 v76, 1, v72
	v_cndmask_b32_e32 v78, v78, v73, vcc
	v_cndmask_b32_e32 v77, v72, v76, vcc
	v_cmp_ge_i32_e64 s[26:27], v78, v22
	s_waitcnt lgkmcnt(0)
	v_cmp_lt_i16_sdwa s[0:1], sext(v75), sext(v74) src0_sel:BYTE_0 src1_sel:BYTE_0
	v_cmp_lt_i32_e64 s[24:25], v77, v23
	s_or_b64 s[0:1], s[26:27], s[0:1]
	s_and_b64 s[24:25], s[24:25], s[0:1]
	s_xor_b64 s[0:1], s[24:25], -1
                                        ; implicit-def: $vgpr76
	s_and_saveexec_b64 s[26:27], s[0:1]
	s_xor_b64 s[26:27], exec, s[26:27]
; %bb.191:                              ;   in Loop: Header=BB59_2 Depth=1
	ds_read_u8 v76, v78 offset:1
; %bb.192:                              ;   in Loop: Header=BB59_2 Depth=1
	s_or_saveexec_b64 s[26:27], s[26:27]
	v_mov_b32_e32 v79, v75
	s_xor_b64 exec, exec, s[26:27]
	s_cbranch_execz .LBB59_194
; %bb.193:                              ;   in Loop: Header=BB59_2 Depth=1
	ds_read_u8 v79, v77 offset:1
	s_waitcnt lgkmcnt(1)
	v_mov_b32_e32 v76, v74
.LBB59_194:                             ;   in Loop: Header=BB59_2 Depth=1
	s_or_b64 exec, exec, s[26:27]
	v_add_u32_e32 v80, 1, v78
	v_cndmask_b32_e64 v74, v74, v75, s[24:25]
	v_add_u32_e32 v75, 1, v77
	v_cndmask_b32_e64 v80, v80, v78, s[24:25]
	v_cndmask_b32_e64 v75, v77, v75, s[24:25]
	v_cndmask_b32_e64 v52, v52, v53, s[14:15]
	v_cndmask_b32_e64 v50, v50, v51, s[14:15]
	v_cmp_ge_i32_e64 s[14:15], v80, v22
	s_waitcnt lgkmcnt(0)
	v_cmp_lt_i16_sdwa s[0:1], sext(v79), sext(v76) src0_sel:BYTE_0 src1_sel:BYTE_0
	v_cndmask_b32_sdwa v70, v70, v71, vcc dst_sel:BYTE_1 dst_unused:UNUSED_PAD src0_sel:DWORD src1_sel:DWORD
	v_cndmask_b32_e32 v71, v73, v72, vcc
	v_cmp_lt_i32_e32 vcc, v75, v23
	s_or_b64 s[0:1], s[14:15], s[0:1]
	v_perm_b32 v47, v47, v48, s88
	v_perm_b32 v46, v49, v46, s88
	;; [unrolled: 1-line block ×4, first 2 shown]
	s_and_b64 vcc, vcc, s[0:1]
	v_lshl_or_b32 v47, v46, 16, v47
	v_lshl_or_b32 v46, v2, 16, v1
	v_cndmask_b32_e64 v77, v78, v77, s[24:25]
	v_cndmask_b32_e64 v66, v66, v67, s[22:23]
	;; [unrolled: 1-line block ×9, first 2 shown]
	v_cndmask_b32_e32 v53, v80, v75, vcc
	s_barrier
	ds_write_b64 v5, v[46:47]
	s_waitcnt lgkmcnt(0)
	s_barrier
	ds_read_u8 v1, v50
	ds_read_u8 v46, v53
	;; [unrolled: 1-line block ×8, first 2 shown]
	v_lshlrev_b16_e32 v50, 8, v54
	v_cndmask_b32_e32 v51, v76, v79, vcc
	v_or_b32_sdwa v50, v52, v50 dst_sel:DWORD dst_unused:UNUSED_PAD src0_sel:BYTE_0 src1_sel:DWORD
	v_lshlrev_b16_e32 v52, 8, v62
	v_or_b32_sdwa v52, v58, v52 dst_sel:WORD_1 dst_unused:UNUSED_PAD src0_sel:BYTE_0 src1_sel:DWORD
	v_lshlrev_b16_e32 v51, 8, v51
	v_or_b32_sdwa v50, v50, v52 dst_sel:DWORD dst_unused:UNUSED_PAD src0_sel:WORD_0 src1_sel:DWORD
	v_or_b32_sdwa v52, v66, v70 dst_sel:DWORD dst_unused:UNUSED_PAD src0_sel:BYTE_0 src1_sel:DWORD
	v_or_b32_sdwa v51, v74, v51 dst_sel:WORD_1 dst_unused:UNUSED_PAD src0_sel:BYTE_0 src1_sel:DWORD
	v_or_b32_sdwa v51, v52, v51 dst_sel:DWORD dst_unused:UNUSED_PAD src0_sel:WORD_0 src1_sel:DWORD
	s_waitcnt lgkmcnt(0)
	s_barrier
	ds_write_b64 v5, v[50:51]
	v_mov_b32_e32 v50, v43
	s_waitcnt lgkmcnt(0)
	s_barrier
	s_and_saveexec_b64 s[14:15], s[12:13]
	s_cbranch_execz .LBB59_198
; %bb.195:                              ;   in Loop: Header=BB59_2 Depth=1
	s_mov_b64 s[16:17], 0
	v_mov_b32_e32 v50, v43
	v_mov_b32_e32 v51, v44
.LBB59_196:                             ;   Parent Loop BB59_2 Depth=1
                                        ; =>  This Inner Loop Header: Depth=2
	v_sub_u32_e32 v52, v51, v50
	v_lshrrev_b32_e32 v52, 1, v52
	v_add_u32_e32 v52, v52, v50
	v_xad_u32 v53, v52, -1, v45
	ds_read_i8 v54, v52
	ds_read_i8 v53, v53
	v_add_u32_e32 v55, 1, v52
	s_waitcnt lgkmcnt(0)
	v_cmp_lt_i16_e32 vcc, v53, v54
	v_cndmask_b32_e32 v51, v51, v52, vcc
	v_cndmask_b32_e32 v50, v55, v50, vcc
	v_cmp_ge_i32_e32 vcc, v50, v51
	s_or_b64 s[16:17], vcc, s[16:17]
	s_andn2_b64 exec, exec, s[16:17]
	s_cbranch_execnz .LBB59_196
; %bb.197:                              ;   in Loop: Header=BB59_2 Depth=1
	s_or_b64 exec, exec, s[16:17]
.LBB59_198:                             ;   in Loop: Header=BB59_2 Depth=1
	s_or_b64 exec, exec, s[14:15]
	v_sub_u32_e32 v51, v45, v50
	ds_read_u8 v52, v50
	ds_read_u8 v53, v51
	v_cmp_le_i32_e64 s[14:15], v42, v50
	v_cmp_gt_i32_e32 vcc, s87, v51
                                        ; implicit-def: $vgpr54
	s_waitcnt lgkmcnt(1)
	v_bfe_i32 v52, v52, 0, 8
	s_waitcnt lgkmcnt(0)
	v_bfe_i32 v53, v53, 0, 8
	v_cmp_lt_i16_e64 s[16:17], v53, v52
	s_or_b64 s[0:1], s[14:15], s[16:17]
	s_and_b64 vcc, vcc, s[0:1]
	s_xor_b64 s[0:1], vcc, -1
	s_and_saveexec_b64 s[14:15], s[0:1]
	s_xor_b64 s[14:15], exec, s[14:15]
; %bb.199:                              ;   in Loop: Header=BB59_2 Depth=1
	ds_read_u8 v54, v50 offset:1
; %bb.200:                              ;   in Loop: Header=BB59_2 Depth=1
	s_or_saveexec_b64 s[14:15], s[14:15]
	v_mov_b32_e32 v55, v53
	s_xor_b64 exec, exec, s[14:15]
	s_cbranch_execz .LBB59_202
; %bb.201:                              ;   in Loop: Header=BB59_2 Depth=1
	ds_read_u8 v55, v51 offset:1
	s_waitcnt lgkmcnt(1)
	v_mov_b32_e32 v54, v52
.LBB59_202:                             ;   in Loop: Header=BB59_2 Depth=1
	s_or_b64 exec, exec, s[14:15]
	v_add_u32_e32 v57, 1, v50
	v_add_u32_e32 v56, 1, v51
	v_cndmask_b32_e32 v57, v57, v50, vcc
	v_cndmask_b32_e32 v56, v51, v56, vcc
	v_cmp_ge_i32_e64 s[16:17], v57, v42
	s_waitcnt lgkmcnt(0)
	v_cmp_lt_i16_sdwa s[0:1], sext(v55), sext(v54) src0_sel:BYTE_0 src1_sel:BYTE_0
	v_cmp_gt_i32_e64 s[14:15], s87, v56
	s_or_b64 s[0:1], s[16:17], s[0:1]
	s_and_b64 s[14:15], s[14:15], s[0:1]
	s_xor_b64 s[0:1], s[14:15], -1
                                        ; implicit-def: $vgpr58
	s_and_saveexec_b64 s[16:17], s[0:1]
	s_xor_b64 s[16:17], exec, s[16:17]
; %bb.203:                              ;   in Loop: Header=BB59_2 Depth=1
	ds_read_u8 v58, v57 offset:1
; %bb.204:                              ;   in Loop: Header=BB59_2 Depth=1
	s_or_saveexec_b64 s[16:17], s[16:17]
	v_mov_b32_e32 v59, v55
	s_xor_b64 exec, exec, s[16:17]
	s_cbranch_execz .LBB59_206
; %bb.205:                              ;   in Loop: Header=BB59_2 Depth=1
	ds_read_u8 v59, v56 offset:1
	s_waitcnt lgkmcnt(1)
	v_mov_b32_e32 v58, v54
.LBB59_206:                             ;   in Loop: Header=BB59_2 Depth=1
	s_or_b64 exec, exec, s[16:17]
	v_add_u32_e32 v61, 1, v57
	v_add_u32_e32 v60, 1, v56
	v_cndmask_b32_e64 v61, v61, v57, s[14:15]
	v_cndmask_b32_e64 v60, v56, v60, s[14:15]
	v_cmp_ge_i32_e64 s[18:19], v61, v42
	s_waitcnt lgkmcnt(0)
	v_cmp_lt_i16_sdwa s[0:1], sext(v59), sext(v58) src0_sel:BYTE_0 src1_sel:BYTE_0
	v_cmp_gt_i32_e64 s[16:17], s87, v60
	s_or_b64 s[0:1], s[18:19], s[0:1]
	s_and_b64 s[16:17], s[16:17], s[0:1]
	s_xor_b64 s[0:1], s[16:17], -1
                                        ; implicit-def: $vgpr62
	s_and_saveexec_b64 s[18:19], s[0:1]
	s_xor_b64 s[18:19], exec, s[18:19]
; %bb.207:                              ;   in Loop: Header=BB59_2 Depth=1
	ds_read_u8 v62, v61 offset:1
; %bb.208:                              ;   in Loop: Header=BB59_2 Depth=1
	s_or_saveexec_b64 s[18:19], s[18:19]
	v_mov_b32_e32 v63, v59
	s_xor_b64 exec, exec, s[18:19]
	s_cbranch_execz .LBB59_210
; %bb.209:                              ;   in Loop: Header=BB59_2 Depth=1
	ds_read_u8 v63, v60 offset:1
	s_waitcnt lgkmcnt(1)
	v_mov_b32_e32 v62, v58
.LBB59_210:                             ;   in Loop: Header=BB59_2 Depth=1
	s_or_b64 exec, exec, s[18:19]
	v_add_u32_e32 v65, 1, v61
	v_add_u32_e32 v64, 1, v60
	v_cndmask_b32_e64 v65, v65, v61, s[16:17]
	v_cndmask_b32_e64 v64, v60, v64, s[16:17]
	v_cmp_ge_i32_e64 s[20:21], v65, v42
	s_waitcnt lgkmcnt(0)
	v_cmp_lt_i16_sdwa s[0:1], sext(v63), sext(v62) src0_sel:BYTE_0 src1_sel:BYTE_0
	v_cmp_gt_i32_e64 s[18:19], s87, v64
	s_or_b64 s[0:1], s[20:21], s[0:1]
	s_and_b64 s[18:19], s[18:19], s[0:1]
	s_xor_b64 s[0:1], s[18:19], -1
                                        ; implicit-def: $vgpr66
	s_and_saveexec_b64 s[20:21], s[0:1]
	s_xor_b64 s[20:21], exec, s[20:21]
; %bb.211:                              ;   in Loop: Header=BB59_2 Depth=1
	ds_read_u8 v66, v65 offset:1
; %bb.212:                              ;   in Loop: Header=BB59_2 Depth=1
	s_or_saveexec_b64 s[20:21], s[20:21]
	v_mov_b32_e32 v67, v63
	s_xor_b64 exec, exec, s[20:21]
	s_cbranch_execz .LBB59_214
; %bb.213:                              ;   in Loop: Header=BB59_2 Depth=1
	ds_read_u8 v67, v64 offset:1
	s_waitcnt lgkmcnt(1)
	v_mov_b32_e32 v66, v62
.LBB59_214:                             ;   in Loop: Header=BB59_2 Depth=1
	s_or_b64 exec, exec, s[20:21]
	v_add_u32_e32 v69, 1, v65
	v_add_u32_e32 v68, 1, v64
	v_cndmask_b32_e64 v69, v69, v65, s[18:19]
	v_cndmask_b32_e64 v68, v64, v68, s[18:19]
	v_cmp_ge_i32_e64 s[22:23], v69, v42
	s_waitcnt lgkmcnt(0)
	v_cmp_lt_i16_sdwa s[0:1], sext(v67), sext(v66) src0_sel:BYTE_0 src1_sel:BYTE_0
	v_cmp_gt_i32_e64 s[20:21], s87, v68
	s_or_b64 s[0:1], s[22:23], s[0:1]
	s_and_b64 s[20:21], s[20:21], s[0:1]
	s_xor_b64 s[0:1], s[20:21], -1
                                        ; implicit-def: $vgpr70
	s_and_saveexec_b64 s[22:23], s[0:1]
	s_xor_b64 s[22:23], exec, s[22:23]
; %bb.215:                              ;   in Loop: Header=BB59_2 Depth=1
	ds_read_u8 v70, v69 offset:1
; %bb.216:                              ;   in Loop: Header=BB59_2 Depth=1
	s_or_saveexec_b64 s[22:23], s[22:23]
	v_mov_b32_e32 v71, v67
	s_xor_b64 exec, exec, s[22:23]
	s_cbranch_execz .LBB59_218
; %bb.217:                              ;   in Loop: Header=BB59_2 Depth=1
	ds_read_u8 v71, v68 offset:1
	s_waitcnt lgkmcnt(1)
	v_mov_b32_e32 v70, v66
.LBB59_218:                             ;   in Loop: Header=BB59_2 Depth=1
	s_or_b64 exec, exec, s[22:23]
	v_add_u32_e32 v73, 1, v69
	v_add_u32_e32 v72, 1, v68
	v_cndmask_b32_e64 v73, v73, v69, s[20:21]
	v_cndmask_b32_e64 v72, v68, v72, s[20:21]
	v_cmp_ge_i32_e64 s[24:25], v73, v42
	s_waitcnt lgkmcnt(0)
	v_cmp_lt_i16_sdwa s[0:1], sext(v71), sext(v70) src0_sel:BYTE_0 src1_sel:BYTE_0
	v_cmp_gt_i32_e64 s[22:23], s87, v72
	s_or_b64 s[0:1], s[24:25], s[0:1]
	s_and_b64 s[22:23], s[22:23], s[0:1]
	s_xor_b64 s[0:1], s[22:23], -1
                                        ; implicit-def: $vgpr74
	s_and_saveexec_b64 s[24:25], s[0:1]
	s_xor_b64 s[24:25], exec, s[24:25]
; %bb.219:                              ;   in Loop: Header=BB59_2 Depth=1
	ds_read_u8 v74, v73 offset:1
; %bb.220:                              ;   in Loop: Header=BB59_2 Depth=1
	s_or_saveexec_b64 s[24:25], s[24:25]
	v_mov_b32_e32 v75, v71
	s_xor_b64 exec, exec, s[24:25]
	s_cbranch_execz .LBB59_222
; %bb.221:                              ;   in Loop: Header=BB59_2 Depth=1
	ds_read_u8 v75, v72 offset:1
	s_waitcnt lgkmcnt(1)
	v_mov_b32_e32 v74, v70
.LBB59_222:                             ;   in Loop: Header=BB59_2 Depth=1
	s_or_b64 exec, exec, s[24:25]
	v_add_u32_e32 v77, 1, v73
	v_add_u32_e32 v76, 1, v72
	v_cndmask_b32_e64 v80, v77, v73, s[22:23]
	v_cndmask_b32_e64 v76, v72, v76, s[22:23]
	v_cmp_ge_i32_e64 s[26:27], v80, v42
	s_waitcnt lgkmcnt(0)
	v_cmp_lt_i16_sdwa s[0:1], sext(v75), sext(v74) src0_sel:BYTE_0 src1_sel:BYTE_0
	v_cmp_gt_i32_e64 s[24:25], s87, v76
	s_or_b64 s[0:1], s[26:27], s[0:1]
	s_and_b64 s[24:25], s[24:25], s[0:1]
	s_xor_b64 s[0:1], s[24:25], -1
                                        ; implicit-def: $vgpr79
                                        ; implicit-def: $vgpr78
	s_and_saveexec_b64 s[26:27], s[0:1]
	s_xor_b64 s[26:27], exec, s[26:27]
; %bb.223:                              ;   in Loop: Header=BB59_2 Depth=1
	ds_read_u8 v79, v80 offset:1
	v_add_u32_e32 v78, 1, v80
; %bb.224:                              ;   in Loop: Header=BB59_2 Depth=1
	s_or_saveexec_b64 s[26:27], s[26:27]
	v_mov_b32_e32 v77, v80
	v_mov_b32_e32 v81, v75
	s_xor_b64 exec, exec, s[26:27]
	s_cbranch_execz .LBB59_1
; %bb.225:                              ;   in Loop: Header=BB59_2 Depth=1
	ds_read_u8 v81, v76 offset:1
	s_waitcnt lgkmcnt(1)
	v_add_u32_e32 v79, 1, v76
	v_mov_b32_e32 v77, v76
	v_mov_b32_e32 v78, v80
	;; [unrolled: 1-line block ×4, first 2 shown]
	s_branch .LBB59_1
.LBB59_226:
	v_readlane_b32 s0, v82, 1
	v_readlane_b32 s2, v82, 3
	;; [unrolled: 1-line block ×5, first 2 shown]
	s_add_u32 s0, s2, s0
	s_addc_u32 s1, s3, 0
	v_mov_b32_e32 v1, s1
	v_add_co_u32_e32 v0, vcc, s0, v0
	v_add_u16_e32 v2, v52, v46
	v_addc_co_u32_e32 v1, vcc, 0, v1, vcc
	v_add_u16_e32 v3, v53, v49
	v_add_u16_e32 v4, v54, v51
	;; [unrolled: 1-line block ×7, first 2 shown]
	global_store_byte v[0:1], v2, off
	global_store_byte v[0:1], v3, off offset:128
	global_store_byte v[0:1], v4, off offset:256
	;; [unrolled: 1-line block ×7, first 2 shown]
	s_endpgm
	.section	.rodata,"a",@progbits
	.p2align	6, 0x0
	.amdhsa_kernel _Z17sort_pairs_kernelIaLj128ELj8EN10test_utils4lessELj10EEvPKT_PS2_T2_
		.amdhsa_group_segment_fixed_size 1025
		.amdhsa_private_segment_fixed_size 0
		.amdhsa_kernarg_size 20
		.amdhsa_user_sgpr_count 6
		.amdhsa_user_sgpr_private_segment_buffer 1
		.amdhsa_user_sgpr_dispatch_ptr 0
		.amdhsa_user_sgpr_queue_ptr 0
		.amdhsa_user_sgpr_kernarg_segment_ptr 1
		.amdhsa_user_sgpr_dispatch_id 0
		.amdhsa_user_sgpr_flat_scratch_init 0
		.amdhsa_user_sgpr_private_segment_size 0
		.amdhsa_uses_dynamic_stack 0
		.amdhsa_system_sgpr_private_segment_wavefront_offset 0
		.amdhsa_system_sgpr_workgroup_id_x 1
		.amdhsa_system_sgpr_workgroup_id_y 0
		.amdhsa_system_sgpr_workgroup_id_z 0
		.amdhsa_system_sgpr_workgroup_info 0
		.amdhsa_system_vgpr_workitem_id 0
		.amdhsa_next_free_vgpr 83
		.amdhsa_next_free_sgpr 96
		.amdhsa_reserve_vcc 1
		.amdhsa_reserve_flat_scratch 0
		.amdhsa_float_round_mode_32 0
		.amdhsa_float_round_mode_16_64 0
		.amdhsa_float_denorm_mode_32 3
		.amdhsa_float_denorm_mode_16_64 3
		.amdhsa_dx10_clamp 1
		.amdhsa_ieee_mode 1
		.amdhsa_fp16_overflow 0
		.amdhsa_exception_fp_ieee_invalid_op 0
		.amdhsa_exception_fp_denorm_src 0
		.amdhsa_exception_fp_ieee_div_zero 0
		.amdhsa_exception_fp_ieee_overflow 0
		.amdhsa_exception_fp_ieee_underflow 0
		.amdhsa_exception_fp_ieee_inexact 0
		.amdhsa_exception_int_div_zero 0
	.end_amdhsa_kernel
	.section	.text._Z17sort_pairs_kernelIaLj128ELj8EN10test_utils4lessELj10EEvPKT_PS2_T2_,"axG",@progbits,_Z17sort_pairs_kernelIaLj128ELj8EN10test_utils4lessELj10EEvPKT_PS2_T2_,comdat
.Lfunc_end59:
	.size	_Z17sort_pairs_kernelIaLj128ELj8EN10test_utils4lessELj10EEvPKT_PS2_T2_, .Lfunc_end59-_Z17sort_pairs_kernelIaLj128ELj8EN10test_utils4lessELj10EEvPKT_PS2_T2_
                                        ; -- End function
	.set _Z17sort_pairs_kernelIaLj128ELj8EN10test_utils4lessELj10EEvPKT_PS2_T2_.num_vgpr, 83
	.set _Z17sort_pairs_kernelIaLj128ELj8EN10test_utils4lessELj10EEvPKT_PS2_T2_.num_agpr, 0
	.set _Z17sort_pairs_kernelIaLj128ELj8EN10test_utils4lessELj10EEvPKT_PS2_T2_.numbered_sgpr, 96
	.set _Z17sort_pairs_kernelIaLj128ELj8EN10test_utils4lessELj10EEvPKT_PS2_T2_.num_named_barrier, 0
	.set _Z17sort_pairs_kernelIaLj128ELj8EN10test_utils4lessELj10EEvPKT_PS2_T2_.private_seg_size, 0
	.set _Z17sort_pairs_kernelIaLj128ELj8EN10test_utils4lessELj10EEvPKT_PS2_T2_.uses_vcc, 1
	.set _Z17sort_pairs_kernelIaLj128ELj8EN10test_utils4lessELj10EEvPKT_PS2_T2_.uses_flat_scratch, 0
	.set _Z17sort_pairs_kernelIaLj128ELj8EN10test_utils4lessELj10EEvPKT_PS2_T2_.has_dyn_sized_stack, 0
	.set _Z17sort_pairs_kernelIaLj128ELj8EN10test_utils4lessELj10EEvPKT_PS2_T2_.has_recursion, 0
	.set _Z17sort_pairs_kernelIaLj128ELj8EN10test_utils4lessELj10EEvPKT_PS2_T2_.has_indirect_call, 0
	.section	.AMDGPU.csdata,"",@progbits
; Kernel info:
; codeLenInByte = 11920
; TotalNumSgprs: 100
; NumVgprs: 83
; ScratchSize: 0
; MemoryBound: 0
; FloatMode: 240
; IeeeMode: 1
; LDSByteSize: 1025 bytes/workgroup (compile time only)
; SGPRBlocks: 12
; VGPRBlocks: 20
; NumSGPRsForWavesPerEU: 100
; NumVGPRsForWavesPerEU: 83
; Occupancy: 3
; WaveLimiterHint : 1
; COMPUTE_PGM_RSRC2:SCRATCH_EN: 0
; COMPUTE_PGM_RSRC2:USER_SGPR: 6
; COMPUTE_PGM_RSRC2:TRAP_HANDLER: 0
; COMPUTE_PGM_RSRC2:TGID_X_EN: 1
; COMPUTE_PGM_RSRC2:TGID_Y_EN: 0
; COMPUTE_PGM_RSRC2:TGID_Z_EN: 0
; COMPUTE_PGM_RSRC2:TIDIG_COMP_CNT: 0
	.section	.text._Z16sort_keys_kernelIaLj256ELj1EN10test_utils4lessELj10EEvPKT_PS2_T2_,"axG",@progbits,_Z16sort_keys_kernelIaLj256ELj1EN10test_utils4lessELj10EEvPKT_PS2_T2_,comdat
	.protected	_Z16sort_keys_kernelIaLj256ELj1EN10test_utils4lessELj10EEvPKT_PS2_T2_ ; -- Begin function _Z16sort_keys_kernelIaLj256ELj1EN10test_utils4lessELj10EEvPKT_PS2_T2_
	.globl	_Z16sort_keys_kernelIaLj256ELj1EN10test_utils4lessELj10EEvPKT_PS2_T2_
	.p2align	8
	.type	_Z16sort_keys_kernelIaLj256ELj1EN10test_utils4lessELj10EEvPKT_PS2_T2_,@function
_Z16sort_keys_kernelIaLj256ELj1EN10test_utils4lessELj10EEvPKT_PS2_T2_: ; @_Z16sort_keys_kernelIaLj256ELj1EN10test_utils4lessELj10EEvPKT_PS2_T2_
; %bb.0:
	s_load_dwordx4 s[16:19], s[4:5], 0x0
	s_lshl_b32 s22, s6, 8
	v_and_b32_e32 v1, 0xfc, v0
	v_and_b32_e32 v3, 0xf8, v0
	;; [unrolled: 1-line block ×3, first 2 shown]
	s_waitcnt lgkmcnt(0)
	s_add_u32 s0, s16, s22
	s_addc_u32 s1, s17, 0
	global_load_ubyte v47, v0, s[0:1]
	v_and_b32_e32 v7, 0xe0, v0
	v_and_b32_e32 v9, 0xc0, v0
	;; [unrolled: 1-line block ×3, first 2 shown]
	v_or_b32_e32 v21, 2, v1
	v_add_u32_e32 v2, 4, v1
	v_or_b32_e32 v25, 4, v3
	v_add_u32_e32 v4, 8, v3
	;; [unrolled: 2-line block ×6, first 2 shown]
	v_and_b32_e32 v22, 3, v0
	v_sub_u32_e32 v19, v2, v21
	v_and_b32_e32 v26, 7, v0
	v_sub_u32_e32 v23, v4, v25
	;; [unrolled: 2-line block ×7, first 2 shown]
	v_sub_u32_e32 v24, v26, v23
	v_sub_u32_e32 v28, v30, v27
	;; [unrolled: 1-line block ×5, first 2 shown]
	v_and_b32_e32 v18, 1, v0
	v_or_b32_e32 v15, 1, v14
	v_cmp_ge_i32_e64 s[0:1], v22, v19
	v_cmp_ge_i32_e64 s[2:3], v26, v23
	;; [unrolled: 1-line block ×6, first 2 shown]
	v_add_u32_e32 v13, -1, v18
	v_cmp_lt_i32_e32 vcc, 0, v18
	v_sub_u32_e32 v16, v15, v14
	v_cndmask_b32_e64 v19, 0, v20, s[0:1]
	v_sub_u32_e32 v20, v21, v1
	v_cndmask_b32_e64 v23, 0, v24, s[2:3]
	;; [unrolled: 2-line block ×6, first 2 shown]
	v_sub_u32_e32 v40, v41, v11
	v_mov_b32_e32 v43, 0x80
	v_cndmask_b32_e32 v13, 0, v13, vcc
	v_min_i32_e32 v17, v18, v16
	v_add_u32_e32 v21, v21, v22
	v_min_i32_e32 v22, v22, v20
	v_add_u32_e32 v25, v25, v26
	;; [unrolled: 2-line block ×6, first 2 shown]
	v_min_i32_e32 v42, v42, v40
	v_sub_u32_e64 v44, v0, v43 clamp
	v_min_i32_e32 v45, 0x80, v0
	s_mov_b32 s23, 0
	v_cmp_lt_i32_e32 vcc, v13, v17
	v_add_u32_e32 v18, v15, v18
	v_cmp_lt_i32_e64 s[0:1], v19, v22
	v_cmp_lt_i32_e64 s[2:3], v23, v26
	;; [unrolled: 1-line block ×7, first 2 shown]
	s_movk_i32 s24, 0x100
	v_add_u32_e32 v46, 0x80, v0
	s_branch .LBB60_2
.LBB60_1:                               ;   in Loop: Header=BB60_2 Depth=1
	s_or_b64 exec, exec, s[16:17]
	v_sub_u32_e32 v48, v46, v47
	ds_read_u8 v49, v47
	ds_read_u8 v50, v48
	v_cmp_ge_i32_e64 s[14:15], v47, v43
	v_cmp_gt_i32_e64 s[16:17], s24, v48
	s_add_i32 s23, s23, 1
	s_waitcnt lgkmcnt(0)
	v_cmp_lt_i16_sdwa s[20:21], sext(v50), sext(v49) src0_sel:BYTE_0 src1_sel:BYTE_0
	s_or_b64 s[14:15], s[14:15], s[20:21]
	s_and_b64 s[14:15], s[16:17], s[14:15]
	s_cmp_eq_u32 s23, 10
	v_cndmask_b32_e64 v47, v49, v50, s[14:15]
	s_cbranch_scc1 .LBB60_34
.LBB60_2:                               ; =>This Loop Header: Depth=1
                                        ;     Child Loop BB60_4 Depth 2
                                        ;     Child Loop BB60_8 Depth 2
	;; [unrolled: 1-line block ×8, first 2 shown]
	s_waitcnt vmcnt(0)
	s_barrier
	ds_write_b8 v0, v47
	v_mov_b32_e32 v47, v13
	s_waitcnt lgkmcnt(0)
	s_barrier
	s_and_saveexec_b64 s[16:17], vcc
	s_cbranch_execz .LBB60_6
; %bb.3:                                ;   in Loop: Header=BB60_2 Depth=1
	s_mov_b64 s[20:21], 0
	v_mov_b32_e32 v47, v13
	v_mov_b32_e32 v48, v17
.LBB60_4:                               ;   Parent Loop BB60_2 Depth=1
                                        ; =>  This Inner Loop Header: Depth=2
	v_sub_u32_e32 v49, v48, v47
	v_lshrrev_b32_e32 v49, 1, v49
	v_add_u32_e32 v49, v49, v47
	v_add_u32_e32 v50, v14, v49
	v_xad_u32 v51, v49, -1, v18
	ds_read_i8 v50, v50
	ds_read_i8 v51, v51
	v_add_u32_e32 v52, 1, v49
	s_waitcnt lgkmcnt(0)
	v_cmp_lt_i16_e64 s[14:15], v51, v50
	v_cndmask_b32_e64 v48, v48, v49, s[14:15]
	v_cndmask_b32_e64 v47, v52, v47, s[14:15]
	v_cmp_ge_i32_e64 s[14:15], v47, v48
	s_or_b64 s[20:21], s[14:15], s[20:21]
	s_andn2_b64 exec, exec, s[20:21]
	s_cbranch_execnz .LBB60_4
; %bb.5:                                ;   in Loop: Header=BB60_2 Depth=1
	s_or_b64 exec, exec, s[20:21]
.LBB60_6:                               ;   in Loop: Header=BB60_2 Depth=1
	s_or_b64 exec, exec, s[16:17]
	v_add_u32_e32 v49, v14, v47
	v_sub_u32_e32 v48, v18, v47
	ds_read_u8 v49, v49
	ds_read_u8 v50, v48
	v_cmp_ge_i32_e64 s[14:15], v47, v16
	v_cmp_ge_i32_e64 s[16:17], v15, v48
	s_waitcnt lgkmcnt(0)
	s_barrier
	v_cmp_lt_i16_sdwa s[20:21], sext(v50), sext(v49) src0_sel:BYTE_0 src1_sel:BYTE_0
	s_or_b64 s[14:15], s[14:15], s[20:21]
	s_and_b64 s[14:15], s[16:17], s[14:15]
	v_cndmask_b32_e64 v47, v49, v50, s[14:15]
	ds_write_b8 v0, v47
	v_mov_b32_e32 v47, v19
	s_waitcnt lgkmcnt(0)
	s_barrier
	s_and_saveexec_b64 s[16:17], s[0:1]
	s_cbranch_execz .LBB60_10
; %bb.7:                                ;   in Loop: Header=BB60_2 Depth=1
	s_mov_b64 s[20:21], 0
	v_mov_b32_e32 v47, v19
	v_mov_b32_e32 v48, v22
.LBB60_8:                               ;   Parent Loop BB60_2 Depth=1
                                        ; =>  This Inner Loop Header: Depth=2
	v_sub_u32_e32 v49, v48, v47
	v_lshrrev_b32_e32 v49, 1, v49
	v_add_u32_e32 v49, v49, v47
	v_add_u32_e32 v50, v1, v49
	v_xad_u32 v51, v49, -1, v21
	ds_read_i8 v50, v50
	ds_read_i8 v51, v51
	v_add_u32_e32 v52, 1, v49
	s_waitcnt lgkmcnt(0)
	v_cmp_lt_i16_e64 s[14:15], v51, v50
	v_cndmask_b32_e64 v48, v48, v49, s[14:15]
	v_cndmask_b32_e64 v47, v52, v47, s[14:15]
	v_cmp_ge_i32_e64 s[14:15], v47, v48
	s_or_b64 s[20:21], s[14:15], s[20:21]
	s_andn2_b64 exec, exec, s[20:21]
	s_cbranch_execnz .LBB60_8
; %bb.9:                                ;   in Loop: Header=BB60_2 Depth=1
	s_or_b64 exec, exec, s[20:21]
.LBB60_10:                              ;   in Loop: Header=BB60_2 Depth=1
	s_or_b64 exec, exec, s[16:17]
	v_add_u32_e32 v49, v1, v47
	v_sub_u32_e32 v48, v21, v47
	ds_read_u8 v49, v49
	ds_read_u8 v50, v48
	v_cmp_ge_i32_e64 s[14:15], v47, v20
	v_cmp_gt_i32_e64 s[16:17], v2, v48
	s_waitcnt lgkmcnt(0)
	s_barrier
	v_cmp_lt_i16_sdwa s[20:21], sext(v50), sext(v49) src0_sel:BYTE_0 src1_sel:BYTE_0
	s_or_b64 s[14:15], s[14:15], s[20:21]
	s_and_b64 s[14:15], s[16:17], s[14:15]
	v_cndmask_b32_e64 v47, v49, v50, s[14:15]
	ds_write_b8 v0, v47
	v_mov_b32_e32 v47, v23
	s_waitcnt lgkmcnt(0)
	s_barrier
	s_and_saveexec_b64 s[16:17], s[2:3]
	s_cbranch_execz .LBB60_14
; %bb.11:                               ;   in Loop: Header=BB60_2 Depth=1
	s_mov_b64 s[20:21], 0
	v_mov_b32_e32 v47, v23
	v_mov_b32_e32 v48, v26
.LBB60_12:                              ;   Parent Loop BB60_2 Depth=1
                                        ; =>  This Inner Loop Header: Depth=2
	v_sub_u32_e32 v49, v48, v47
	v_lshrrev_b32_e32 v49, 1, v49
	v_add_u32_e32 v49, v49, v47
	v_add_u32_e32 v50, v3, v49
	v_xad_u32 v51, v49, -1, v25
	ds_read_i8 v50, v50
	ds_read_i8 v51, v51
	v_add_u32_e32 v52, 1, v49
	s_waitcnt lgkmcnt(0)
	v_cmp_lt_i16_e64 s[14:15], v51, v50
	v_cndmask_b32_e64 v48, v48, v49, s[14:15]
	v_cndmask_b32_e64 v47, v52, v47, s[14:15]
	v_cmp_ge_i32_e64 s[14:15], v47, v48
	s_or_b64 s[20:21], s[14:15], s[20:21]
	s_andn2_b64 exec, exec, s[20:21]
	s_cbranch_execnz .LBB60_12
; %bb.13:                               ;   in Loop: Header=BB60_2 Depth=1
	s_or_b64 exec, exec, s[20:21]
.LBB60_14:                              ;   in Loop: Header=BB60_2 Depth=1
	s_or_b64 exec, exec, s[16:17]
	v_add_u32_e32 v49, v3, v47
	v_sub_u32_e32 v48, v25, v47
	ds_read_u8 v49, v49
	ds_read_u8 v50, v48
	v_cmp_ge_i32_e64 s[14:15], v47, v24
	v_cmp_gt_i32_e64 s[16:17], v4, v48
	s_waitcnt lgkmcnt(0)
	s_barrier
	v_cmp_lt_i16_sdwa s[20:21], sext(v50), sext(v49) src0_sel:BYTE_0 src1_sel:BYTE_0
	s_or_b64 s[14:15], s[14:15], s[20:21]
	s_and_b64 s[14:15], s[16:17], s[14:15]
	v_cndmask_b32_e64 v47, v49, v50, s[14:15]
	ds_write_b8 v0, v47
	v_mov_b32_e32 v47, v27
	s_waitcnt lgkmcnt(0)
	s_barrier
	s_and_saveexec_b64 s[16:17], s[4:5]
	s_cbranch_execz .LBB60_18
; %bb.15:                               ;   in Loop: Header=BB60_2 Depth=1
	s_mov_b64 s[20:21], 0
	v_mov_b32_e32 v47, v27
	v_mov_b32_e32 v48, v30
.LBB60_16:                              ;   Parent Loop BB60_2 Depth=1
                                        ; =>  This Inner Loop Header: Depth=2
	v_sub_u32_e32 v49, v48, v47
	v_lshrrev_b32_e32 v49, 1, v49
	v_add_u32_e32 v49, v49, v47
	v_add_u32_e32 v50, v5, v49
	v_xad_u32 v51, v49, -1, v29
	ds_read_i8 v50, v50
	ds_read_i8 v51, v51
	v_add_u32_e32 v52, 1, v49
	s_waitcnt lgkmcnt(0)
	v_cmp_lt_i16_e64 s[14:15], v51, v50
	v_cndmask_b32_e64 v48, v48, v49, s[14:15]
	v_cndmask_b32_e64 v47, v52, v47, s[14:15]
	v_cmp_ge_i32_e64 s[14:15], v47, v48
	s_or_b64 s[20:21], s[14:15], s[20:21]
	s_andn2_b64 exec, exec, s[20:21]
	s_cbranch_execnz .LBB60_16
; %bb.17:                               ;   in Loop: Header=BB60_2 Depth=1
	s_or_b64 exec, exec, s[20:21]
.LBB60_18:                              ;   in Loop: Header=BB60_2 Depth=1
	;; [unrolled: 44-line block ×5, first 2 shown]
	s_or_b64 exec, exec, s[16:17]
	v_add_u32_e32 v49, v11, v47
	v_sub_u32_e32 v48, v41, v47
	ds_read_u8 v49, v49
	ds_read_u8 v50, v48
	v_cmp_ge_i32_e64 s[14:15], v47, v40
	v_cmp_gt_i32_e64 s[16:17], v12, v48
	s_waitcnt lgkmcnt(0)
	s_barrier
	v_cmp_lt_i16_sdwa s[20:21], sext(v50), sext(v49) src0_sel:BYTE_0 src1_sel:BYTE_0
	s_or_b64 s[14:15], s[14:15], s[20:21]
	s_and_b64 s[14:15], s[16:17], s[14:15]
	v_cndmask_b32_e64 v47, v49, v50, s[14:15]
	ds_write_b8 v0, v47
	v_mov_b32_e32 v47, v44
	s_waitcnt lgkmcnt(0)
	s_barrier
	s_and_saveexec_b64 s[16:17], s[12:13]
	s_cbranch_execz .LBB60_1
; %bb.31:                               ;   in Loop: Header=BB60_2 Depth=1
	s_mov_b64 s[20:21], 0
	v_mov_b32_e32 v47, v44
	v_mov_b32_e32 v48, v45
.LBB60_32:                              ;   Parent Loop BB60_2 Depth=1
                                        ; =>  This Inner Loop Header: Depth=2
	v_sub_u32_e32 v49, v48, v47
	v_lshrrev_b32_e32 v49, 1, v49
	v_add_u32_e32 v49, v49, v47
	v_xad_u32 v50, v49, -1, v46
	ds_read_i8 v51, v49
	ds_read_i8 v50, v50
	v_add_u32_e32 v52, 1, v49
	s_waitcnt lgkmcnt(0)
	v_cmp_lt_i16_e64 s[14:15], v50, v51
	v_cndmask_b32_e64 v48, v48, v49, s[14:15]
	v_cndmask_b32_e64 v47, v52, v47, s[14:15]
	v_cmp_ge_i32_e64 s[14:15], v47, v48
	s_or_b64 s[20:21], s[14:15], s[20:21]
	s_andn2_b64 exec, exec, s[20:21]
	s_cbranch_execnz .LBB60_32
; %bb.33:                               ;   in Loop: Header=BB60_2 Depth=1
	s_or_b64 exec, exec, s[20:21]
	s_branch .LBB60_1
.LBB60_34:
	s_add_u32 s0, s18, s22
	s_addc_u32 s1, s19, 0
	v_mov_b32_e32 v1, s1
	v_add_co_u32_e32 v0, vcc, s0, v0
	v_addc_co_u32_e32 v1, vcc, 0, v1, vcc
	global_store_byte v[0:1], v47, off
	s_endpgm
	.section	.rodata,"a",@progbits
	.p2align	6, 0x0
	.amdhsa_kernel _Z16sort_keys_kernelIaLj256ELj1EN10test_utils4lessELj10EEvPKT_PS2_T2_
		.amdhsa_group_segment_fixed_size 257
		.amdhsa_private_segment_fixed_size 0
		.amdhsa_kernarg_size 20
		.amdhsa_user_sgpr_count 6
		.amdhsa_user_sgpr_private_segment_buffer 1
		.amdhsa_user_sgpr_dispatch_ptr 0
		.amdhsa_user_sgpr_queue_ptr 0
		.amdhsa_user_sgpr_kernarg_segment_ptr 1
		.amdhsa_user_sgpr_dispatch_id 0
		.amdhsa_user_sgpr_flat_scratch_init 0
		.amdhsa_user_sgpr_private_segment_size 0
		.amdhsa_uses_dynamic_stack 0
		.amdhsa_system_sgpr_private_segment_wavefront_offset 0
		.amdhsa_system_sgpr_workgroup_id_x 1
		.amdhsa_system_sgpr_workgroup_id_y 0
		.amdhsa_system_sgpr_workgroup_id_z 0
		.amdhsa_system_sgpr_workgroup_info 0
		.amdhsa_system_vgpr_workitem_id 0
		.amdhsa_next_free_vgpr 53
		.amdhsa_next_free_sgpr 25
		.amdhsa_reserve_vcc 1
		.amdhsa_reserve_flat_scratch 0
		.amdhsa_float_round_mode_32 0
		.amdhsa_float_round_mode_16_64 0
		.amdhsa_float_denorm_mode_32 3
		.amdhsa_float_denorm_mode_16_64 3
		.amdhsa_dx10_clamp 1
		.amdhsa_ieee_mode 1
		.amdhsa_fp16_overflow 0
		.amdhsa_exception_fp_ieee_invalid_op 0
		.amdhsa_exception_fp_denorm_src 0
		.amdhsa_exception_fp_ieee_div_zero 0
		.amdhsa_exception_fp_ieee_overflow 0
		.amdhsa_exception_fp_ieee_underflow 0
		.amdhsa_exception_fp_ieee_inexact 0
		.amdhsa_exception_int_div_zero 0
	.end_amdhsa_kernel
	.section	.text._Z16sort_keys_kernelIaLj256ELj1EN10test_utils4lessELj10EEvPKT_PS2_T2_,"axG",@progbits,_Z16sort_keys_kernelIaLj256ELj1EN10test_utils4lessELj10EEvPKT_PS2_T2_,comdat
.Lfunc_end60:
	.size	_Z16sort_keys_kernelIaLj256ELj1EN10test_utils4lessELj10EEvPKT_PS2_T2_, .Lfunc_end60-_Z16sort_keys_kernelIaLj256ELj1EN10test_utils4lessELj10EEvPKT_PS2_T2_
                                        ; -- End function
	.set _Z16sort_keys_kernelIaLj256ELj1EN10test_utils4lessELj10EEvPKT_PS2_T2_.num_vgpr, 53
	.set _Z16sort_keys_kernelIaLj256ELj1EN10test_utils4lessELj10EEvPKT_PS2_T2_.num_agpr, 0
	.set _Z16sort_keys_kernelIaLj256ELj1EN10test_utils4lessELj10EEvPKT_PS2_T2_.numbered_sgpr, 25
	.set _Z16sort_keys_kernelIaLj256ELj1EN10test_utils4lessELj10EEvPKT_PS2_T2_.num_named_barrier, 0
	.set _Z16sort_keys_kernelIaLj256ELj1EN10test_utils4lessELj10EEvPKT_PS2_T2_.private_seg_size, 0
	.set _Z16sort_keys_kernelIaLj256ELj1EN10test_utils4lessELj10EEvPKT_PS2_T2_.uses_vcc, 1
	.set _Z16sort_keys_kernelIaLj256ELj1EN10test_utils4lessELj10EEvPKT_PS2_T2_.uses_flat_scratch, 0
	.set _Z16sort_keys_kernelIaLj256ELj1EN10test_utils4lessELj10EEvPKT_PS2_T2_.has_dyn_sized_stack, 0
	.set _Z16sort_keys_kernelIaLj256ELj1EN10test_utils4lessELj10EEvPKT_PS2_T2_.has_recursion, 0
	.set _Z16sort_keys_kernelIaLj256ELj1EN10test_utils4lessELj10EEvPKT_PS2_T2_.has_indirect_call, 0
	.section	.AMDGPU.csdata,"",@progbits
; Kernel info:
; codeLenInByte = 2260
; TotalNumSgprs: 29
; NumVgprs: 53
; ScratchSize: 0
; MemoryBound: 0
; FloatMode: 240
; IeeeMode: 1
; LDSByteSize: 257 bytes/workgroup (compile time only)
; SGPRBlocks: 3
; VGPRBlocks: 13
; NumSGPRsForWavesPerEU: 29
; NumVGPRsForWavesPerEU: 53
; Occupancy: 4
; WaveLimiterHint : 0
; COMPUTE_PGM_RSRC2:SCRATCH_EN: 0
; COMPUTE_PGM_RSRC2:USER_SGPR: 6
; COMPUTE_PGM_RSRC2:TRAP_HANDLER: 0
; COMPUTE_PGM_RSRC2:TGID_X_EN: 1
; COMPUTE_PGM_RSRC2:TGID_Y_EN: 0
; COMPUTE_PGM_RSRC2:TGID_Z_EN: 0
; COMPUTE_PGM_RSRC2:TIDIG_COMP_CNT: 0
	.section	.text._Z17sort_pairs_kernelIaLj256ELj1EN10test_utils4lessELj10EEvPKT_PS2_T2_,"axG",@progbits,_Z17sort_pairs_kernelIaLj256ELj1EN10test_utils4lessELj10EEvPKT_PS2_T2_,comdat
	.protected	_Z17sort_pairs_kernelIaLj256ELj1EN10test_utils4lessELj10EEvPKT_PS2_T2_ ; -- Begin function _Z17sort_pairs_kernelIaLj256ELj1EN10test_utils4lessELj10EEvPKT_PS2_T2_
	.globl	_Z17sort_pairs_kernelIaLj256ELj1EN10test_utils4lessELj10EEvPKT_PS2_T2_
	.p2align	8
	.type	_Z17sort_pairs_kernelIaLj256ELj1EN10test_utils4lessELj10EEvPKT_PS2_T2_,@function
_Z17sort_pairs_kernelIaLj256ELj1EN10test_utils4lessELj10EEvPKT_PS2_T2_: ; @_Z17sort_pairs_kernelIaLj256ELj1EN10test_utils4lessELj10EEvPKT_PS2_T2_
; %bb.0:
	s_load_dwordx4 s[16:19], s[4:5], 0x0
	s_lshl_b32 s22, s6, 8
	v_and_b32_e32 v1, 0xfc, v0
	v_and_b32_e32 v4, 0xf8, v0
	;; [unrolled: 1-line block ×3, first 2 shown]
	s_waitcnt lgkmcnt(0)
	s_add_u32 s0, s16, s22
	s_addc_u32 s1, s17, 0
	global_load_ubyte v46, v0, s[0:1]
	v_and_b32_e32 v10, 0xe0, v0
	v_and_b32_e32 v13, 0xc0, v0
	;; [unrolled: 1-line block ×3, first 2 shown]
	v_or_b32_e32 v2, 2, v1
	v_add_u32_e32 v3, 4, v1
	v_or_b32_e32 v5, 4, v4
	v_add_u32_e32 v6, 8, v4
	;; [unrolled: 2-line block ×6, first 2 shown]
	v_and_b32_e32 v26, 3, v0
	v_sub_u32_e32 v24, v3, v2
	v_and_b32_e32 v29, 7, v0
	v_sub_u32_e32 v27, v6, v5
	;; [unrolled: 2-line block ×7, first 2 shown]
	v_sub_u32_e32 v28, v29, v27
	v_sub_u32_e32 v31, v32, v30
	v_sub_u32_e32 v34, v35, v33
	v_sub_u32_e32 v37, v38, v36
	v_sub_u32_e32 v40, v41, v39
	v_and_b32_e32 v23, 1, v0
	v_or_b32_e32 v21, 1, v20
	v_cmp_ge_i32_e64 s[0:1], v26, v24
	v_cmp_ge_i32_e64 s[2:3], v29, v27
	;; [unrolled: 1-line block ×6, first 2 shown]
	v_add_u32_e32 v19, -1, v23
	v_cmp_lt_i32_e32 vcc, 0, v23
	v_sub_u32_e32 v22, v21, v20
	v_cndmask_b32_e64 v24, 0, v25, s[0:1]
	v_sub_u32_e32 v25, v2, v1
	v_cndmask_b32_e64 v27, 0, v28, s[2:3]
	;; [unrolled: 2-line block ×6, first 2 shown]
	v_sub_u32_e32 v40, v17, v16
	v_mov_b32_e32 v42, 0x80
	v_cndmask_b32_e32 v19, 0, v19, vcc
	v_min_i32_e32 v22, v23, v22
	v_min_i32_e32 v25, v26, v25
	;; [unrolled: 1-line block ×7, first 2 shown]
	v_sub_u32_e64 v43, v0, v42 clamp
	v_min_i32_e32 v44, 0x80, v0
	s_mov_b32 s23, 0
	v_cmp_lt_i32_e32 vcc, v19, v22
	v_add_u32_e32 v23, v21, v23
	v_cmp_lt_i32_e64 s[0:1], v24, v25
	v_add_u32_e32 v26, v2, v26
	v_cmp_lt_i32_e64 s[2:3], v27, v28
	;; [unrolled: 2-line block ×7, first 2 shown]
	s_movk_i32 s24, 0x100
	s_waitcnt vmcnt(0)
	v_add_u16_e32 v47, 1, v46
	v_add_u32_e32 v45, 0x80, v0
	s_branch .LBB61_2
.LBB61_1:                               ;   in Loop: Header=BB61_2 Depth=1
	s_or_b64 exec, exec, s[16:17]
	v_sub_u32_e32 v49, v45, v48
	ds_read_u8 v46, v48
	ds_read_u8 v50, v49
	v_cmp_le_i32_e64 s[14:15], v42, v48
	v_cmp_gt_i32_e64 s[16:17], s24, v49
	s_waitcnt lgkmcnt(0)
	s_barrier
	v_cmp_lt_i16_sdwa s[20:21], sext(v50), sext(v46) src0_sel:BYTE_0 src1_sel:BYTE_0
	s_or_b64 s[14:15], s[14:15], s[20:21]
	s_and_b64 s[14:15], s[16:17], s[14:15]
	v_cndmask_b32_e64 v48, v48, v49, s[14:15]
	ds_write_b8 v0, v47
	s_waitcnt lgkmcnt(0)
	s_barrier
	ds_read_u8 v47, v48
	s_add_i32 s23, s23, 1
	v_cndmask_b32_e64 v46, v46, v50, s[14:15]
	s_cmp_eq_u32 s23, 10
	s_cbranch_scc1 .LBB61_34
.LBB61_2:                               ; =>This Loop Header: Depth=1
                                        ;     Child Loop BB61_4 Depth 2
                                        ;     Child Loop BB61_8 Depth 2
	;; [unrolled: 1-line block ×8, first 2 shown]
	s_waitcnt lgkmcnt(0)
	s_barrier
	ds_write_b8 v0, v46
	v_mov_b32_e32 v46, v19
	s_waitcnt lgkmcnt(0)
	s_barrier
	s_and_saveexec_b64 s[16:17], vcc
	s_cbranch_execz .LBB61_6
; %bb.3:                                ;   in Loop: Header=BB61_2 Depth=1
	s_mov_b64 s[20:21], 0
	v_mov_b32_e32 v46, v19
	v_mov_b32_e32 v48, v22
.LBB61_4:                               ;   Parent Loop BB61_2 Depth=1
                                        ; =>  This Inner Loop Header: Depth=2
	v_sub_u32_e32 v49, v48, v46
	v_lshrrev_b32_e32 v49, 1, v49
	v_add_u32_e32 v49, v49, v46
	v_add_u32_e32 v50, v20, v49
	v_xad_u32 v51, v49, -1, v23
	ds_read_i8 v50, v50
	ds_read_i8 v51, v51
	v_add_u32_e32 v52, 1, v49
	s_waitcnt lgkmcnt(0)
	v_cmp_lt_i16_e64 s[14:15], v51, v50
	v_cndmask_b32_e64 v48, v48, v49, s[14:15]
	v_cndmask_b32_e64 v46, v52, v46, s[14:15]
	v_cmp_ge_i32_e64 s[14:15], v46, v48
	s_or_b64 s[20:21], s[14:15], s[20:21]
	s_andn2_b64 exec, exec, s[20:21]
	s_cbranch_execnz .LBB61_4
; %bb.5:                                ;   in Loop: Header=BB61_2 Depth=1
	s_or_b64 exec, exec, s[20:21]
.LBB61_6:                               ;   in Loop: Header=BB61_2 Depth=1
	s_or_b64 exec, exec, s[16:17]
	v_add_u32_e32 v48, v46, v20
	v_sub_u32_e32 v46, v23, v46
	ds_read_u8 v49, v48
	ds_read_u8 v50, v46
	v_cmp_le_i32_e64 s[16:17], v21, v48
	v_cmp_ge_i32_e64 s[14:15], v21, v46
	s_waitcnt lgkmcnt(0)
	s_barrier
	v_cmp_lt_i16_sdwa s[20:21], sext(v50), sext(v49) src0_sel:BYTE_0 src1_sel:BYTE_0
	s_or_b64 s[16:17], s[16:17], s[20:21]
	s_and_b64 s[14:15], s[14:15], s[16:17]
	v_cndmask_b32_e64 v46, v48, v46, s[14:15]
	ds_write_b8 v0, v47
	s_waitcnt lgkmcnt(0)
	s_barrier
	ds_read_u8 v46, v46
	v_cndmask_b32_e64 v49, v49, v50, s[14:15]
	v_mov_b32_e32 v47, v24
	s_waitcnt lgkmcnt(0)
	s_barrier
	ds_write_b8 v0, v49
	s_waitcnt lgkmcnt(0)
	s_barrier
	s_and_saveexec_b64 s[16:17], s[0:1]
	s_cbranch_execz .LBB61_10
; %bb.7:                                ;   in Loop: Header=BB61_2 Depth=1
	s_mov_b64 s[20:21], 0
	v_mov_b32_e32 v47, v24
	v_mov_b32_e32 v48, v25
.LBB61_8:                               ;   Parent Loop BB61_2 Depth=1
                                        ; =>  This Inner Loop Header: Depth=2
	v_sub_u32_e32 v49, v48, v47
	v_lshrrev_b32_e32 v49, 1, v49
	v_add_u32_e32 v49, v49, v47
	v_add_u32_e32 v50, v1, v49
	v_xad_u32 v51, v49, -1, v26
	ds_read_i8 v50, v50
	ds_read_i8 v51, v51
	v_add_u32_e32 v52, 1, v49
	s_waitcnt lgkmcnt(0)
	v_cmp_lt_i16_e64 s[14:15], v51, v50
	v_cndmask_b32_e64 v48, v48, v49, s[14:15]
	v_cndmask_b32_e64 v47, v52, v47, s[14:15]
	v_cmp_ge_i32_e64 s[14:15], v47, v48
	s_or_b64 s[20:21], s[14:15], s[20:21]
	s_andn2_b64 exec, exec, s[20:21]
	s_cbranch_execnz .LBB61_8
; %bb.9:                                ;   in Loop: Header=BB61_2 Depth=1
	s_or_b64 exec, exec, s[20:21]
.LBB61_10:                              ;   in Loop: Header=BB61_2 Depth=1
	s_or_b64 exec, exec, s[16:17]
	v_add_u32_e32 v48, v47, v1
	v_sub_u32_e32 v47, v26, v47
	ds_read_u8 v49, v48
	ds_read_u8 v50, v47
	v_cmp_le_i32_e64 s[16:17], v2, v48
	v_cmp_gt_i32_e64 s[14:15], v3, v47
	s_waitcnt lgkmcnt(0)
	s_barrier
	v_cmp_lt_i16_sdwa s[20:21], sext(v50), sext(v49) src0_sel:BYTE_0 src1_sel:BYTE_0
	s_or_b64 s[16:17], s[16:17], s[20:21]
	s_and_b64 s[14:15], s[14:15], s[16:17]
	v_cndmask_b32_e64 v47, v48, v47, s[14:15]
	ds_write_b8 v0, v46
	s_waitcnt lgkmcnt(0)
	s_barrier
	ds_read_u8 v46, v47
	v_cndmask_b32_e64 v49, v49, v50, s[14:15]
	v_mov_b32_e32 v47, v27
	s_waitcnt lgkmcnt(0)
	s_barrier
	ds_write_b8 v0, v49
	s_waitcnt lgkmcnt(0)
	s_barrier
	s_and_saveexec_b64 s[16:17], s[2:3]
	s_cbranch_execz .LBB61_14
; %bb.11:                               ;   in Loop: Header=BB61_2 Depth=1
	s_mov_b64 s[20:21], 0
	v_mov_b32_e32 v47, v27
	v_mov_b32_e32 v48, v28
.LBB61_12:                              ;   Parent Loop BB61_2 Depth=1
                                        ; =>  This Inner Loop Header: Depth=2
	v_sub_u32_e32 v49, v48, v47
	v_lshrrev_b32_e32 v49, 1, v49
	v_add_u32_e32 v49, v49, v47
	v_add_u32_e32 v50, v4, v49
	v_xad_u32 v51, v49, -1, v29
	ds_read_i8 v50, v50
	ds_read_i8 v51, v51
	v_add_u32_e32 v52, 1, v49
	s_waitcnt lgkmcnt(0)
	v_cmp_lt_i16_e64 s[14:15], v51, v50
	v_cndmask_b32_e64 v48, v48, v49, s[14:15]
	v_cndmask_b32_e64 v47, v52, v47, s[14:15]
	v_cmp_ge_i32_e64 s[14:15], v47, v48
	s_or_b64 s[20:21], s[14:15], s[20:21]
	s_andn2_b64 exec, exec, s[20:21]
	s_cbranch_execnz .LBB61_12
; %bb.13:                               ;   in Loop: Header=BB61_2 Depth=1
	s_or_b64 exec, exec, s[20:21]
.LBB61_14:                              ;   in Loop: Header=BB61_2 Depth=1
	s_or_b64 exec, exec, s[16:17]
	v_add_u32_e32 v48, v47, v4
	v_sub_u32_e32 v47, v29, v47
	ds_read_u8 v49, v48
	ds_read_u8 v50, v47
	v_cmp_le_i32_e64 s[16:17], v5, v48
	v_cmp_gt_i32_e64 s[14:15], v6, v47
	s_waitcnt lgkmcnt(0)
	s_barrier
	v_cmp_lt_i16_sdwa s[20:21], sext(v50), sext(v49) src0_sel:BYTE_0 src1_sel:BYTE_0
	s_or_b64 s[16:17], s[16:17], s[20:21]
	s_and_b64 s[14:15], s[14:15], s[16:17]
	v_cndmask_b32_e64 v47, v48, v47, s[14:15]
	ds_write_b8 v0, v46
	s_waitcnt lgkmcnt(0)
	s_barrier
	ds_read_u8 v46, v47
	v_cndmask_b32_e64 v49, v49, v50, s[14:15]
	v_mov_b32_e32 v47, v30
	s_waitcnt lgkmcnt(0)
	s_barrier
	ds_write_b8 v0, v49
	s_waitcnt lgkmcnt(0)
	s_barrier
	s_and_saveexec_b64 s[16:17], s[4:5]
	s_cbranch_execz .LBB61_18
; %bb.15:                               ;   in Loop: Header=BB61_2 Depth=1
	s_mov_b64 s[20:21], 0
	v_mov_b32_e32 v47, v30
	v_mov_b32_e32 v48, v31
.LBB61_16:                              ;   Parent Loop BB61_2 Depth=1
                                        ; =>  This Inner Loop Header: Depth=2
	v_sub_u32_e32 v49, v48, v47
	v_lshrrev_b32_e32 v49, 1, v49
	v_add_u32_e32 v49, v49, v47
	v_add_u32_e32 v50, v7, v49
	v_xad_u32 v51, v49, -1, v32
	ds_read_i8 v50, v50
	ds_read_i8 v51, v51
	v_add_u32_e32 v52, 1, v49
	s_waitcnt lgkmcnt(0)
	v_cmp_lt_i16_e64 s[14:15], v51, v50
	v_cndmask_b32_e64 v48, v48, v49, s[14:15]
	v_cndmask_b32_e64 v47, v52, v47, s[14:15]
	v_cmp_ge_i32_e64 s[14:15], v47, v48
	s_or_b64 s[20:21], s[14:15], s[20:21]
	s_andn2_b64 exec, exec, s[20:21]
	s_cbranch_execnz .LBB61_16
; %bb.17:                               ;   in Loop: Header=BB61_2 Depth=1
	s_or_b64 exec, exec, s[20:21]
.LBB61_18:                              ;   in Loop: Header=BB61_2 Depth=1
	;; [unrolled: 51-line block ×5, first 2 shown]
	s_or_b64 exec, exec, s[16:17]
	v_add_u32_e32 v48, v47, v16
	v_sub_u32_e32 v47, v41, v47
	ds_read_u8 v49, v48
	ds_read_u8 v50, v47
	v_cmp_le_i32_e64 s[16:17], v17, v48
	v_cmp_gt_i32_e64 s[14:15], v18, v47
	s_waitcnt lgkmcnt(0)
	s_barrier
	v_cmp_lt_i16_sdwa s[20:21], sext(v50), sext(v49) src0_sel:BYTE_0 src1_sel:BYTE_0
	s_or_b64 s[16:17], s[16:17], s[20:21]
	s_and_b64 s[14:15], s[14:15], s[16:17]
	v_cndmask_b32_e64 v47, v48, v47, s[14:15]
	ds_write_b8 v0, v46
	s_waitcnt lgkmcnt(0)
	s_barrier
	ds_read_u8 v47, v47
	v_cndmask_b32_e64 v49, v49, v50, s[14:15]
	v_mov_b32_e32 v48, v43
	s_waitcnt lgkmcnt(0)
	s_barrier
	ds_write_b8 v0, v49
	s_waitcnt lgkmcnt(0)
	s_barrier
	s_and_saveexec_b64 s[16:17], s[12:13]
	s_cbranch_execz .LBB61_1
; %bb.31:                               ;   in Loop: Header=BB61_2 Depth=1
	s_mov_b64 s[20:21], 0
	v_mov_b32_e32 v48, v43
	v_mov_b32_e32 v46, v44
.LBB61_32:                              ;   Parent Loop BB61_2 Depth=1
                                        ; =>  This Inner Loop Header: Depth=2
	v_sub_u32_e32 v49, v46, v48
	v_lshrrev_b32_e32 v49, 1, v49
	v_add_u32_e32 v49, v49, v48
	v_xad_u32 v50, v49, -1, v45
	ds_read_i8 v51, v49
	ds_read_i8 v50, v50
	v_add_u32_e32 v52, 1, v49
	s_waitcnt lgkmcnt(0)
	v_cmp_lt_i16_e64 s[14:15], v50, v51
	v_cndmask_b32_e64 v46, v46, v49, s[14:15]
	v_cndmask_b32_e64 v48, v52, v48, s[14:15]
	v_cmp_ge_i32_e64 s[14:15], v48, v46
	s_or_b64 s[20:21], s[14:15], s[20:21]
	s_andn2_b64 exec, exec, s[20:21]
	s_cbranch_execnz .LBB61_32
; %bb.33:                               ;   in Loop: Header=BB61_2 Depth=1
	s_or_b64 exec, exec, s[20:21]
	s_branch .LBB61_1
.LBB61_34:
	s_add_u32 s0, s18, s22
	s_addc_u32 s1, s19, 0
	v_mov_b32_e32 v1, s1
	v_add_co_u32_e32 v0, vcc, s0, v0
	s_waitcnt lgkmcnt(0)
	v_add_u16_e32 v2, v46, v47
	v_addc_co_u32_e32 v1, vcc, 0, v1, vcc
	global_store_byte v[0:1], v2, off
	s_endpgm
	.section	.rodata,"a",@progbits
	.p2align	6, 0x0
	.amdhsa_kernel _Z17sort_pairs_kernelIaLj256ELj1EN10test_utils4lessELj10EEvPKT_PS2_T2_
		.amdhsa_group_segment_fixed_size 257
		.amdhsa_private_segment_fixed_size 0
		.amdhsa_kernarg_size 20
		.amdhsa_user_sgpr_count 6
		.amdhsa_user_sgpr_private_segment_buffer 1
		.amdhsa_user_sgpr_dispatch_ptr 0
		.amdhsa_user_sgpr_queue_ptr 0
		.amdhsa_user_sgpr_kernarg_segment_ptr 1
		.amdhsa_user_sgpr_dispatch_id 0
		.amdhsa_user_sgpr_flat_scratch_init 0
		.amdhsa_user_sgpr_private_segment_size 0
		.amdhsa_uses_dynamic_stack 0
		.amdhsa_system_sgpr_private_segment_wavefront_offset 0
		.amdhsa_system_sgpr_workgroup_id_x 1
		.amdhsa_system_sgpr_workgroup_id_y 0
		.amdhsa_system_sgpr_workgroup_id_z 0
		.amdhsa_system_sgpr_workgroup_info 0
		.amdhsa_system_vgpr_workitem_id 0
		.amdhsa_next_free_vgpr 53
		.amdhsa_next_free_sgpr 25
		.amdhsa_reserve_vcc 1
		.amdhsa_reserve_flat_scratch 0
		.amdhsa_float_round_mode_32 0
		.amdhsa_float_round_mode_16_64 0
		.amdhsa_float_denorm_mode_32 3
		.amdhsa_float_denorm_mode_16_64 3
		.amdhsa_dx10_clamp 1
		.amdhsa_ieee_mode 1
		.amdhsa_fp16_overflow 0
		.amdhsa_exception_fp_ieee_invalid_op 0
		.amdhsa_exception_fp_denorm_src 0
		.amdhsa_exception_fp_ieee_div_zero 0
		.amdhsa_exception_fp_ieee_overflow 0
		.amdhsa_exception_fp_ieee_underflow 0
		.amdhsa_exception_fp_ieee_inexact 0
		.amdhsa_exception_int_div_zero 0
	.end_amdhsa_kernel
	.section	.text._Z17sort_pairs_kernelIaLj256ELj1EN10test_utils4lessELj10EEvPKT_PS2_T2_,"axG",@progbits,_Z17sort_pairs_kernelIaLj256ELj1EN10test_utils4lessELj10EEvPKT_PS2_T2_,comdat
.Lfunc_end61:
	.size	_Z17sort_pairs_kernelIaLj256ELj1EN10test_utils4lessELj10EEvPKT_PS2_T2_, .Lfunc_end61-_Z17sort_pairs_kernelIaLj256ELj1EN10test_utils4lessELj10EEvPKT_PS2_T2_
                                        ; -- End function
	.set _Z17sort_pairs_kernelIaLj256ELj1EN10test_utils4lessELj10EEvPKT_PS2_T2_.num_vgpr, 53
	.set _Z17sort_pairs_kernelIaLj256ELj1EN10test_utils4lessELj10EEvPKT_PS2_T2_.num_agpr, 0
	.set _Z17sort_pairs_kernelIaLj256ELj1EN10test_utils4lessELj10EEvPKT_PS2_T2_.numbered_sgpr, 25
	.set _Z17sort_pairs_kernelIaLj256ELj1EN10test_utils4lessELj10EEvPKT_PS2_T2_.num_named_barrier, 0
	.set _Z17sort_pairs_kernelIaLj256ELj1EN10test_utils4lessELj10EEvPKT_PS2_T2_.private_seg_size, 0
	.set _Z17sort_pairs_kernelIaLj256ELj1EN10test_utils4lessELj10EEvPKT_PS2_T2_.uses_vcc, 1
	.set _Z17sort_pairs_kernelIaLj256ELj1EN10test_utils4lessELj10EEvPKT_PS2_T2_.uses_flat_scratch, 0
	.set _Z17sort_pairs_kernelIaLj256ELj1EN10test_utils4lessELj10EEvPKT_PS2_T2_.has_dyn_sized_stack, 0
	.set _Z17sort_pairs_kernelIaLj256ELj1EN10test_utils4lessELj10EEvPKT_PS2_T2_.has_recursion, 0
	.set _Z17sort_pairs_kernelIaLj256ELj1EN10test_utils4lessELj10EEvPKT_PS2_T2_.has_indirect_call, 0
	.section	.AMDGPU.csdata,"",@progbits
; Kernel info:
; codeLenInByte = 2592
; TotalNumSgprs: 29
; NumVgprs: 53
; ScratchSize: 0
; MemoryBound: 0
; FloatMode: 240
; IeeeMode: 1
; LDSByteSize: 257 bytes/workgroup (compile time only)
; SGPRBlocks: 3
; VGPRBlocks: 13
; NumSGPRsForWavesPerEU: 29
; NumVGPRsForWavesPerEU: 53
; Occupancy: 4
; WaveLimiterHint : 0
; COMPUTE_PGM_RSRC2:SCRATCH_EN: 0
; COMPUTE_PGM_RSRC2:USER_SGPR: 6
; COMPUTE_PGM_RSRC2:TRAP_HANDLER: 0
; COMPUTE_PGM_RSRC2:TGID_X_EN: 1
; COMPUTE_PGM_RSRC2:TGID_Y_EN: 0
; COMPUTE_PGM_RSRC2:TGID_Z_EN: 0
; COMPUTE_PGM_RSRC2:TIDIG_COMP_CNT: 0
	.section	.text._Z16sort_keys_kernelIaLj256ELj2EN10test_utils4lessELj10EEvPKT_PS2_T2_,"axG",@progbits,_Z16sort_keys_kernelIaLj256ELj2EN10test_utils4lessELj10EEvPKT_PS2_T2_,comdat
	.protected	_Z16sort_keys_kernelIaLj256ELj2EN10test_utils4lessELj10EEvPKT_PS2_T2_ ; -- Begin function _Z16sort_keys_kernelIaLj256ELj2EN10test_utils4lessELj10EEvPKT_PS2_T2_
	.globl	_Z16sort_keys_kernelIaLj256ELj2EN10test_utils4lessELj10EEvPKT_PS2_T2_
	.p2align	8
	.type	_Z16sort_keys_kernelIaLj256ELj2EN10test_utils4lessELj10EEvPKT_PS2_T2_,@function
_Z16sort_keys_kernelIaLj256ELj2EN10test_utils4lessELj10EEvPKT_PS2_T2_: ; @_Z16sort_keys_kernelIaLj256ELj2EN10test_utils4lessELj10EEvPKT_PS2_T2_
; %bb.0:
	s_load_dwordx4 s[20:23], s[4:5], 0x0
	s_lshl_b32 s24, s6, 9
	v_lshlrev_b32_e32 v1, 1, v0
	v_and_b32_e32 v2, 0x1fc, v1
	v_and_b32_e32 v5, 0x1f8, v1
	s_waitcnt lgkmcnt(0)
	s_add_u32 s0, s20, s24
	s_addc_u32 s1, s21, 0
	global_load_ubyte v49, v0, s[0:1] offset:256
	global_load_ubyte v48, v0, s[0:1]
	v_and_b32_e32 v8, 0x1f0, v1
	v_and_b32_e32 v11, 0x1e0, v1
	;; [unrolled: 1-line block ×5, first 2 shown]
	v_or_b32_e32 v3, 2, v2
	v_add_u32_e32 v4, 4, v2
	v_or_b32_e32 v6, 4, v5
	v_add_u32_e32 v7, 8, v5
	;; [unrolled: 2-line block ×7, first 2 shown]
	v_and_b32_e32 v25, 2, v1
	v_sub_u32_e32 v23, v4, v3
	v_and_b32_e32 v28, 6, v1
	v_sub_u32_e32 v26, v7, v6
	;; [unrolled: 2-line block ×7, first 2 shown]
	v_sub_u32_e32 v24, v25, v23
	v_sub_u32_e32 v27, v28, v26
	;; [unrolled: 1-line block ×7, first 2 shown]
	v_cmp_ge_i32_e32 vcc, v25, v23
	v_cmp_ge_i32_e64 s[0:1], v28, v26
	v_cmp_ge_i32_e64 s[2:3], v31, v29
	;; [unrolled: 1-line block ×6, first 2 shown]
	v_cndmask_b32_e32 v23, 0, v24, vcc
	v_sub_u32_e32 v24, v3, v2
	v_cndmask_b32_e64 v26, 0, v27, s[0:1]
	v_sub_u32_e32 v27, v6, v5
	v_cndmask_b32_e64 v29, 0, v30, s[2:3]
	;; [unrolled: 2-line block ×6, first 2 shown]
	v_sub_u32_e32 v42, v21, v20
	v_mov_b32_e32 v44, 0x100
	v_min_i32_e32 v24, v25, v24
	v_min_i32_e32 v27, v28, v27
	;; [unrolled: 1-line block ×7, first 2 shown]
	v_sub_u32_e64 v45, v1, v44 clamp
	v_min_i32_e32 v46, 0x100, v1
	s_mov_b32 s20, 0
	v_cmp_lt_i32_e32 vcc, v23, v24
	v_add_u32_e32 v25, v3, v25
	v_cmp_lt_i32_e64 s[0:1], v26, v27
	v_add_u32_e32 v28, v6, v28
	v_cmp_lt_i32_e64 s[2:3], v29, v30
	;; [unrolled: 2-line block ×7, first 2 shown]
	s_mov_b32 s21, 0xc0c0004
	s_movk_i32 s25, 0x200
	v_add_u32_e32 v47, 0x100, v1
	s_branch .LBB62_2
.LBB62_1:                               ;   in Loop: Header=BB62_2 Depth=1
	s_or_b64 exec, exec, s[16:17]
	v_cmp_ge_i32_e64 s[16:17], v53, v44
	s_waitcnt lgkmcnt(0)
	v_cmp_lt_i16_sdwa s[18:19], sext(v54), sext(v52) src0_sel:BYTE_0 src1_sel:BYTE_0
	v_cndmask_b32_e64 v48, v50, v51, s[14:15]
	v_cmp_gt_i32_e64 s[14:15], s25, v49
	s_or_b64 s[16:17], s[16:17], s[18:19]
	s_and_b64 s[14:15], s[14:15], s[16:17]
	s_add_i32 s20, s20, 1
	s_cmp_eq_u32 s20, 10
	v_cndmask_b32_e64 v49, v52, v54, s[14:15]
	s_cbranch_scc1 .LBB62_66
.LBB62_2:                               ; =>This Loop Header: Depth=1
                                        ;     Child Loop BB62_4 Depth 2
                                        ;     Child Loop BB62_12 Depth 2
	;; [unrolled: 1-line block ×8, first 2 shown]
	s_waitcnt vmcnt(0)
	v_perm_b32 v50, v49, v48, s21
	v_perm_b32 v51, v48, v49, s21
	v_cmp_lt_i16_sdwa s[14:15], sext(v49), sext(v48) src0_sel:BYTE_0 src1_sel:BYTE_0
	v_cndmask_b32_e64 v48, v51, v50, s[14:15]
	s_barrier
	ds_write_b8 v1, v48
	v_lshrrev_b16_e32 v48, 8, v48
	v_mov_b32_e32 v49, v23
	ds_write_b8 v1, v48 offset:1
	s_waitcnt lgkmcnt(0)
	s_barrier
	s_and_saveexec_b64 s[16:17], vcc
	s_cbranch_execz .LBB62_6
; %bb.3:                                ;   in Loop: Header=BB62_2 Depth=1
	s_mov_b64 s[18:19], 0
	v_mov_b32_e32 v49, v23
	v_mov_b32_e32 v48, v24
.LBB62_4:                               ;   Parent Loop BB62_2 Depth=1
                                        ; =>  This Inner Loop Header: Depth=2
	v_sub_u32_e32 v50, v48, v49
	v_lshrrev_b32_e32 v50, 1, v50
	v_add_u32_e32 v50, v50, v49
	v_add_u32_e32 v51, v2, v50
	v_xad_u32 v52, v50, -1, v25
	ds_read_i8 v51, v51
	ds_read_i8 v52, v52
	v_add_u32_e32 v53, 1, v50
	s_waitcnt lgkmcnt(0)
	v_cmp_lt_i16_e64 s[14:15], v52, v51
	v_cndmask_b32_e64 v48, v48, v50, s[14:15]
	v_cndmask_b32_e64 v49, v53, v49, s[14:15]
	v_cmp_ge_i32_e64 s[14:15], v49, v48
	s_or_b64 s[18:19], s[14:15], s[18:19]
	s_andn2_b64 exec, exec, s[18:19]
	s_cbranch_execnz .LBB62_4
; %bb.5:                                ;   in Loop: Header=BB62_2 Depth=1
	s_or_b64 exec, exec, s[18:19]
.LBB62_6:                               ;   in Loop: Header=BB62_2 Depth=1
	s_or_b64 exec, exec, s[16:17]
	v_add_u32_e32 v48, v49, v2
	v_sub_u32_e32 v49, v25, v49
	ds_read_u8 v50, v48
	ds_read_u8 v51, v49
	v_cmp_le_i32_e64 s[16:17], v3, v48
	v_cmp_gt_i32_e64 s[14:15], v4, v49
	s_waitcnt lgkmcnt(1)
	v_bfe_i32 v50, v50, 0, 8
	s_waitcnt lgkmcnt(0)
	v_bfe_i32 v52, v51, 0, 8
	v_cmp_lt_i16_e64 s[18:19], v52, v50
	s_or_b64 s[16:17], s[16:17], s[18:19]
	s_and_b64 s[14:15], s[14:15], s[16:17]
	s_xor_b64 s[16:17], s[14:15], -1
                                        ; implicit-def: $vgpr51
	s_and_saveexec_b64 s[18:19], s[16:17]
	s_xor_b64 s[16:17], exec, s[18:19]
; %bb.7:                                ;   in Loop: Header=BB62_2 Depth=1
	ds_read_u8 v51, v48 offset:1
; %bb.8:                                ;   in Loop: Header=BB62_2 Depth=1
	s_or_saveexec_b64 s[16:17], s[16:17]
	v_mov_b32_e32 v53, v52
	s_xor_b64 exec, exec, s[16:17]
	s_cbranch_execz .LBB62_10
; %bb.9:                                ;   in Loop: Header=BB62_2 Depth=1
	ds_read_u8 v53, v49 offset:1
	s_waitcnt lgkmcnt(1)
	v_mov_b32_e32 v51, v50
.LBB62_10:                              ;   in Loop: Header=BB62_2 Depth=1
	s_or_b64 exec, exec, s[16:17]
	v_add_u32_e32 v54, 1, v48
	v_cndmask_b32_e64 v50, v50, v52, s[14:15]
	v_add_u32_e32 v52, 1, v49
	v_cndmask_b32_e64 v48, v54, v48, s[14:15]
	v_cndmask_b32_e64 v49, v49, v52, s[14:15]
	v_cmp_ge_i32_e64 s[16:17], v48, v3
	s_waitcnt lgkmcnt(0)
	v_cmp_lt_i16_sdwa s[18:19], sext(v53), sext(v51) src0_sel:BYTE_0 src1_sel:BYTE_0
	v_cmp_lt_i32_e64 s[14:15], v49, v4
	s_or_b64 s[16:17], s[16:17], s[18:19]
	s_and_b64 s[14:15], s[14:15], s[16:17]
	v_mov_b32_e32 v49, v26
	v_cndmask_b32_e64 v48, v51, v53, s[14:15]
	s_barrier
	ds_write_b8 v1, v50
	ds_write_b8 v1, v48 offset:1
	s_waitcnt lgkmcnt(0)
	s_barrier
	s_and_saveexec_b64 s[16:17], s[0:1]
	s_cbranch_execz .LBB62_14
; %bb.11:                               ;   in Loop: Header=BB62_2 Depth=1
	s_mov_b64 s[18:19], 0
	v_mov_b32_e32 v49, v26
	v_mov_b32_e32 v48, v27
.LBB62_12:                              ;   Parent Loop BB62_2 Depth=1
                                        ; =>  This Inner Loop Header: Depth=2
	v_sub_u32_e32 v50, v48, v49
	v_lshrrev_b32_e32 v50, 1, v50
	v_add_u32_e32 v50, v50, v49
	v_add_u32_e32 v51, v5, v50
	v_xad_u32 v52, v50, -1, v28
	ds_read_i8 v51, v51
	ds_read_i8 v52, v52
	v_add_u32_e32 v53, 1, v50
	s_waitcnt lgkmcnt(0)
	v_cmp_lt_i16_e64 s[14:15], v52, v51
	v_cndmask_b32_e64 v48, v48, v50, s[14:15]
	v_cndmask_b32_e64 v49, v53, v49, s[14:15]
	v_cmp_ge_i32_e64 s[14:15], v49, v48
	s_or_b64 s[18:19], s[14:15], s[18:19]
	s_andn2_b64 exec, exec, s[18:19]
	s_cbranch_execnz .LBB62_12
; %bb.13:                               ;   in Loop: Header=BB62_2 Depth=1
	s_or_b64 exec, exec, s[18:19]
.LBB62_14:                              ;   in Loop: Header=BB62_2 Depth=1
	s_or_b64 exec, exec, s[16:17]
	v_add_u32_e32 v48, v49, v5
	v_sub_u32_e32 v49, v28, v49
	ds_read_u8 v50, v48
	ds_read_u8 v51, v49
	v_cmp_le_i32_e64 s[16:17], v6, v48
	v_cmp_gt_i32_e64 s[14:15], v7, v49
	s_waitcnt lgkmcnt(1)
	v_bfe_i32 v50, v50, 0, 8
	s_waitcnt lgkmcnt(0)
	v_bfe_i32 v52, v51, 0, 8
	v_cmp_lt_i16_e64 s[18:19], v52, v50
	s_or_b64 s[16:17], s[16:17], s[18:19]
	s_and_b64 s[14:15], s[14:15], s[16:17]
	s_xor_b64 s[16:17], s[14:15], -1
                                        ; implicit-def: $vgpr51
	s_and_saveexec_b64 s[18:19], s[16:17]
	s_xor_b64 s[16:17], exec, s[18:19]
; %bb.15:                               ;   in Loop: Header=BB62_2 Depth=1
	ds_read_u8 v51, v48 offset:1
; %bb.16:                               ;   in Loop: Header=BB62_2 Depth=1
	s_or_saveexec_b64 s[16:17], s[16:17]
	v_mov_b32_e32 v53, v52
	s_xor_b64 exec, exec, s[16:17]
	s_cbranch_execz .LBB62_18
; %bb.17:                               ;   in Loop: Header=BB62_2 Depth=1
	ds_read_u8 v53, v49 offset:1
	s_waitcnt lgkmcnt(1)
	v_mov_b32_e32 v51, v50
.LBB62_18:                              ;   in Loop: Header=BB62_2 Depth=1
	s_or_b64 exec, exec, s[16:17]
	v_add_u32_e32 v54, 1, v48
	v_cndmask_b32_e64 v50, v50, v52, s[14:15]
	v_add_u32_e32 v52, 1, v49
	v_cndmask_b32_e64 v48, v54, v48, s[14:15]
	v_cndmask_b32_e64 v49, v49, v52, s[14:15]
	v_cmp_ge_i32_e64 s[16:17], v48, v6
	s_waitcnt lgkmcnt(0)
	v_cmp_lt_i16_sdwa s[18:19], sext(v53), sext(v51) src0_sel:BYTE_0 src1_sel:BYTE_0
	v_cmp_lt_i32_e64 s[14:15], v49, v7
	s_or_b64 s[16:17], s[16:17], s[18:19]
	s_and_b64 s[14:15], s[14:15], s[16:17]
	v_mov_b32_e32 v49, v29
	v_cndmask_b32_e64 v48, v51, v53, s[14:15]
	s_barrier
	ds_write_b8 v1, v50
	ds_write_b8 v1, v48 offset:1
	s_waitcnt lgkmcnt(0)
	s_barrier
	s_and_saveexec_b64 s[16:17], s[2:3]
	s_cbranch_execz .LBB62_22
; %bb.19:                               ;   in Loop: Header=BB62_2 Depth=1
	s_mov_b64 s[18:19], 0
	v_mov_b32_e32 v49, v29
	v_mov_b32_e32 v48, v30
.LBB62_20:                              ;   Parent Loop BB62_2 Depth=1
                                        ; =>  This Inner Loop Header: Depth=2
	v_sub_u32_e32 v50, v48, v49
	v_lshrrev_b32_e32 v50, 1, v50
	v_add_u32_e32 v50, v50, v49
	v_add_u32_e32 v51, v8, v50
	v_xad_u32 v52, v50, -1, v31
	ds_read_i8 v51, v51
	ds_read_i8 v52, v52
	v_add_u32_e32 v53, 1, v50
	s_waitcnt lgkmcnt(0)
	v_cmp_lt_i16_e64 s[14:15], v52, v51
	v_cndmask_b32_e64 v48, v48, v50, s[14:15]
	v_cndmask_b32_e64 v49, v53, v49, s[14:15]
	v_cmp_ge_i32_e64 s[14:15], v49, v48
	s_or_b64 s[18:19], s[14:15], s[18:19]
	s_andn2_b64 exec, exec, s[18:19]
	s_cbranch_execnz .LBB62_20
; %bb.21:                               ;   in Loop: Header=BB62_2 Depth=1
	s_or_b64 exec, exec, s[18:19]
.LBB62_22:                              ;   in Loop: Header=BB62_2 Depth=1
	s_or_b64 exec, exec, s[16:17]
	v_add_u32_e32 v48, v49, v8
	v_sub_u32_e32 v49, v31, v49
	ds_read_u8 v50, v48
	ds_read_u8 v51, v49
	v_cmp_le_i32_e64 s[16:17], v9, v48
	v_cmp_gt_i32_e64 s[14:15], v10, v49
	s_waitcnt lgkmcnt(1)
	v_bfe_i32 v50, v50, 0, 8
	s_waitcnt lgkmcnt(0)
	v_bfe_i32 v52, v51, 0, 8
	v_cmp_lt_i16_e64 s[18:19], v52, v50
	s_or_b64 s[16:17], s[16:17], s[18:19]
	s_and_b64 s[14:15], s[14:15], s[16:17]
	s_xor_b64 s[16:17], s[14:15], -1
                                        ; implicit-def: $vgpr51
	s_and_saveexec_b64 s[18:19], s[16:17]
	s_xor_b64 s[16:17], exec, s[18:19]
; %bb.23:                               ;   in Loop: Header=BB62_2 Depth=1
	ds_read_u8 v51, v48 offset:1
; %bb.24:                               ;   in Loop: Header=BB62_2 Depth=1
	s_or_saveexec_b64 s[16:17], s[16:17]
	v_mov_b32_e32 v53, v52
	s_xor_b64 exec, exec, s[16:17]
	s_cbranch_execz .LBB62_26
; %bb.25:                               ;   in Loop: Header=BB62_2 Depth=1
	ds_read_u8 v53, v49 offset:1
	s_waitcnt lgkmcnt(1)
	v_mov_b32_e32 v51, v50
.LBB62_26:                              ;   in Loop: Header=BB62_2 Depth=1
	s_or_b64 exec, exec, s[16:17]
	v_add_u32_e32 v54, 1, v48
	v_cndmask_b32_e64 v50, v50, v52, s[14:15]
	v_add_u32_e32 v52, 1, v49
	v_cndmask_b32_e64 v48, v54, v48, s[14:15]
	v_cndmask_b32_e64 v49, v49, v52, s[14:15]
	v_cmp_ge_i32_e64 s[16:17], v48, v9
	s_waitcnt lgkmcnt(0)
	v_cmp_lt_i16_sdwa s[18:19], sext(v53), sext(v51) src0_sel:BYTE_0 src1_sel:BYTE_0
	v_cmp_lt_i32_e64 s[14:15], v49, v10
	s_or_b64 s[16:17], s[16:17], s[18:19]
	s_and_b64 s[14:15], s[14:15], s[16:17]
	v_mov_b32_e32 v49, v32
	v_cndmask_b32_e64 v48, v51, v53, s[14:15]
	s_barrier
	ds_write_b8 v1, v50
	ds_write_b8 v1, v48 offset:1
	s_waitcnt lgkmcnt(0)
	s_barrier
	s_and_saveexec_b64 s[16:17], s[4:5]
	s_cbranch_execz .LBB62_30
; %bb.27:                               ;   in Loop: Header=BB62_2 Depth=1
	s_mov_b64 s[18:19], 0
	v_mov_b32_e32 v49, v32
	v_mov_b32_e32 v48, v33
.LBB62_28:                              ;   Parent Loop BB62_2 Depth=1
                                        ; =>  This Inner Loop Header: Depth=2
	v_sub_u32_e32 v50, v48, v49
	v_lshrrev_b32_e32 v50, 1, v50
	v_add_u32_e32 v50, v50, v49
	v_add_u32_e32 v51, v11, v50
	v_xad_u32 v52, v50, -1, v34
	ds_read_i8 v51, v51
	ds_read_i8 v52, v52
	v_add_u32_e32 v53, 1, v50
	s_waitcnt lgkmcnt(0)
	v_cmp_lt_i16_e64 s[14:15], v52, v51
	v_cndmask_b32_e64 v48, v48, v50, s[14:15]
	v_cndmask_b32_e64 v49, v53, v49, s[14:15]
	v_cmp_ge_i32_e64 s[14:15], v49, v48
	s_or_b64 s[18:19], s[14:15], s[18:19]
	s_andn2_b64 exec, exec, s[18:19]
	s_cbranch_execnz .LBB62_28
; %bb.29:                               ;   in Loop: Header=BB62_2 Depth=1
	s_or_b64 exec, exec, s[18:19]
.LBB62_30:                              ;   in Loop: Header=BB62_2 Depth=1
	s_or_b64 exec, exec, s[16:17]
	v_add_u32_e32 v48, v49, v11
	v_sub_u32_e32 v49, v34, v49
	ds_read_u8 v50, v48
	ds_read_u8 v51, v49
	v_cmp_le_i32_e64 s[16:17], v12, v48
	v_cmp_gt_i32_e64 s[14:15], v13, v49
	s_waitcnt lgkmcnt(1)
	v_bfe_i32 v50, v50, 0, 8
	s_waitcnt lgkmcnt(0)
	v_bfe_i32 v52, v51, 0, 8
	v_cmp_lt_i16_e64 s[18:19], v52, v50
	s_or_b64 s[16:17], s[16:17], s[18:19]
	s_and_b64 s[14:15], s[14:15], s[16:17]
	s_xor_b64 s[16:17], s[14:15], -1
                                        ; implicit-def: $vgpr51
	s_and_saveexec_b64 s[18:19], s[16:17]
	s_xor_b64 s[16:17], exec, s[18:19]
; %bb.31:                               ;   in Loop: Header=BB62_2 Depth=1
	ds_read_u8 v51, v48 offset:1
; %bb.32:                               ;   in Loop: Header=BB62_2 Depth=1
	s_or_saveexec_b64 s[16:17], s[16:17]
	v_mov_b32_e32 v53, v52
	s_xor_b64 exec, exec, s[16:17]
	s_cbranch_execz .LBB62_34
; %bb.33:                               ;   in Loop: Header=BB62_2 Depth=1
	ds_read_u8 v53, v49 offset:1
	s_waitcnt lgkmcnt(1)
	v_mov_b32_e32 v51, v50
.LBB62_34:                              ;   in Loop: Header=BB62_2 Depth=1
	s_or_b64 exec, exec, s[16:17]
	v_add_u32_e32 v54, 1, v48
	v_cndmask_b32_e64 v50, v50, v52, s[14:15]
	v_add_u32_e32 v52, 1, v49
	v_cndmask_b32_e64 v48, v54, v48, s[14:15]
	v_cndmask_b32_e64 v49, v49, v52, s[14:15]
	v_cmp_ge_i32_e64 s[16:17], v48, v12
	s_waitcnt lgkmcnt(0)
	v_cmp_lt_i16_sdwa s[18:19], sext(v53), sext(v51) src0_sel:BYTE_0 src1_sel:BYTE_0
	v_cmp_lt_i32_e64 s[14:15], v49, v13
	s_or_b64 s[16:17], s[16:17], s[18:19]
	s_and_b64 s[14:15], s[14:15], s[16:17]
	v_mov_b32_e32 v49, v35
	v_cndmask_b32_e64 v48, v51, v53, s[14:15]
	s_barrier
	ds_write_b8 v1, v50
	ds_write_b8 v1, v48 offset:1
	s_waitcnt lgkmcnt(0)
	s_barrier
	s_and_saveexec_b64 s[16:17], s[6:7]
	s_cbranch_execz .LBB62_38
; %bb.35:                               ;   in Loop: Header=BB62_2 Depth=1
	s_mov_b64 s[18:19], 0
	v_mov_b32_e32 v49, v35
	v_mov_b32_e32 v48, v36
.LBB62_36:                              ;   Parent Loop BB62_2 Depth=1
                                        ; =>  This Inner Loop Header: Depth=2
	v_sub_u32_e32 v50, v48, v49
	v_lshrrev_b32_e32 v50, 1, v50
	v_add_u32_e32 v50, v50, v49
	v_add_u32_e32 v51, v14, v50
	v_xad_u32 v52, v50, -1, v37
	ds_read_i8 v51, v51
	ds_read_i8 v52, v52
	v_add_u32_e32 v53, 1, v50
	s_waitcnt lgkmcnt(0)
	v_cmp_lt_i16_e64 s[14:15], v52, v51
	v_cndmask_b32_e64 v48, v48, v50, s[14:15]
	v_cndmask_b32_e64 v49, v53, v49, s[14:15]
	v_cmp_ge_i32_e64 s[14:15], v49, v48
	s_or_b64 s[18:19], s[14:15], s[18:19]
	s_andn2_b64 exec, exec, s[18:19]
	s_cbranch_execnz .LBB62_36
; %bb.37:                               ;   in Loop: Header=BB62_2 Depth=1
	s_or_b64 exec, exec, s[18:19]
.LBB62_38:                              ;   in Loop: Header=BB62_2 Depth=1
	s_or_b64 exec, exec, s[16:17]
	v_add_u32_e32 v48, v49, v14
	v_sub_u32_e32 v49, v37, v49
	ds_read_u8 v50, v48
	ds_read_u8 v51, v49
	v_cmp_le_i32_e64 s[16:17], v15, v48
	v_cmp_gt_i32_e64 s[14:15], v16, v49
	s_waitcnt lgkmcnt(1)
	v_bfe_i32 v50, v50, 0, 8
	s_waitcnt lgkmcnt(0)
	v_bfe_i32 v52, v51, 0, 8
	v_cmp_lt_i16_e64 s[18:19], v52, v50
	s_or_b64 s[16:17], s[16:17], s[18:19]
	s_and_b64 s[14:15], s[14:15], s[16:17]
	s_xor_b64 s[16:17], s[14:15], -1
                                        ; implicit-def: $vgpr51
	s_and_saveexec_b64 s[18:19], s[16:17]
	s_xor_b64 s[16:17], exec, s[18:19]
; %bb.39:                               ;   in Loop: Header=BB62_2 Depth=1
	ds_read_u8 v51, v48 offset:1
; %bb.40:                               ;   in Loop: Header=BB62_2 Depth=1
	s_or_saveexec_b64 s[16:17], s[16:17]
	v_mov_b32_e32 v53, v52
	s_xor_b64 exec, exec, s[16:17]
	s_cbranch_execz .LBB62_42
; %bb.41:                               ;   in Loop: Header=BB62_2 Depth=1
	ds_read_u8 v53, v49 offset:1
	s_waitcnt lgkmcnt(1)
	v_mov_b32_e32 v51, v50
.LBB62_42:                              ;   in Loop: Header=BB62_2 Depth=1
	s_or_b64 exec, exec, s[16:17]
	v_add_u32_e32 v54, 1, v48
	v_cndmask_b32_e64 v50, v50, v52, s[14:15]
	v_add_u32_e32 v52, 1, v49
	v_cndmask_b32_e64 v48, v54, v48, s[14:15]
	v_cndmask_b32_e64 v49, v49, v52, s[14:15]
	v_cmp_ge_i32_e64 s[16:17], v48, v15
	s_waitcnt lgkmcnt(0)
	v_cmp_lt_i16_sdwa s[18:19], sext(v53), sext(v51) src0_sel:BYTE_0 src1_sel:BYTE_0
	v_cmp_lt_i32_e64 s[14:15], v49, v16
	s_or_b64 s[16:17], s[16:17], s[18:19]
	s_and_b64 s[14:15], s[14:15], s[16:17]
	v_mov_b32_e32 v49, v38
	v_cndmask_b32_e64 v48, v51, v53, s[14:15]
	s_barrier
	ds_write_b8 v1, v50
	ds_write_b8 v1, v48 offset:1
	s_waitcnt lgkmcnt(0)
	s_barrier
	s_and_saveexec_b64 s[16:17], s[8:9]
	s_cbranch_execz .LBB62_46
; %bb.43:                               ;   in Loop: Header=BB62_2 Depth=1
	s_mov_b64 s[18:19], 0
	v_mov_b32_e32 v49, v38
	v_mov_b32_e32 v48, v39
.LBB62_44:                              ;   Parent Loop BB62_2 Depth=1
                                        ; =>  This Inner Loop Header: Depth=2
	v_sub_u32_e32 v50, v48, v49
	v_lshrrev_b32_e32 v50, 1, v50
	v_add_u32_e32 v50, v50, v49
	v_add_u32_e32 v51, v17, v50
	v_xad_u32 v52, v50, -1, v40
	ds_read_i8 v51, v51
	ds_read_i8 v52, v52
	v_add_u32_e32 v53, 1, v50
	s_waitcnt lgkmcnt(0)
	v_cmp_lt_i16_e64 s[14:15], v52, v51
	v_cndmask_b32_e64 v48, v48, v50, s[14:15]
	v_cndmask_b32_e64 v49, v53, v49, s[14:15]
	v_cmp_ge_i32_e64 s[14:15], v49, v48
	s_or_b64 s[18:19], s[14:15], s[18:19]
	s_andn2_b64 exec, exec, s[18:19]
	s_cbranch_execnz .LBB62_44
; %bb.45:                               ;   in Loop: Header=BB62_2 Depth=1
	s_or_b64 exec, exec, s[18:19]
.LBB62_46:                              ;   in Loop: Header=BB62_2 Depth=1
	s_or_b64 exec, exec, s[16:17]
	v_add_u32_e32 v48, v49, v17
	v_sub_u32_e32 v49, v40, v49
	ds_read_u8 v50, v48
	ds_read_u8 v51, v49
	v_cmp_le_i32_e64 s[16:17], v18, v48
	v_cmp_gt_i32_e64 s[14:15], v19, v49
	s_waitcnt lgkmcnt(1)
	v_bfe_i32 v50, v50, 0, 8
	s_waitcnt lgkmcnt(0)
	v_bfe_i32 v52, v51, 0, 8
	v_cmp_lt_i16_e64 s[18:19], v52, v50
	s_or_b64 s[16:17], s[16:17], s[18:19]
	s_and_b64 s[14:15], s[14:15], s[16:17]
	s_xor_b64 s[16:17], s[14:15], -1
                                        ; implicit-def: $vgpr51
	s_and_saveexec_b64 s[18:19], s[16:17]
	s_xor_b64 s[16:17], exec, s[18:19]
; %bb.47:                               ;   in Loop: Header=BB62_2 Depth=1
	ds_read_u8 v51, v48 offset:1
; %bb.48:                               ;   in Loop: Header=BB62_2 Depth=1
	s_or_saveexec_b64 s[16:17], s[16:17]
	v_mov_b32_e32 v53, v52
	s_xor_b64 exec, exec, s[16:17]
	s_cbranch_execz .LBB62_50
; %bb.49:                               ;   in Loop: Header=BB62_2 Depth=1
	ds_read_u8 v53, v49 offset:1
	s_waitcnt lgkmcnt(1)
	v_mov_b32_e32 v51, v50
.LBB62_50:                              ;   in Loop: Header=BB62_2 Depth=1
	s_or_b64 exec, exec, s[16:17]
	v_add_u32_e32 v54, 1, v48
	v_cndmask_b32_e64 v50, v50, v52, s[14:15]
	v_add_u32_e32 v52, 1, v49
	v_cndmask_b32_e64 v48, v54, v48, s[14:15]
	v_cndmask_b32_e64 v49, v49, v52, s[14:15]
	v_cmp_ge_i32_e64 s[16:17], v48, v18
	s_waitcnt lgkmcnt(0)
	v_cmp_lt_i16_sdwa s[18:19], sext(v53), sext(v51) src0_sel:BYTE_0 src1_sel:BYTE_0
	v_cmp_lt_i32_e64 s[14:15], v49, v19
	s_or_b64 s[16:17], s[16:17], s[18:19]
	s_and_b64 s[14:15], s[14:15], s[16:17]
	v_mov_b32_e32 v49, v41
	v_cndmask_b32_e64 v48, v51, v53, s[14:15]
	s_barrier
	ds_write_b8 v1, v50
	ds_write_b8 v1, v48 offset:1
	s_waitcnt lgkmcnt(0)
	s_barrier
	s_and_saveexec_b64 s[16:17], s[10:11]
	s_cbranch_execz .LBB62_54
; %bb.51:                               ;   in Loop: Header=BB62_2 Depth=1
	s_mov_b64 s[18:19], 0
	v_mov_b32_e32 v49, v41
	v_mov_b32_e32 v48, v42
.LBB62_52:                              ;   Parent Loop BB62_2 Depth=1
                                        ; =>  This Inner Loop Header: Depth=2
	v_sub_u32_e32 v50, v48, v49
	v_lshrrev_b32_e32 v50, 1, v50
	v_add_u32_e32 v50, v50, v49
	v_add_u32_e32 v51, v20, v50
	v_xad_u32 v52, v50, -1, v43
	ds_read_i8 v51, v51
	ds_read_i8 v52, v52
	v_add_u32_e32 v53, 1, v50
	s_waitcnt lgkmcnt(0)
	v_cmp_lt_i16_e64 s[14:15], v52, v51
	v_cndmask_b32_e64 v48, v48, v50, s[14:15]
	v_cndmask_b32_e64 v49, v53, v49, s[14:15]
	v_cmp_ge_i32_e64 s[14:15], v49, v48
	s_or_b64 s[18:19], s[14:15], s[18:19]
	s_andn2_b64 exec, exec, s[18:19]
	s_cbranch_execnz .LBB62_52
; %bb.53:                               ;   in Loop: Header=BB62_2 Depth=1
	s_or_b64 exec, exec, s[18:19]
.LBB62_54:                              ;   in Loop: Header=BB62_2 Depth=1
	s_or_b64 exec, exec, s[16:17]
	v_add_u32_e32 v48, v49, v20
	v_sub_u32_e32 v49, v43, v49
	ds_read_u8 v50, v48
	ds_read_u8 v51, v49
	v_cmp_le_i32_e64 s[16:17], v21, v48
	v_cmp_gt_i32_e64 s[14:15], v22, v49
	s_waitcnt lgkmcnt(1)
	v_bfe_i32 v50, v50, 0, 8
	s_waitcnt lgkmcnt(0)
	v_bfe_i32 v52, v51, 0, 8
	v_cmp_lt_i16_e64 s[18:19], v52, v50
	s_or_b64 s[16:17], s[16:17], s[18:19]
	s_and_b64 s[14:15], s[14:15], s[16:17]
	s_xor_b64 s[16:17], s[14:15], -1
                                        ; implicit-def: $vgpr51
	s_and_saveexec_b64 s[18:19], s[16:17]
	s_xor_b64 s[16:17], exec, s[18:19]
; %bb.55:                               ;   in Loop: Header=BB62_2 Depth=1
	ds_read_u8 v51, v48 offset:1
; %bb.56:                               ;   in Loop: Header=BB62_2 Depth=1
	s_or_saveexec_b64 s[16:17], s[16:17]
	v_mov_b32_e32 v53, v52
	s_xor_b64 exec, exec, s[16:17]
	s_cbranch_execz .LBB62_58
; %bb.57:                               ;   in Loop: Header=BB62_2 Depth=1
	ds_read_u8 v53, v49 offset:1
	s_waitcnt lgkmcnt(1)
	v_mov_b32_e32 v51, v50
.LBB62_58:                              ;   in Loop: Header=BB62_2 Depth=1
	s_or_b64 exec, exec, s[16:17]
	v_add_u32_e32 v54, 1, v48
	v_cndmask_b32_e64 v50, v50, v52, s[14:15]
	v_add_u32_e32 v52, 1, v49
	v_cndmask_b32_e64 v48, v54, v48, s[14:15]
	v_cndmask_b32_e64 v49, v49, v52, s[14:15]
	v_cmp_ge_i32_e64 s[16:17], v48, v21
	s_waitcnt lgkmcnt(0)
	v_cmp_lt_i16_sdwa s[18:19], sext(v53), sext(v51) src0_sel:BYTE_0 src1_sel:BYTE_0
	v_cmp_lt_i32_e64 s[14:15], v49, v22
	s_or_b64 s[16:17], s[16:17], s[18:19]
	s_and_b64 s[14:15], s[14:15], s[16:17]
	v_cndmask_b32_e64 v48, v51, v53, s[14:15]
	s_barrier
	ds_write_b8 v1, v50
	ds_write_b8 v1, v48 offset:1
	v_mov_b32_e32 v48, v45
	s_waitcnt lgkmcnt(0)
	s_barrier
	s_and_saveexec_b64 s[16:17], s[12:13]
	s_cbranch_execz .LBB62_62
; %bb.59:                               ;   in Loop: Header=BB62_2 Depth=1
	s_mov_b64 s[18:19], 0
	v_mov_b32_e32 v48, v45
	v_mov_b32_e32 v49, v46
.LBB62_60:                              ;   Parent Loop BB62_2 Depth=1
                                        ; =>  This Inner Loop Header: Depth=2
	v_sub_u32_e32 v50, v49, v48
	v_lshrrev_b32_e32 v50, 1, v50
	v_add_u32_e32 v50, v50, v48
	v_xad_u32 v51, v50, -1, v47
	ds_read_i8 v52, v50
	ds_read_i8 v51, v51
	v_add_u32_e32 v53, 1, v50
	s_waitcnt lgkmcnt(0)
	v_cmp_lt_i16_e64 s[14:15], v51, v52
	v_cndmask_b32_e64 v49, v49, v50, s[14:15]
	v_cndmask_b32_e64 v48, v53, v48, s[14:15]
	v_cmp_ge_i32_e64 s[14:15], v48, v49
	s_or_b64 s[18:19], s[14:15], s[18:19]
	s_andn2_b64 exec, exec, s[18:19]
	s_cbranch_execnz .LBB62_60
; %bb.61:                               ;   in Loop: Header=BB62_2 Depth=1
	s_or_b64 exec, exec, s[18:19]
.LBB62_62:                              ;   in Loop: Header=BB62_2 Depth=1
	s_or_b64 exec, exec, s[16:17]
	v_sub_u32_e32 v49, v47, v48
	ds_read_u8 v50, v48
	ds_read_u8 v51, v49
	v_cmp_le_i32_e64 s[16:17], v44, v48
	v_cmp_gt_i32_e64 s[14:15], s25, v49
                                        ; implicit-def: $vgpr52
                                        ; implicit-def: $vgpr53
	s_waitcnt lgkmcnt(1)
	v_bfe_i32 v50, v50, 0, 8
	s_waitcnt lgkmcnt(0)
	v_bfe_i32 v51, v51, 0, 8
	v_cmp_lt_i16_e64 s[18:19], v51, v50
	s_or_b64 s[16:17], s[16:17], s[18:19]
	s_and_b64 s[14:15], s[14:15], s[16:17]
	s_xor_b64 s[16:17], s[14:15], -1
	s_and_saveexec_b64 s[18:19], s[16:17]
	s_xor_b64 s[16:17], exec, s[18:19]
; %bb.63:                               ;   in Loop: Header=BB62_2 Depth=1
	ds_read_u8 v52, v48 offset:1
	v_add_u32_e32 v53, 1, v48
                                        ; implicit-def: $vgpr48
; %bb.64:                               ;   in Loop: Header=BB62_2 Depth=1
	s_or_saveexec_b64 s[16:17], s[16:17]
	v_mov_b32_e32 v54, v51
	s_xor_b64 exec, exec, s[16:17]
	s_cbranch_execz .LBB62_1
; %bb.65:                               ;   in Loop: Header=BB62_2 Depth=1
	ds_read_u8 v54, v49 offset:1
	v_add_u32_e32 v49, 1, v49
	v_mov_b32_e32 v53, v48
	s_waitcnt lgkmcnt(1)
	v_mov_b32_e32 v52, v50
	s_branch .LBB62_1
.LBB62_66:
	s_add_u32 s0, s22, s24
	s_addc_u32 s1, s23, 0
	v_mov_b32_e32 v1, s1
	v_add_co_u32_e32 v0, vcc, s0, v0
	v_addc_co_u32_e32 v1, vcc, 0, v1, vcc
	global_store_byte v[0:1], v48, off
	global_store_byte v[0:1], v49, off offset:256
	s_endpgm
	.section	.rodata,"a",@progbits
	.p2align	6, 0x0
	.amdhsa_kernel _Z16sort_keys_kernelIaLj256ELj2EN10test_utils4lessELj10EEvPKT_PS2_T2_
		.amdhsa_group_segment_fixed_size 513
		.amdhsa_private_segment_fixed_size 0
		.amdhsa_kernarg_size 20
		.amdhsa_user_sgpr_count 6
		.amdhsa_user_sgpr_private_segment_buffer 1
		.amdhsa_user_sgpr_dispatch_ptr 0
		.amdhsa_user_sgpr_queue_ptr 0
		.amdhsa_user_sgpr_kernarg_segment_ptr 1
		.amdhsa_user_sgpr_dispatch_id 0
		.amdhsa_user_sgpr_flat_scratch_init 0
		.amdhsa_user_sgpr_private_segment_size 0
		.amdhsa_uses_dynamic_stack 0
		.amdhsa_system_sgpr_private_segment_wavefront_offset 0
		.amdhsa_system_sgpr_workgroup_id_x 1
		.amdhsa_system_sgpr_workgroup_id_y 0
		.amdhsa_system_sgpr_workgroup_id_z 0
		.amdhsa_system_sgpr_workgroup_info 0
		.amdhsa_system_vgpr_workitem_id 0
		.amdhsa_next_free_vgpr 55
		.amdhsa_next_free_sgpr 26
		.amdhsa_reserve_vcc 1
		.amdhsa_reserve_flat_scratch 0
		.amdhsa_float_round_mode_32 0
		.amdhsa_float_round_mode_16_64 0
		.amdhsa_float_denorm_mode_32 3
		.amdhsa_float_denorm_mode_16_64 3
		.amdhsa_dx10_clamp 1
		.amdhsa_ieee_mode 1
		.amdhsa_fp16_overflow 0
		.amdhsa_exception_fp_ieee_invalid_op 0
		.amdhsa_exception_fp_denorm_src 0
		.amdhsa_exception_fp_ieee_div_zero 0
		.amdhsa_exception_fp_ieee_overflow 0
		.amdhsa_exception_fp_ieee_underflow 0
		.amdhsa_exception_fp_ieee_inexact 0
		.amdhsa_exception_int_div_zero 0
	.end_amdhsa_kernel
	.section	.text._Z16sort_keys_kernelIaLj256ELj2EN10test_utils4lessELj10EEvPKT_PS2_T2_,"axG",@progbits,_Z16sort_keys_kernelIaLj256ELj2EN10test_utils4lessELj10EEvPKT_PS2_T2_,comdat
.Lfunc_end62:
	.size	_Z16sort_keys_kernelIaLj256ELj2EN10test_utils4lessELj10EEvPKT_PS2_T2_, .Lfunc_end62-_Z16sort_keys_kernelIaLj256ELj2EN10test_utils4lessELj10EEvPKT_PS2_T2_
                                        ; -- End function
	.set _Z16sort_keys_kernelIaLj256ELj2EN10test_utils4lessELj10EEvPKT_PS2_T2_.num_vgpr, 55
	.set _Z16sort_keys_kernelIaLj256ELj2EN10test_utils4lessELj10EEvPKT_PS2_T2_.num_agpr, 0
	.set _Z16sort_keys_kernelIaLj256ELj2EN10test_utils4lessELj10EEvPKT_PS2_T2_.numbered_sgpr, 26
	.set _Z16sort_keys_kernelIaLj256ELj2EN10test_utils4lessELj10EEvPKT_PS2_T2_.num_named_barrier, 0
	.set _Z16sort_keys_kernelIaLj256ELj2EN10test_utils4lessELj10EEvPKT_PS2_T2_.private_seg_size, 0
	.set _Z16sort_keys_kernelIaLj256ELj2EN10test_utils4lessELj10EEvPKT_PS2_T2_.uses_vcc, 1
	.set _Z16sort_keys_kernelIaLj256ELj2EN10test_utils4lessELj10EEvPKT_PS2_T2_.uses_flat_scratch, 0
	.set _Z16sort_keys_kernelIaLj256ELj2EN10test_utils4lessELj10EEvPKT_PS2_T2_.has_dyn_sized_stack, 0
	.set _Z16sort_keys_kernelIaLj256ELj2EN10test_utils4lessELj10EEvPKT_PS2_T2_.has_recursion, 0
	.set _Z16sort_keys_kernelIaLj256ELj2EN10test_utils4lessELj10EEvPKT_PS2_T2_.has_indirect_call, 0
	.section	.AMDGPU.csdata,"",@progbits
; Kernel info:
; codeLenInByte = 3548
; TotalNumSgprs: 30
; NumVgprs: 55
; ScratchSize: 0
; MemoryBound: 0
; FloatMode: 240
; IeeeMode: 1
; LDSByteSize: 513 bytes/workgroup (compile time only)
; SGPRBlocks: 3
; VGPRBlocks: 13
; NumSGPRsForWavesPerEU: 30
; NumVGPRsForWavesPerEU: 55
; Occupancy: 4
; WaveLimiterHint : 1
; COMPUTE_PGM_RSRC2:SCRATCH_EN: 0
; COMPUTE_PGM_RSRC2:USER_SGPR: 6
; COMPUTE_PGM_RSRC2:TRAP_HANDLER: 0
; COMPUTE_PGM_RSRC2:TGID_X_EN: 1
; COMPUTE_PGM_RSRC2:TGID_Y_EN: 0
; COMPUTE_PGM_RSRC2:TGID_Z_EN: 0
; COMPUTE_PGM_RSRC2:TIDIG_COMP_CNT: 0
	.section	.text._Z17sort_pairs_kernelIaLj256ELj2EN10test_utils4lessELj10EEvPKT_PS2_T2_,"axG",@progbits,_Z17sort_pairs_kernelIaLj256ELj2EN10test_utils4lessELj10EEvPKT_PS2_T2_,comdat
	.protected	_Z17sort_pairs_kernelIaLj256ELj2EN10test_utils4lessELj10EEvPKT_PS2_T2_ ; -- Begin function _Z17sort_pairs_kernelIaLj256ELj2EN10test_utils4lessELj10EEvPKT_PS2_T2_
	.globl	_Z17sort_pairs_kernelIaLj256ELj2EN10test_utils4lessELj10EEvPKT_PS2_T2_
	.p2align	8
	.type	_Z17sort_pairs_kernelIaLj256ELj2EN10test_utils4lessELj10EEvPKT_PS2_T2_,@function
_Z17sort_pairs_kernelIaLj256ELj2EN10test_utils4lessELj10EEvPKT_PS2_T2_: ; @_Z17sort_pairs_kernelIaLj256ELj2EN10test_utils4lessELj10EEvPKT_PS2_T2_
; %bb.0:
	s_load_dwordx4 s[20:23], s[4:5], 0x0
	s_lshl_b32 s24, s6, 9
	v_lshlrev_b32_e32 v1, 1, v0
	v_and_b32_e32 v2, 0x1fc, v1
	v_and_b32_e32 v5, 0x1f8, v1
	s_waitcnt lgkmcnt(0)
	s_add_u32 s0, s20, s24
	s_addc_u32 s1, s21, 0
	global_load_ubyte v51, v0, s[0:1]
	global_load_ubyte v50, v0, s[0:1] offset:256
	v_and_b32_e32 v8, 0x1f0, v1
	v_and_b32_e32 v11, 0x1e0, v1
	;; [unrolled: 1-line block ×5, first 2 shown]
	v_or_b32_e32 v3, 2, v2
	v_add_u32_e32 v4, 4, v2
	v_or_b32_e32 v6, 4, v5
	v_add_u32_e32 v7, 8, v5
	;; [unrolled: 2-line block ×7, first 2 shown]
	v_and_b32_e32 v25, 2, v1
	v_sub_u32_e32 v23, v4, v3
	v_and_b32_e32 v28, 6, v1
	v_sub_u32_e32 v26, v7, v6
	;; [unrolled: 2-line block ×7, first 2 shown]
	v_sub_u32_e32 v24, v25, v23
	v_sub_u32_e32 v27, v28, v26
	;; [unrolled: 1-line block ×7, first 2 shown]
	v_cmp_ge_i32_e32 vcc, v25, v23
	v_cmp_ge_i32_e64 s[0:1], v28, v26
	v_cmp_ge_i32_e64 s[2:3], v31, v29
	;; [unrolled: 1-line block ×6, first 2 shown]
	v_cndmask_b32_e32 v23, 0, v24, vcc
	v_sub_u32_e32 v24, v3, v2
	v_cndmask_b32_e64 v26, 0, v27, s[0:1]
	v_sub_u32_e32 v27, v6, v5
	v_cndmask_b32_e64 v29, 0, v30, s[2:3]
	;; [unrolled: 2-line block ×6, first 2 shown]
	v_sub_u32_e32 v42, v21, v20
	v_mov_b32_e32 v44, 0x100
	v_min_i32_e32 v24, v25, v24
	v_min_i32_e32 v27, v28, v27
	;; [unrolled: 1-line block ×7, first 2 shown]
	v_sub_u32_e64 v45, v1, v44 clamp
	v_min_i32_e32 v46, 0x100, v1
	s_mov_b32 s25, 0
	v_cmp_lt_i32_e32 vcc, v23, v24
	v_add_u32_e32 v25, v3, v25
	v_cmp_lt_i32_e64 s[0:1], v26, v27
	v_add_u32_e32 v28, v6, v28
	v_cmp_lt_i32_e64 s[2:3], v29, v30
	;; [unrolled: 2-line block ×7, first 2 shown]
	s_mov_b32 s26, 0xc0c0004
	s_movk_i32 s27, 0x200
	s_waitcnt vmcnt(1)
	v_add_u16_e32 v48, 1, v51
	s_waitcnt vmcnt(0)
	v_add_u16_e32 v49, 1, v50
	v_add_u32_e32 v47, 0x100, v1
	s_branch .LBB63_2
.LBB63_1:                               ;   in Loop: Header=BB63_2 Depth=1
	s_or_b64 exec, exec, s[16:17]
	v_cmp_ge_i32_e64 s[18:19], v54, v44
	s_waitcnt lgkmcnt(0)
	v_cmp_lt_i16_sdwa s[20:21], sext(v57), sext(v55) src0_sel:BYTE_0 src1_sel:BYTE_0
	v_cmp_gt_i32_e64 s[16:17], s27, v53
	s_or_b64 s[18:19], s[18:19], s[20:21]
	s_and_b64 s[16:17], s[16:17], s[18:19]
	v_cndmask_b32_e64 v53, v54, v53, s[16:17]
	s_barrier
	ds_write_b8 v1, v48
	ds_write_b8 v1, v49 offset:1
	s_waitcnt lgkmcnt(0)
	s_barrier
	ds_read_u8 v48, v56
	ds_read_u8 v49, v53
	s_add_i32 s25, s25, 1
	v_cndmask_b32_e64 v50, v55, v57, s[16:17]
	s_cmp_eq_u32 s25, 10
	v_cndmask_b32_e64 v51, v51, v52, s[14:15]
	s_cbranch_scc1 .LBB63_66
.LBB63_2:                               ; =>This Loop Header: Depth=1
                                        ;     Child Loop BB63_4 Depth 2
                                        ;     Child Loop BB63_12 Depth 2
	;; [unrolled: 1-line block ×8, first 2 shown]
	v_perm_b32 v52, v50, v51, s26
	v_perm_b32 v53, v51, v50, s26
	v_cmp_lt_i16_sdwa s[14:15], sext(v50), sext(v51) src0_sel:BYTE_0 src1_sel:BYTE_0
	v_cndmask_b32_e64 v50, v53, v52, s[14:15]
	s_waitcnt lgkmcnt(0)
	s_barrier
	ds_write_b8 v1, v50
	v_lshrrev_b16_e32 v50, 8, v50
	v_mov_b32_e32 v51, v23
	ds_write_b8 v1, v50 offset:1
	s_waitcnt lgkmcnt(0)
	s_barrier
	s_and_saveexec_b64 s[18:19], vcc
	s_cbranch_execz .LBB63_6
; %bb.3:                                ;   in Loop: Header=BB63_2 Depth=1
	s_mov_b64 s[20:21], 0
	v_mov_b32_e32 v51, v23
	v_mov_b32_e32 v50, v24
.LBB63_4:                               ;   Parent Loop BB63_2 Depth=1
                                        ; =>  This Inner Loop Header: Depth=2
	v_sub_u32_e32 v52, v50, v51
	v_lshrrev_b32_e32 v52, 1, v52
	v_add_u32_e32 v52, v52, v51
	v_add_u32_e32 v53, v2, v52
	v_xad_u32 v54, v52, -1, v25
	ds_read_i8 v53, v53
	ds_read_i8 v54, v54
	v_add_u32_e32 v55, 1, v52
	s_waitcnt lgkmcnt(0)
	v_cmp_lt_i16_e64 s[16:17], v54, v53
	v_cndmask_b32_e64 v50, v50, v52, s[16:17]
	v_cndmask_b32_e64 v51, v55, v51, s[16:17]
	v_cmp_ge_i32_e64 s[16:17], v51, v50
	s_or_b64 s[20:21], s[16:17], s[20:21]
	s_andn2_b64 exec, exec, s[20:21]
	s_cbranch_execnz .LBB63_4
; %bb.5:                                ;   in Loop: Header=BB63_2 Depth=1
	s_or_b64 exec, exec, s[20:21]
.LBB63_6:                               ;   in Loop: Header=BB63_2 Depth=1
	s_or_b64 exec, exec, s[18:19]
	v_add_u32_e32 v50, v51, v2
	v_sub_u32_e32 v51, v25, v51
	ds_read_u8 v52, v50
	ds_read_u8 v54, v51
	v_cmp_le_i32_e64 s[18:19], v3, v50
	v_cmp_gt_i32_e64 s[16:17], v4, v51
	s_waitcnt lgkmcnt(1)
	v_bfe_i32 v53, v52, 0, 8
	s_waitcnt lgkmcnt(0)
	v_bfe_i32 v54, v54, 0, 8
	v_cmp_lt_i16_e64 s[20:21], v54, v53
	s_or_b64 s[18:19], s[18:19], s[20:21]
	s_and_b64 s[16:17], s[16:17], s[18:19]
	s_xor_b64 s[18:19], s[16:17], -1
                                        ; implicit-def: $vgpr52
	s_and_saveexec_b64 s[20:21], s[18:19]
	s_xor_b64 s[18:19], exec, s[20:21]
; %bb.7:                                ;   in Loop: Header=BB63_2 Depth=1
	ds_read_u8 v52, v50 offset:1
; %bb.8:                                ;   in Loop: Header=BB63_2 Depth=1
	s_or_saveexec_b64 s[18:19], s[18:19]
	v_mov_b32_e32 v55, v54
	s_xor_b64 exec, exec, s[18:19]
	s_cbranch_execz .LBB63_10
; %bb.9:                                ;   in Loop: Header=BB63_2 Depth=1
	ds_read_u8 v55, v51 offset:1
	s_waitcnt lgkmcnt(1)
	v_mov_b32_e32 v52, v53
.LBB63_10:                              ;   in Loop: Header=BB63_2 Depth=1
	s_or_b64 exec, exec, s[18:19]
	v_add_u32_e32 v56, 1, v50
	v_cndmask_b32_e64 v53, v53, v54, s[16:17]
	v_add_u32_e32 v54, 1, v51
	v_cndmask_b32_e64 v56, v56, v50, s[16:17]
	v_cndmask_b32_e64 v54, v51, v54, s[16:17]
	;; [unrolled: 1-line block ×3, first 2 shown]
	v_perm_b32 v51, v49, v48, s26
	v_perm_b32 v48, v48, v49, s26
	v_cmp_ge_i32_e64 s[16:17], v56, v3
	s_waitcnt lgkmcnt(0)
	v_cmp_lt_i16_sdwa s[18:19], sext(v55), sext(v52) src0_sel:BYTE_0 src1_sel:BYTE_0
	v_cndmask_b32_e64 v48, v48, v51, s[14:15]
	v_cmp_lt_i32_e64 s[14:15], v54, v4
	s_or_b64 s[16:17], s[16:17], s[18:19]
	s_and_b64 s[14:15], s[14:15], s[16:17]
	v_cndmask_b32_e64 v49, v56, v54, s[14:15]
	s_barrier
	ds_write_b8 v1, v48
	v_lshrrev_b16_e32 v48, 8, v48
	ds_write_b8 v1, v48 offset:1
	s_waitcnt lgkmcnt(0)
	s_barrier
	ds_read_u8 v48, v50
	ds_read_u8 v49, v49
	v_cndmask_b32_e64 v51, v52, v55, s[14:15]
	s_waitcnt lgkmcnt(0)
	s_barrier
	ds_write_b8 v1, v53
	ds_write_b8 v1, v51 offset:1
	v_mov_b32_e32 v51, v26
	s_waitcnt lgkmcnt(0)
	s_barrier
	s_and_saveexec_b64 s[16:17], s[0:1]
	s_cbranch_execz .LBB63_14
; %bb.11:                               ;   in Loop: Header=BB63_2 Depth=1
	s_mov_b64 s[18:19], 0
	v_mov_b32_e32 v51, v26
	v_mov_b32_e32 v50, v27
.LBB63_12:                              ;   Parent Loop BB63_2 Depth=1
                                        ; =>  This Inner Loop Header: Depth=2
	v_sub_u32_e32 v52, v50, v51
	v_lshrrev_b32_e32 v52, 1, v52
	v_add_u32_e32 v52, v52, v51
	v_add_u32_e32 v53, v5, v52
	v_xad_u32 v54, v52, -1, v28
	ds_read_i8 v53, v53
	ds_read_i8 v54, v54
	v_add_u32_e32 v55, 1, v52
	s_waitcnt lgkmcnt(0)
	v_cmp_lt_i16_e64 s[14:15], v54, v53
	v_cndmask_b32_e64 v50, v50, v52, s[14:15]
	v_cndmask_b32_e64 v51, v55, v51, s[14:15]
	v_cmp_ge_i32_e64 s[14:15], v51, v50
	s_or_b64 s[18:19], s[14:15], s[18:19]
	s_andn2_b64 exec, exec, s[18:19]
	s_cbranch_execnz .LBB63_12
; %bb.13:                               ;   in Loop: Header=BB63_2 Depth=1
	s_or_b64 exec, exec, s[18:19]
.LBB63_14:                              ;   in Loop: Header=BB63_2 Depth=1
	s_or_b64 exec, exec, s[16:17]
	v_add_u32_e32 v50, v51, v5
	v_sub_u32_e32 v51, v28, v51
	ds_read_u8 v52, v50
	ds_read_u8 v54, v51
	v_cmp_le_i32_e64 s[16:17], v6, v50
	v_cmp_gt_i32_e64 s[14:15], v7, v51
	s_waitcnt lgkmcnt(1)
	v_bfe_i32 v53, v52, 0, 8
	s_waitcnt lgkmcnt(0)
	v_bfe_i32 v54, v54, 0, 8
	v_cmp_lt_i16_e64 s[18:19], v54, v53
	s_or_b64 s[16:17], s[16:17], s[18:19]
	s_and_b64 s[14:15], s[14:15], s[16:17]
	s_xor_b64 s[16:17], s[14:15], -1
                                        ; implicit-def: $vgpr52
	s_and_saveexec_b64 s[18:19], s[16:17]
	s_xor_b64 s[16:17], exec, s[18:19]
; %bb.15:                               ;   in Loop: Header=BB63_2 Depth=1
	ds_read_u8 v52, v50 offset:1
; %bb.16:                               ;   in Loop: Header=BB63_2 Depth=1
	s_or_saveexec_b64 s[16:17], s[16:17]
	v_mov_b32_e32 v55, v54
	s_xor_b64 exec, exec, s[16:17]
	s_cbranch_execz .LBB63_18
; %bb.17:                               ;   in Loop: Header=BB63_2 Depth=1
	ds_read_u8 v55, v51 offset:1
	s_waitcnt lgkmcnt(1)
	v_mov_b32_e32 v52, v53
.LBB63_18:                              ;   in Loop: Header=BB63_2 Depth=1
	s_or_b64 exec, exec, s[16:17]
	v_add_u32_e32 v56, 1, v50
	v_cndmask_b32_e64 v53, v53, v54, s[14:15]
	v_add_u32_e32 v54, 1, v51
	v_cndmask_b32_e64 v56, v56, v50, s[14:15]
	v_cndmask_b32_e64 v54, v51, v54, s[14:15]
	v_cmp_ge_i32_e64 s[16:17], v56, v6
	s_waitcnt lgkmcnt(0)
	v_cmp_lt_i16_sdwa s[18:19], sext(v55), sext(v52) src0_sel:BYTE_0 src1_sel:BYTE_0
	v_cndmask_b32_e64 v50, v50, v51, s[14:15]
	v_cmp_lt_i32_e64 s[14:15], v54, v7
	s_or_b64 s[16:17], s[16:17], s[18:19]
	s_and_b64 s[14:15], s[14:15], s[16:17]
	v_cndmask_b32_e64 v51, v52, v55, s[14:15]
	v_cndmask_b32_e64 v52, v56, v54, s[14:15]
	s_barrier
	ds_write_b8 v1, v48
	ds_write_b8 v1, v49 offset:1
	s_waitcnt lgkmcnt(0)
	s_barrier
	ds_read_u8 v48, v50
	ds_read_u8 v49, v52
	s_waitcnt lgkmcnt(0)
	s_barrier
	ds_write_b8 v1, v53
	ds_write_b8 v1, v51 offset:1
	v_mov_b32_e32 v51, v29
	s_waitcnt lgkmcnt(0)
	s_barrier
	s_and_saveexec_b64 s[16:17], s[2:3]
	s_cbranch_execz .LBB63_22
; %bb.19:                               ;   in Loop: Header=BB63_2 Depth=1
	s_mov_b64 s[18:19], 0
	v_mov_b32_e32 v51, v29
	v_mov_b32_e32 v50, v30
.LBB63_20:                              ;   Parent Loop BB63_2 Depth=1
                                        ; =>  This Inner Loop Header: Depth=2
	v_sub_u32_e32 v52, v50, v51
	v_lshrrev_b32_e32 v52, 1, v52
	v_add_u32_e32 v52, v52, v51
	v_add_u32_e32 v53, v8, v52
	v_xad_u32 v54, v52, -1, v31
	ds_read_i8 v53, v53
	ds_read_i8 v54, v54
	v_add_u32_e32 v55, 1, v52
	s_waitcnt lgkmcnt(0)
	v_cmp_lt_i16_e64 s[14:15], v54, v53
	v_cndmask_b32_e64 v50, v50, v52, s[14:15]
	v_cndmask_b32_e64 v51, v55, v51, s[14:15]
	v_cmp_ge_i32_e64 s[14:15], v51, v50
	s_or_b64 s[18:19], s[14:15], s[18:19]
	s_andn2_b64 exec, exec, s[18:19]
	s_cbranch_execnz .LBB63_20
; %bb.21:                               ;   in Loop: Header=BB63_2 Depth=1
	s_or_b64 exec, exec, s[18:19]
.LBB63_22:                              ;   in Loop: Header=BB63_2 Depth=1
	s_or_b64 exec, exec, s[16:17]
	v_add_u32_e32 v50, v51, v8
	v_sub_u32_e32 v51, v31, v51
	ds_read_u8 v52, v50
	ds_read_u8 v54, v51
	v_cmp_le_i32_e64 s[16:17], v9, v50
	v_cmp_gt_i32_e64 s[14:15], v10, v51
	s_waitcnt lgkmcnt(1)
	v_bfe_i32 v53, v52, 0, 8
	s_waitcnt lgkmcnt(0)
	v_bfe_i32 v54, v54, 0, 8
	v_cmp_lt_i16_e64 s[18:19], v54, v53
	s_or_b64 s[16:17], s[16:17], s[18:19]
	s_and_b64 s[14:15], s[14:15], s[16:17]
	s_xor_b64 s[16:17], s[14:15], -1
                                        ; implicit-def: $vgpr52
	s_and_saveexec_b64 s[18:19], s[16:17]
	s_xor_b64 s[16:17], exec, s[18:19]
; %bb.23:                               ;   in Loop: Header=BB63_2 Depth=1
	ds_read_u8 v52, v50 offset:1
; %bb.24:                               ;   in Loop: Header=BB63_2 Depth=1
	s_or_saveexec_b64 s[16:17], s[16:17]
	v_mov_b32_e32 v55, v54
	s_xor_b64 exec, exec, s[16:17]
	s_cbranch_execz .LBB63_26
; %bb.25:                               ;   in Loop: Header=BB63_2 Depth=1
	ds_read_u8 v55, v51 offset:1
	s_waitcnt lgkmcnt(1)
	v_mov_b32_e32 v52, v53
.LBB63_26:                              ;   in Loop: Header=BB63_2 Depth=1
	s_or_b64 exec, exec, s[16:17]
	v_add_u32_e32 v56, 1, v50
	v_cndmask_b32_e64 v53, v53, v54, s[14:15]
	v_add_u32_e32 v54, 1, v51
	v_cndmask_b32_e64 v56, v56, v50, s[14:15]
	v_cndmask_b32_e64 v54, v51, v54, s[14:15]
	v_cmp_ge_i32_e64 s[16:17], v56, v9
	s_waitcnt lgkmcnt(0)
	v_cmp_lt_i16_sdwa s[18:19], sext(v55), sext(v52) src0_sel:BYTE_0 src1_sel:BYTE_0
	v_cndmask_b32_e64 v50, v50, v51, s[14:15]
	v_cmp_lt_i32_e64 s[14:15], v54, v10
	s_or_b64 s[16:17], s[16:17], s[18:19]
	s_and_b64 s[14:15], s[14:15], s[16:17]
	v_cndmask_b32_e64 v51, v52, v55, s[14:15]
	v_cndmask_b32_e64 v52, v56, v54, s[14:15]
	s_barrier
	ds_write_b8 v1, v48
	ds_write_b8 v1, v49 offset:1
	s_waitcnt lgkmcnt(0)
	s_barrier
	ds_read_u8 v48, v50
	ds_read_u8 v49, v52
	s_waitcnt lgkmcnt(0)
	s_barrier
	ds_write_b8 v1, v53
	ds_write_b8 v1, v51 offset:1
	v_mov_b32_e32 v51, v32
	s_waitcnt lgkmcnt(0)
	s_barrier
	s_and_saveexec_b64 s[16:17], s[4:5]
	s_cbranch_execz .LBB63_30
; %bb.27:                               ;   in Loop: Header=BB63_2 Depth=1
	s_mov_b64 s[18:19], 0
	v_mov_b32_e32 v51, v32
	v_mov_b32_e32 v50, v33
.LBB63_28:                              ;   Parent Loop BB63_2 Depth=1
                                        ; =>  This Inner Loop Header: Depth=2
	v_sub_u32_e32 v52, v50, v51
	v_lshrrev_b32_e32 v52, 1, v52
	v_add_u32_e32 v52, v52, v51
	v_add_u32_e32 v53, v11, v52
	v_xad_u32 v54, v52, -1, v34
	ds_read_i8 v53, v53
	ds_read_i8 v54, v54
	v_add_u32_e32 v55, 1, v52
	s_waitcnt lgkmcnt(0)
	v_cmp_lt_i16_e64 s[14:15], v54, v53
	v_cndmask_b32_e64 v50, v50, v52, s[14:15]
	v_cndmask_b32_e64 v51, v55, v51, s[14:15]
	v_cmp_ge_i32_e64 s[14:15], v51, v50
	s_or_b64 s[18:19], s[14:15], s[18:19]
	s_andn2_b64 exec, exec, s[18:19]
	s_cbranch_execnz .LBB63_28
; %bb.29:                               ;   in Loop: Header=BB63_2 Depth=1
	s_or_b64 exec, exec, s[18:19]
.LBB63_30:                              ;   in Loop: Header=BB63_2 Depth=1
	s_or_b64 exec, exec, s[16:17]
	v_add_u32_e32 v50, v51, v11
	v_sub_u32_e32 v51, v34, v51
	ds_read_u8 v52, v50
	ds_read_u8 v54, v51
	v_cmp_le_i32_e64 s[16:17], v12, v50
	v_cmp_gt_i32_e64 s[14:15], v13, v51
	s_waitcnt lgkmcnt(1)
	v_bfe_i32 v53, v52, 0, 8
	s_waitcnt lgkmcnt(0)
	v_bfe_i32 v54, v54, 0, 8
	v_cmp_lt_i16_e64 s[18:19], v54, v53
	s_or_b64 s[16:17], s[16:17], s[18:19]
	s_and_b64 s[14:15], s[14:15], s[16:17]
	s_xor_b64 s[16:17], s[14:15], -1
                                        ; implicit-def: $vgpr52
	s_and_saveexec_b64 s[18:19], s[16:17]
	s_xor_b64 s[16:17], exec, s[18:19]
; %bb.31:                               ;   in Loop: Header=BB63_2 Depth=1
	ds_read_u8 v52, v50 offset:1
; %bb.32:                               ;   in Loop: Header=BB63_2 Depth=1
	s_or_saveexec_b64 s[16:17], s[16:17]
	v_mov_b32_e32 v55, v54
	s_xor_b64 exec, exec, s[16:17]
	s_cbranch_execz .LBB63_34
; %bb.33:                               ;   in Loop: Header=BB63_2 Depth=1
	ds_read_u8 v55, v51 offset:1
	s_waitcnt lgkmcnt(1)
	v_mov_b32_e32 v52, v53
.LBB63_34:                              ;   in Loop: Header=BB63_2 Depth=1
	s_or_b64 exec, exec, s[16:17]
	v_add_u32_e32 v56, 1, v50
	v_cndmask_b32_e64 v53, v53, v54, s[14:15]
	v_add_u32_e32 v54, 1, v51
	v_cndmask_b32_e64 v56, v56, v50, s[14:15]
	v_cndmask_b32_e64 v54, v51, v54, s[14:15]
	v_cmp_ge_i32_e64 s[16:17], v56, v12
	s_waitcnt lgkmcnt(0)
	v_cmp_lt_i16_sdwa s[18:19], sext(v55), sext(v52) src0_sel:BYTE_0 src1_sel:BYTE_0
	v_cndmask_b32_e64 v50, v50, v51, s[14:15]
	v_cmp_lt_i32_e64 s[14:15], v54, v13
	s_or_b64 s[16:17], s[16:17], s[18:19]
	s_and_b64 s[14:15], s[14:15], s[16:17]
	v_cndmask_b32_e64 v51, v52, v55, s[14:15]
	v_cndmask_b32_e64 v52, v56, v54, s[14:15]
	s_barrier
	ds_write_b8 v1, v48
	ds_write_b8 v1, v49 offset:1
	s_waitcnt lgkmcnt(0)
	s_barrier
	ds_read_u8 v48, v50
	ds_read_u8 v49, v52
	s_waitcnt lgkmcnt(0)
	s_barrier
	ds_write_b8 v1, v53
	ds_write_b8 v1, v51 offset:1
	v_mov_b32_e32 v51, v35
	s_waitcnt lgkmcnt(0)
	s_barrier
	s_and_saveexec_b64 s[16:17], s[6:7]
	s_cbranch_execz .LBB63_38
; %bb.35:                               ;   in Loop: Header=BB63_2 Depth=1
	s_mov_b64 s[18:19], 0
	v_mov_b32_e32 v51, v35
	v_mov_b32_e32 v50, v36
.LBB63_36:                              ;   Parent Loop BB63_2 Depth=1
                                        ; =>  This Inner Loop Header: Depth=2
	v_sub_u32_e32 v52, v50, v51
	v_lshrrev_b32_e32 v52, 1, v52
	v_add_u32_e32 v52, v52, v51
	v_add_u32_e32 v53, v14, v52
	v_xad_u32 v54, v52, -1, v37
	ds_read_i8 v53, v53
	ds_read_i8 v54, v54
	v_add_u32_e32 v55, 1, v52
	s_waitcnt lgkmcnt(0)
	v_cmp_lt_i16_e64 s[14:15], v54, v53
	v_cndmask_b32_e64 v50, v50, v52, s[14:15]
	v_cndmask_b32_e64 v51, v55, v51, s[14:15]
	v_cmp_ge_i32_e64 s[14:15], v51, v50
	s_or_b64 s[18:19], s[14:15], s[18:19]
	s_andn2_b64 exec, exec, s[18:19]
	s_cbranch_execnz .LBB63_36
; %bb.37:                               ;   in Loop: Header=BB63_2 Depth=1
	s_or_b64 exec, exec, s[18:19]
.LBB63_38:                              ;   in Loop: Header=BB63_2 Depth=1
	s_or_b64 exec, exec, s[16:17]
	v_add_u32_e32 v50, v51, v14
	v_sub_u32_e32 v51, v37, v51
	ds_read_u8 v52, v50
	ds_read_u8 v54, v51
	v_cmp_le_i32_e64 s[16:17], v15, v50
	v_cmp_gt_i32_e64 s[14:15], v16, v51
	s_waitcnt lgkmcnt(1)
	v_bfe_i32 v53, v52, 0, 8
	s_waitcnt lgkmcnt(0)
	v_bfe_i32 v54, v54, 0, 8
	v_cmp_lt_i16_e64 s[18:19], v54, v53
	s_or_b64 s[16:17], s[16:17], s[18:19]
	s_and_b64 s[14:15], s[14:15], s[16:17]
	s_xor_b64 s[16:17], s[14:15], -1
                                        ; implicit-def: $vgpr52
	s_and_saveexec_b64 s[18:19], s[16:17]
	s_xor_b64 s[16:17], exec, s[18:19]
; %bb.39:                               ;   in Loop: Header=BB63_2 Depth=1
	ds_read_u8 v52, v50 offset:1
; %bb.40:                               ;   in Loop: Header=BB63_2 Depth=1
	s_or_saveexec_b64 s[16:17], s[16:17]
	v_mov_b32_e32 v55, v54
	s_xor_b64 exec, exec, s[16:17]
	s_cbranch_execz .LBB63_42
; %bb.41:                               ;   in Loop: Header=BB63_2 Depth=1
	ds_read_u8 v55, v51 offset:1
	s_waitcnt lgkmcnt(1)
	v_mov_b32_e32 v52, v53
.LBB63_42:                              ;   in Loop: Header=BB63_2 Depth=1
	s_or_b64 exec, exec, s[16:17]
	v_add_u32_e32 v56, 1, v50
	v_cndmask_b32_e64 v53, v53, v54, s[14:15]
	v_add_u32_e32 v54, 1, v51
	v_cndmask_b32_e64 v56, v56, v50, s[14:15]
	v_cndmask_b32_e64 v54, v51, v54, s[14:15]
	v_cmp_ge_i32_e64 s[16:17], v56, v15
	s_waitcnt lgkmcnt(0)
	v_cmp_lt_i16_sdwa s[18:19], sext(v55), sext(v52) src0_sel:BYTE_0 src1_sel:BYTE_0
	v_cndmask_b32_e64 v50, v50, v51, s[14:15]
	v_cmp_lt_i32_e64 s[14:15], v54, v16
	s_or_b64 s[16:17], s[16:17], s[18:19]
	s_and_b64 s[14:15], s[14:15], s[16:17]
	v_cndmask_b32_e64 v51, v52, v55, s[14:15]
	v_cndmask_b32_e64 v52, v56, v54, s[14:15]
	s_barrier
	ds_write_b8 v1, v48
	ds_write_b8 v1, v49 offset:1
	s_waitcnt lgkmcnt(0)
	s_barrier
	ds_read_u8 v48, v50
	ds_read_u8 v49, v52
	s_waitcnt lgkmcnt(0)
	s_barrier
	ds_write_b8 v1, v53
	ds_write_b8 v1, v51 offset:1
	v_mov_b32_e32 v51, v38
	s_waitcnt lgkmcnt(0)
	s_barrier
	s_and_saveexec_b64 s[16:17], s[8:9]
	s_cbranch_execz .LBB63_46
; %bb.43:                               ;   in Loop: Header=BB63_2 Depth=1
	s_mov_b64 s[18:19], 0
	v_mov_b32_e32 v51, v38
	v_mov_b32_e32 v50, v39
.LBB63_44:                              ;   Parent Loop BB63_2 Depth=1
                                        ; =>  This Inner Loop Header: Depth=2
	v_sub_u32_e32 v52, v50, v51
	v_lshrrev_b32_e32 v52, 1, v52
	v_add_u32_e32 v52, v52, v51
	v_add_u32_e32 v53, v17, v52
	v_xad_u32 v54, v52, -1, v40
	ds_read_i8 v53, v53
	ds_read_i8 v54, v54
	v_add_u32_e32 v55, 1, v52
	s_waitcnt lgkmcnt(0)
	v_cmp_lt_i16_e64 s[14:15], v54, v53
	v_cndmask_b32_e64 v50, v50, v52, s[14:15]
	v_cndmask_b32_e64 v51, v55, v51, s[14:15]
	v_cmp_ge_i32_e64 s[14:15], v51, v50
	s_or_b64 s[18:19], s[14:15], s[18:19]
	s_andn2_b64 exec, exec, s[18:19]
	s_cbranch_execnz .LBB63_44
; %bb.45:                               ;   in Loop: Header=BB63_2 Depth=1
	s_or_b64 exec, exec, s[18:19]
.LBB63_46:                              ;   in Loop: Header=BB63_2 Depth=1
	s_or_b64 exec, exec, s[16:17]
	v_add_u32_e32 v50, v51, v17
	v_sub_u32_e32 v51, v40, v51
	ds_read_u8 v52, v50
	ds_read_u8 v54, v51
	v_cmp_le_i32_e64 s[16:17], v18, v50
	v_cmp_gt_i32_e64 s[14:15], v19, v51
	s_waitcnt lgkmcnt(1)
	v_bfe_i32 v53, v52, 0, 8
	s_waitcnt lgkmcnt(0)
	v_bfe_i32 v54, v54, 0, 8
	v_cmp_lt_i16_e64 s[18:19], v54, v53
	s_or_b64 s[16:17], s[16:17], s[18:19]
	s_and_b64 s[14:15], s[14:15], s[16:17]
	s_xor_b64 s[16:17], s[14:15], -1
                                        ; implicit-def: $vgpr52
	s_and_saveexec_b64 s[18:19], s[16:17]
	s_xor_b64 s[16:17], exec, s[18:19]
; %bb.47:                               ;   in Loop: Header=BB63_2 Depth=1
	ds_read_u8 v52, v50 offset:1
; %bb.48:                               ;   in Loop: Header=BB63_2 Depth=1
	s_or_saveexec_b64 s[16:17], s[16:17]
	v_mov_b32_e32 v55, v54
	s_xor_b64 exec, exec, s[16:17]
	s_cbranch_execz .LBB63_50
; %bb.49:                               ;   in Loop: Header=BB63_2 Depth=1
	ds_read_u8 v55, v51 offset:1
	s_waitcnt lgkmcnt(1)
	v_mov_b32_e32 v52, v53
.LBB63_50:                              ;   in Loop: Header=BB63_2 Depth=1
	s_or_b64 exec, exec, s[16:17]
	v_add_u32_e32 v56, 1, v50
	v_cndmask_b32_e64 v53, v53, v54, s[14:15]
	v_add_u32_e32 v54, 1, v51
	v_cndmask_b32_e64 v56, v56, v50, s[14:15]
	v_cndmask_b32_e64 v54, v51, v54, s[14:15]
	v_cmp_ge_i32_e64 s[16:17], v56, v18
	s_waitcnt lgkmcnt(0)
	v_cmp_lt_i16_sdwa s[18:19], sext(v55), sext(v52) src0_sel:BYTE_0 src1_sel:BYTE_0
	v_cndmask_b32_e64 v50, v50, v51, s[14:15]
	v_cmp_lt_i32_e64 s[14:15], v54, v19
	s_or_b64 s[16:17], s[16:17], s[18:19]
	s_and_b64 s[14:15], s[14:15], s[16:17]
	v_cndmask_b32_e64 v51, v52, v55, s[14:15]
	v_cndmask_b32_e64 v52, v56, v54, s[14:15]
	s_barrier
	ds_write_b8 v1, v48
	ds_write_b8 v1, v49 offset:1
	s_waitcnt lgkmcnt(0)
	s_barrier
	ds_read_u8 v48, v50
	ds_read_u8 v49, v52
	s_waitcnt lgkmcnt(0)
	s_barrier
	ds_write_b8 v1, v53
	ds_write_b8 v1, v51 offset:1
	v_mov_b32_e32 v51, v41
	s_waitcnt lgkmcnt(0)
	s_barrier
	s_and_saveexec_b64 s[16:17], s[10:11]
	s_cbranch_execz .LBB63_54
; %bb.51:                               ;   in Loop: Header=BB63_2 Depth=1
	s_mov_b64 s[18:19], 0
	v_mov_b32_e32 v51, v41
	v_mov_b32_e32 v50, v42
.LBB63_52:                              ;   Parent Loop BB63_2 Depth=1
                                        ; =>  This Inner Loop Header: Depth=2
	v_sub_u32_e32 v52, v50, v51
	v_lshrrev_b32_e32 v52, 1, v52
	v_add_u32_e32 v52, v52, v51
	v_add_u32_e32 v53, v20, v52
	v_xad_u32 v54, v52, -1, v43
	ds_read_i8 v53, v53
	ds_read_i8 v54, v54
	v_add_u32_e32 v55, 1, v52
	s_waitcnt lgkmcnt(0)
	v_cmp_lt_i16_e64 s[14:15], v54, v53
	v_cndmask_b32_e64 v50, v50, v52, s[14:15]
	v_cndmask_b32_e64 v51, v55, v51, s[14:15]
	v_cmp_ge_i32_e64 s[14:15], v51, v50
	s_or_b64 s[18:19], s[14:15], s[18:19]
	s_andn2_b64 exec, exec, s[18:19]
	s_cbranch_execnz .LBB63_52
; %bb.53:                               ;   in Loop: Header=BB63_2 Depth=1
	s_or_b64 exec, exec, s[18:19]
.LBB63_54:                              ;   in Loop: Header=BB63_2 Depth=1
	s_or_b64 exec, exec, s[16:17]
	v_add_u32_e32 v50, v51, v20
	v_sub_u32_e32 v51, v43, v51
	ds_read_u8 v52, v50
	ds_read_u8 v54, v51
	v_cmp_le_i32_e64 s[16:17], v21, v50
	v_cmp_gt_i32_e64 s[14:15], v22, v51
	s_waitcnt lgkmcnt(1)
	v_bfe_i32 v53, v52, 0, 8
	s_waitcnt lgkmcnt(0)
	v_bfe_i32 v54, v54, 0, 8
	v_cmp_lt_i16_e64 s[18:19], v54, v53
	s_or_b64 s[16:17], s[16:17], s[18:19]
	s_and_b64 s[14:15], s[14:15], s[16:17]
	s_xor_b64 s[16:17], s[14:15], -1
                                        ; implicit-def: $vgpr52
	s_and_saveexec_b64 s[18:19], s[16:17]
	s_xor_b64 s[16:17], exec, s[18:19]
; %bb.55:                               ;   in Loop: Header=BB63_2 Depth=1
	ds_read_u8 v52, v50 offset:1
; %bb.56:                               ;   in Loop: Header=BB63_2 Depth=1
	s_or_saveexec_b64 s[16:17], s[16:17]
	v_mov_b32_e32 v55, v54
	s_xor_b64 exec, exec, s[16:17]
	s_cbranch_execz .LBB63_58
; %bb.57:                               ;   in Loop: Header=BB63_2 Depth=1
	ds_read_u8 v55, v51 offset:1
	s_waitcnt lgkmcnt(1)
	v_mov_b32_e32 v52, v53
.LBB63_58:                              ;   in Loop: Header=BB63_2 Depth=1
	s_or_b64 exec, exec, s[16:17]
	v_add_u32_e32 v56, 1, v50
	v_cndmask_b32_e64 v53, v53, v54, s[14:15]
	v_add_u32_e32 v54, 1, v51
	v_cndmask_b32_e64 v56, v56, v50, s[14:15]
	v_cndmask_b32_e64 v54, v51, v54, s[14:15]
	v_cmp_ge_i32_e64 s[16:17], v56, v21
	s_waitcnt lgkmcnt(0)
	v_cmp_lt_i16_sdwa s[18:19], sext(v55), sext(v52) src0_sel:BYTE_0 src1_sel:BYTE_0
	v_cndmask_b32_e64 v50, v50, v51, s[14:15]
	v_cmp_lt_i32_e64 s[14:15], v54, v22
	s_or_b64 s[16:17], s[16:17], s[18:19]
	s_and_b64 s[14:15], s[14:15], s[16:17]
	v_cndmask_b32_e64 v51, v52, v55, s[14:15]
	v_cndmask_b32_e64 v52, v56, v54, s[14:15]
	s_barrier
	ds_write_b8 v1, v48
	ds_write_b8 v1, v49 offset:1
	s_waitcnt lgkmcnt(0)
	s_barrier
	ds_read_u8 v48, v50
	ds_read_u8 v49, v52
	v_mov_b32_e32 v50, v45
	s_waitcnt lgkmcnt(0)
	s_barrier
	ds_write_b8 v1, v53
	ds_write_b8 v1, v51 offset:1
	s_waitcnt lgkmcnt(0)
	s_barrier
	s_and_saveexec_b64 s[16:17], s[12:13]
	s_cbranch_execz .LBB63_62
; %bb.59:                               ;   in Loop: Header=BB63_2 Depth=1
	s_mov_b64 s[18:19], 0
	v_mov_b32_e32 v50, v45
	v_mov_b32_e32 v51, v46
.LBB63_60:                              ;   Parent Loop BB63_2 Depth=1
                                        ; =>  This Inner Loop Header: Depth=2
	v_sub_u32_e32 v52, v51, v50
	v_lshrrev_b32_e32 v52, 1, v52
	v_add_u32_e32 v52, v52, v50
	v_xad_u32 v53, v52, -1, v47
	ds_read_i8 v54, v52
	ds_read_i8 v53, v53
	v_add_u32_e32 v55, 1, v52
	s_waitcnt lgkmcnt(0)
	v_cmp_lt_i16_e64 s[14:15], v53, v54
	v_cndmask_b32_e64 v51, v51, v52, s[14:15]
	v_cndmask_b32_e64 v50, v55, v50, s[14:15]
	v_cmp_ge_i32_e64 s[14:15], v50, v51
	s_or_b64 s[18:19], s[14:15], s[18:19]
	s_andn2_b64 exec, exec, s[18:19]
	s_cbranch_execnz .LBB63_60
; %bb.61:                               ;   in Loop: Header=BB63_2 Depth=1
	s_or_b64 exec, exec, s[18:19]
.LBB63_62:                              ;   in Loop: Header=BB63_2 Depth=1
	s_or_b64 exec, exec, s[16:17]
	v_sub_u32_e32 v53, v47, v50
	ds_read_u8 v51, v50
	ds_read_u8 v52, v53
	v_cmp_le_i32_e64 s[16:17], v44, v50
	v_cmp_gt_i32_e64 s[14:15], s27, v53
                                        ; implicit-def: $vgpr55
                                        ; implicit-def: $vgpr54
	s_waitcnt lgkmcnt(1)
	v_bfe_i32 v51, v51, 0, 8
	s_waitcnt lgkmcnt(0)
	v_bfe_i32 v52, v52, 0, 8
	v_cmp_lt_i16_e64 s[18:19], v52, v51
	s_or_b64 s[16:17], s[16:17], s[18:19]
	s_and_b64 s[14:15], s[14:15], s[16:17]
	s_xor_b64 s[16:17], s[14:15], -1
	s_and_saveexec_b64 s[18:19], s[16:17]
	s_xor_b64 s[16:17], exec, s[18:19]
; %bb.63:                               ;   in Loop: Header=BB63_2 Depth=1
	ds_read_u8 v55, v50 offset:1
	v_add_u32_e32 v54, 1, v50
; %bb.64:                               ;   in Loop: Header=BB63_2 Depth=1
	s_or_saveexec_b64 s[16:17], s[16:17]
	v_mov_b32_e32 v56, v50
	v_mov_b32_e32 v57, v52
	s_xor_b64 exec, exec, s[16:17]
	s_cbranch_execz .LBB63_1
; %bb.65:                               ;   in Loop: Header=BB63_2 Depth=1
	ds_read_u8 v57, v53 offset:1
	s_waitcnt lgkmcnt(1)
	v_add_u32_e32 v55, 1, v53
	v_mov_b32_e32 v56, v53
	v_mov_b32_e32 v54, v50
	v_mov_b32_e32 v53, v55
	v_mov_b32_e32 v55, v51
	s_branch .LBB63_1
.LBB63_66:
	s_add_u32 s0, s22, s24
	s_addc_u32 s1, s23, 0
	v_mov_b32_e32 v1, s1
	v_add_co_u32_e32 v0, vcc, s0, v0
	s_waitcnt lgkmcnt(1)
	v_add_u16_e32 v2, v51, v48
	v_addc_co_u32_e32 v1, vcc, 0, v1, vcc
	s_waitcnt lgkmcnt(0)
	v_add_u16_e32 v3, v50, v49
	global_store_byte v[0:1], v2, off
	global_store_byte v[0:1], v3, off offset:256
	s_endpgm
	.section	.rodata,"a",@progbits
	.p2align	6, 0x0
	.amdhsa_kernel _Z17sort_pairs_kernelIaLj256ELj2EN10test_utils4lessELj10EEvPKT_PS2_T2_
		.amdhsa_group_segment_fixed_size 513
		.amdhsa_private_segment_fixed_size 0
		.amdhsa_kernarg_size 20
		.amdhsa_user_sgpr_count 6
		.amdhsa_user_sgpr_private_segment_buffer 1
		.amdhsa_user_sgpr_dispatch_ptr 0
		.amdhsa_user_sgpr_queue_ptr 0
		.amdhsa_user_sgpr_kernarg_segment_ptr 1
		.amdhsa_user_sgpr_dispatch_id 0
		.amdhsa_user_sgpr_flat_scratch_init 0
		.amdhsa_user_sgpr_private_segment_size 0
		.amdhsa_uses_dynamic_stack 0
		.amdhsa_system_sgpr_private_segment_wavefront_offset 0
		.amdhsa_system_sgpr_workgroup_id_x 1
		.amdhsa_system_sgpr_workgroup_id_y 0
		.amdhsa_system_sgpr_workgroup_id_z 0
		.amdhsa_system_sgpr_workgroup_info 0
		.amdhsa_system_vgpr_workitem_id 0
		.amdhsa_next_free_vgpr 58
		.amdhsa_next_free_sgpr 28
		.amdhsa_reserve_vcc 1
		.amdhsa_reserve_flat_scratch 0
		.amdhsa_float_round_mode_32 0
		.amdhsa_float_round_mode_16_64 0
		.amdhsa_float_denorm_mode_32 3
		.amdhsa_float_denorm_mode_16_64 3
		.amdhsa_dx10_clamp 1
		.amdhsa_ieee_mode 1
		.amdhsa_fp16_overflow 0
		.amdhsa_exception_fp_ieee_invalid_op 0
		.amdhsa_exception_fp_denorm_src 0
		.amdhsa_exception_fp_ieee_div_zero 0
		.amdhsa_exception_fp_ieee_overflow 0
		.amdhsa_exception_fp_ieee_underflow 0
		.amdhsa_exception_fp_ieee_inexact 0
		.amdhsa_exception_int_div_zero 0
	.end_amdhsa_kernel
	.section	.text._Z17sort_pairs_kernelIaLj256ELj2EN10test_utils4lessELj10EEvPKT_PS2_T2_,"axG",@progbits,_Z17sort_pairs_kernelIaLj256ELj2EN10test_utils4lessELj10EEvPKT_PS2_T2_,comdat
.Lfunc_end63:
	.size	_Z17sort_pairs_kernelIaLj256ELj2EN10test_utils4lessELj10EEvPKT_PS2_T2_, .Lfunc_end63-_Z17sort_pairs_kernelIaLj256ELj2EN10test_utils4lessELj10EEvPKT_PS2_T2_
                                        ; -- End function
	.set _Z17sort_pairs_kernelIaLj256ELj2EN10test_utils4lessELj10EEvPKT_PS2_T2_.num_vgpr, 58
	.set _Z17sort_pairs_kernelIaLj256ELj2EN10test_utils4lessELj10EEvPKT_PS2_T2_.num_agpr, 0
	.set _Z17sort_pairs_kernelIaLj256ELj2EN10test_utils4lessELj10EEvPKT_PS2_T2_.numbered_sgpr, 28
	.set _Z17sort_pairs_kernelIaLj256ELj2EN10test_utils4lessELj10EEvPKT_PS2_T2_.num_named_barrier, 0
	.set _Z17sort_pairs_kernelIaLj256ELj2EN10test_utils4lessELj10EEvPKT_PS2_T2_.private_seg_size, 0
	.set _Z17sort_pairs_kernelIaLj256ELj2EN10test_utils4lessELj10EEvPKT_PS2_T2_.uses_vcc, 1
	.set _Z17sort_pairs_kernelIaLj256ELj2EN10test_utils4lessELj10EEvPKT_PS2_T2_.uses_flat_scratch, 0
	.set _Z17sort_pairs_kernelIaLj256ELj2EN10test_utils4lessELj10EEvPKT_PS2_T2_.has_dyn_sized_stack, 0
	.set _Z17sort_pairs_kernelIaLj256ELj2EN10test_utils4lessELj10EEvPKT_PS2_T2_.has_recursion, 0
	.set _Z17sort_pairs_kernelIaLj256ELj2EN10test_utils4lessELj10EEvPKT_PS2_T2_.has_indirect_call, 0
	.section	.AMDGPU.csdata,"",@progbits
; Kernel info:
; codeLenInByte = 4120
; TotalNumSgprs: 32
; NumVgprs: 58
; ScratchSize: 0
; MemoryBound: 0
; FloatMode: 240
; IeeeMode: 1
; LDSByteSize: 513 bytes/workgroup (compile time only)
; SGPRBlocks: 3
; VGPRBlocks: 14
; NumSGPRsForWavesPerEU: 32
; NumVGPRsForWavesPerEU: 58
; Occupancy: 4
; WaveLimiterHint : 1
; COMPUTE_PGM_RSRC2:SCRATCH_EN: 0
; COMPUTE_PGM_RSRC2:USER_SGPR: 6
; COMPUTE_PGM_RSRC2:TRAP_HANDLER: 0
; COMPUTE_PGM_RSRC2:TGID_X_EN: 1
; COMPUTE_PGM_RSRC2:TGID_Y_EN: 0
; COMPUTE_PGM_RSRC2:TGID_Z_EN: 0
; COMPUTE_PGM_RSRC2:TIDIG_COMP_CNT: 0
	.section	.text._Z16sort_keys_kernelIaLj256ELj3EN10test_utils4lessELj10EEvPKT_PS2_T2_,"axG",@progbits,_Z16sort_keys_kernelIaLj256ELj3EN10test_utils4lessELj10EEvPKT_PS2_T2_,comdat
	.protected	_Z16sort_keys_kernelIaLj256ELj3EN10test_utils4lessELj10EEvPKT_PS2_T2_ ; -- Begin function _Z16sort_keys_kernelIaLj256ELj3EN10test_utils4lessELj10EEvPKT_PS2_T2_
	.globl	_Z16sort_keys_kernelIaLj256ELj3EN10test_utils4lessELj10EEvPKT_PS2_T2_
	.p2align	8
	.type	_Z16sort_keys_kernelIaLj256ELj3EN10test_utils4lessELj10EEvPKT_PS2_T2_,@function
_Z16sort_keys_kernelIaLj256ELj3EN10test_utils4lessELj10EEvPKT_PS2_T2_: ; @_Z16sort_keys_kernelIaLj256ELj3EN10test_utils4lessELj10EEvPKT_PS2_T2_
; %bb.0:
	s_load_dwordx4 s[20:23], s[4:5], 0x0
	s_mul_i32 s24, s6, 0x300
	v_and_b32_e32 v1, 0xfe, v0
	v_and_b32_e32 v2, 1, v0
	;; [unrolled: 1-line block ×3, first 2 shown]
	s_waitcnt lgkmcnt(0)
	s_add_u32 s0, s20, s24
	s_addc_u32 s1, s21, 0
	global_load_ubyte v23, v0, s[0:1] offset:256
	global_load_ubyte v24, v0, s[0:1] offset:512
	global_load_ubyte v25, v0, s[0:1]
	s_mov_b32 s0, 0xc0c0004
	v_and_b32_e32 v4, 0xf8, v0
	v_and_b32_e32 v5, 0xf0, v0
	;; [unrolled: 1-line block ×5, first 2 shown]
	v_mul_u32_u24_e32 v27, 3, v1
	v_cmp_eq_u32_e32 vcc, 1, v2
	v_mul_u32_u24_e32 v2, 3, v3
	v_mul_u32_u24_e32 v3, 3, v4
	;; [unrolled: 1-line block ×5, first 2 shown]
	v_min_u32_e32 v30, 0x2fd, v27
	v_min_u32_e32 v7, 0x2fa, v27
	;; [unrolled: 1-line block ×17, first 2 shown]
	v_add_u32_e32 v6, 3, v30
	v_add_u32_e32 v7, 6, v7
	v_and_b32_e32 v34, 3, v0
	v_and_b32_e32 v37, 7, v0
	;; [unrolled: 1-line block ×5, first 2 shown]
	v_cndmask_b32_e64 v31, 0, 3, vcc
	v_add_u32_e32 v8, 6, v33
	v_add_u32_e32 v9, 12, v9
	;; [unrolled: 1-line block ×10, first 2 shown]
	v_sub_u32_e32 v32, v7, v6
	v_and_b32_e32 v58, 0x7f, v0
	v_mul_u32_u24_e32 v28, 3, v34
	v_mul_u32_u24_e32 v29, 3, v37
	;; [unrolled: 1-line block ×5, first 2 shown]
	v_sub_u32_e32 v18, v8, v1
	v_sub_u32_e32 v35, v9, v8
	;; [unrolled: 1-line block ×8, first 2 shown]
	v_mul_u32_u24_e32 v59, 3, v58
	v_cmp_ge_i32_e32 vcc, v31, v32
	v_min_u32_e32 v27, 0x300, v27
	v_sub_u32_e32 v20, v13, v3
	v_sub_u32_e32 v21, v15, v4
	;; [unrolled: 1-line block ×4, first 2 shown]
	v_min_i32_e32 v18, v28, v18
	v_sub_u32_e32 v53, v29, v47
	v_min_i32_e32 v19, v29, v19
	v_sub_u32_e32 v55, v38, v48
	v_sub_u32_e32 v56, v41, v49
	;; [unrolled: 1-line block ×3, first 2 shown]
	v_cmp_ge_i32_e64 s[2:3], v29, v47
	v_sub_u32_e32 v29, v6, v27
	v_cmp_ge_i32_e64 s[4:5], v38, v48
	s_waitcnt vmcnt(0)
	v_perm_b32 v23, v25, v23, s0
	v_mul_u32_u24_e32 v25, 3, v26
	v_lshl_or_b32 v54, v24, 16, v23
	v_min_u32_e32 v23, 0x180, v25
	v_min_u32_e32 v60, 0x240, v25
	v_add_u32_e32 v23, 0x180, v23
	v_add_u32_e32 v24, 0xc0, v60
	v_sub_u32_e32 v61, v23, v24
	v_min_u32_e32 v25, 0x300, v25
	v_cmp_ge_i32_e64 s[0:1], v28, v35
	v_sub_u32_e32 v62, v59, v61
	v_sub_u32_e32 v26, v24, v25
	v_cndmask_b32_e32 v28, 0, v51, vcc
	v_cmp_ge_i32_e64 s[6:7], v41, v49
	v_cmp_ge_i32_e64 s[8:9], v44, v50
	;; [unrolled: 1-line block ×3, first 2 shown]
	v_mul_u32_u24_e32 v50, 3, v0
	v_mov_b32_e32 v51, 0x180
	v_min_i32_e32 v20, v38, v20
	v_min_i32_e32 v21, v41, v21
	;; [unrolled: 1-line block ×5, first 2 shown]
	v_cndmask_b32_e64 v32, 0, v52, s[0:1]
	v_cndmask_b32_e64 v35, 0, v53, s[2:3]
	;; [unrolled: 1-line block ×6, first 2 shown]
	v_sub_u32_e64 v52, v50, v51 clamp
	v_min_i32_e32 v53, 0x180, v50
	s_movk_i32 s20, 0x300
	s_mov_b32 s21, 0
	v_cmp_lt_i32_e32 vcc, v28, v29
	v_add_u32_e32 v30, v30, v31
	v_add_u32_e32 v31, v6, v31
	v_cmp_lt_i32_e64 s[0:1], v32, v18
	v_mad_u32_u24 v33, v34, 3, v33
	v_mad_u32_u24 v34, v34, 3, v8
	v_cmp_lt_i32_e64 s[2:3], v35, v19
	v_mad_u32_u24 v36, v37, 3, v36
	v_mad_u32_u24 v37, v37, 3, v10
	v_cmp_lt_i32_e64 s[4:5], v38, v20
	v_mad_u32_u24 v39, v40, 3, v39
	v_mad_u32_u24 v40, v40, 3, v13
	v_cmp_lt_i32_e64 s[6:7], v41, v21
	v_mad_u32_u24 v42, v43, 3, v42
	v_mad_u32_u24 v43, v43, 3, v15
	v_cmp_lt_i32_e64 s[8:9], v44, v22
	v_mad_u32_u24 v45, v46, 3, v45
	v_mad_u32_u24 v46, v46, 3, v17
	v_cmp_lt_i32_e64 s[10:11], v47, v26
	v_mad_u32_u24 v48, v58, 3, v60
	v_mad_u32_u24 v49, v58, 3, v24
	v_cmp_lt_i32_e64 s[12:13], v52, v53
	s_mov_b32 s25, 0x7060405
	s_mov_b32 s26, 0x7000604
	;; [unrolled: 1-line block ×3, first 2 shown]
	s_branch .LBB64_2
.LBB64_1:                               ;   in Loop: Header=BB64_2 Depth=1
	s_or_b64 exec, exec, s[18:19]
	v_cndmask_b32_e64 v55, v55, v56, s[14:15]
	v_cndmask_b32_e64 v56, v57, v58, s[16:17]
	v_cmp_ge_i32_e64 s[16:17], v60, v51
	s_waitcnt lgkmcnt(0)
	v_cmp_lt_i16_sdwa s[18:19], sext(v62), sext(v54) src0_sel:BYTE_0 src1_sel:BYTE_0
	v_cmp_gt_i32_e64 s[14:15], s20, v59
	s_or_b64 s[16:17], s[16:17], s[18:19]
	s_and_b64 s[14:15], s[14:15], s[16:17]
	v_cndmask_b32_e64 v57, v54, v62, s[14:15]
	v_lshlrev_b16_e32 v54, 8, v56
	v_and_b32_e32 v58, 0xff, v57
	v_or_b32_sdwa v54, v55, v54 dst_sel:DWORD dst_unused:UNUSED_PAD src0_sel:BYTE_0 src1_sel:DWORD
	v_lshlrev_b32_e32 v58, 16, v58
	s_add_i32 s21, s21, 1
	s_cmp_eq_u32 s21, 10
	v_or_b32_sdwa v54, v54, v58 dst_sel:DWORD dst_unused:UNUSED_PAD src0_sel:WORD_0 src1_sel:DWORD
	s_cbranch_scc1 .LBB64_98
.LBB64_2:                               ; =>This Loop Header: Depth=1
                                        ;     Child Loop BB64_4 Depth 2
                                        ;     Child Loop BB64_16 Depth 2
	;; [unrolled: 1-line block ×8, first 2 shown]
	v_lshrrev_b32_e32 v56, 8, v54
	v_perm_b32 v55, v54, v54, s25
	v_cmp_lt_i16_sdwa s[14:15], sext(v56), sext(v54) src0_sel:BYTE_0 src1_sel:BYTE_0
	v_cndmask_b32_e64 v55, v54, v55, s[14:15]
	v_lshrrev_b32_e32 v57, 16, v55
	v_min_i16_sdwa v58, sext(v56), sext(v54) dst_sel:DWORD dst_unused:UNUSED_PAD src0_sel:BYTE_0 src1_sel:BYTE_0
	v_max_i16_sdwa v54, sext(v56), sext(v54) dst_sel:DWORD dst_unused:UNUSED_PAD src0_sel:BYTE_0 src1_sel:BYTE_0
	v_perm_b32 v56, v55, v54, s26
	v_cmp_lt_i16_sdwa s[14:15], sext(v57), v54 src0_sel:BYTE_0 src1_sel:DWORD
	v_cndmask_b32_e64 v55, v55, v56, s[14:15]
	v_min_i16_sdwa v54, sext(v57), v54 dst_sel:DWORD dst_unused:UNUSED_PAD src0_sel:BYTE_0 src1_sel:DWORD
	v_lshlrev_b16_e32 v56, 8, v58
	v_or_b32_sdwa v54, v54, v56 dst_sel:DWORD dst_unused:UNUSED_PAD src0_sel:BYTE_0 src1_sel:DWORD
	v_and_b32_e32 v54, 0xffff, v54
	v_and_or_b32 v54, v55, s27, v54
	v_cmp_lt_i16_sdwa s[14:15], sext(v57), v58 src0_sel:BYTE_0 src1_sel:DWORD
	v_cndmask_b32_e64 v54, v55, v54, s[14:15]
	v_lshrrev_b32_e32 v55, 8, v54
	s_barrier
	ds_write_b8 v50, v54
	ds_write_b8 v50, v55 offset:1
	ds_write_b8_d16_hi v50, v54 offset:2
	v_mov_b32_e32 v54, v28
	s_waitcnt lgkmcnt(0)
	s_barrier
	s_and_saveexec_b64 s[16:17], vcc
	s_cbranch_execz .LBB64_6
; %bb.3:                                ;   in Loop: Header=BB64_2 Depth=1
	s_mov_b64 s[18:19], 0
	v_mov_b32_e32 v54, v28
	v_mov_b32_e32 v55, v29
.LBB64_4:                               ;   Parent Loop BB64_2 Depth=1
                                        ; =>  This Inner Loop Header: Depth=2
	v_sub_u32_e32 v56, v55, v54
	v_lshrrev_b32_e32 v56, 1, v56
	v_add_u32_e32 v56, v56, v54
	v_add_u32_e32 v57, v27, v56
	v_xad_u32 v58, v56, -1, v30
	ds_read_i8 v57, v57
	ds_read_i8 v58, v58 offset:3
	v_add_u32_e32 v59, 1, v56
	s_waitcnt lgkmcnt(0)
	v_cmp_lt_i16_e64 s[14:15], v58, v57
	v_cndmask_b32_e64 v55, v55, v56, s[14:15]
	v_cndmask_b32_e64 v54, v59, v54, s[14:15]
	v_cmp_ge_i32_e64 s[14:15], v54, v55
	s_or_b64 s[18:19], s[14:15], s[18:19]
	s_andn2_b64 exec, exec, s[18:19]
	s_cbranch_execnz .LBB64_4
; %bb.5:                                ;   in Loop: Header=BB64_2 Depth=1
	s_or_b64 exec, exec, s[18:19]
.LBB64_6:                               ;   in Loop: Header=BB64_2 Depth=1
	s_or_b64 exec, exec, s[16:17]
	v_add_u32_e32 v57, v54, v27
	v_sub_u32_e32 v60, v30, v54
	ds_read_u8 v55, v57
	ds_read_u8 v56, v60 offset:3
	v_sub_u32_e32 v59, v31, v54
	v_cmp_le_i32_e64 s[16:17], v6, v57
	v_cmp_gt_i32_e64 s[14:15], v7, v59
	s_waitcnt lgkmcnt(1)
	v_bfe_i32 v54, v55, 0, 8
	s_waitcnt lgkmcnt(0)
	v_bfe_i32 v55, v56, 0, 8
	v_cmp_lt_i16_e64 s[18:19], v55, v54
	s_or_b64 s[16:17], s[16:17], s[18:19]
	s_and_b64 s[14:15], s[14:15], s[16:17]
	s_xor_b64 s[16:17], s[14:15], -1
                                        ; implicit-def: $vgpr56
	s_and_saveexec_b64 s[18:19], s[16:17]
	s_xor_b64 s[16:17], exec, s[18:19]
; %bb.7:                                ;   in Loop: Header=BB64_2 Depth=1
	ds_read_u8 v56, v57 offset:1
                                        ; implicit-def: $vgpr60
; %bb.8:                                ;   in Loop: Header=BB64_2 Depth=1
	s_or_saveexec_b64 s[16:17], s[16:17]
	v_mov_b32_e32 v58, v55
	s_xor_b64 exec, exec, s[16:17]
	s_cbranch_execz .LBB64_10
; %bb.9:                                ;   in Loop: Header=BB64_2 Depth=1
	ds_read_u8 v58, v60 offset:4
	s_waitcnt lgkmcnt(1)
	v_mov_b32_e32 v56, v54
.LBB64_10:                              ;   in Loop: Header=BB64_2 Depth=1
	s_or_b64 exec, exec, s[16:17]
	v_add_u32_e32 v61, 1, v57
	v_add_u32_e32 v60, 1, v59
	v_cndmask_b32_e64 v57, v61, v57, s[14:15]
	v_cndmask_b32_e64 v59, v59, v60, s[14:15]
	v_cmp_ge_i32_e64 s[18:19], v57, v6
	s_waitcnt lgkmcnt(0)
	v_cmp_lt_i16_sdwa s[28:29], sext(v58), sext(v56) src0_sel:BYTE_0 src1_sel:BYTE_0
	v_cmp_lt_i32_e64 s[16:17], v59, v7
	s_or_b64 s[18:19], s[18:19], s[28:29]
	s_and_b64 s[16:17], s[16:17], s[18:19]
	s_xor_b64 s[18:19], s[16:17], -1
                                        ; implicit-def: $vgpr60
	s_and_saveexec_b64 s[28:29], s[18:19]
	s_xor_b64 s[18:19], exec, s[28:29]
; %bb.11:                               ;   in Loop: Header=BB64_2 Depth=1
	ds_read_u8 v60, v57 offset:1
; %bb.12:                               ;   in Loop: Header=BB64_2 Depth=1
	s_or_saveexec_b64 s[18:19], s[18:19]
	v_mov_b32_e32 v61, v58
	s_xor_b64 exec, exec, s[18:19]
	s_cbranch_execz .LBB64_14
; %bb.13:                               ;   in Loop: Header=BB64_2 Depth=1
	ds_read_u8 v61, v59 offset:1
	s_waitcnt lgkmcnt(1)
	v_mov_b32_e32 v60, v56
.LBB64_14:                              ;   in Loop: Header=BB64_2 Depth=1
	s_or_b64 exec, exec, s[18:19]
	v_add_u32_e32 v62, 1, v57
	v_cndmask_b32_e64 v56, v56, v58, s[16:17]
	v_add_u32_e32 v58, 1, v59
	v_cndmask_b32_e64 v57, v62, v57, s[16:17]
	v_cndmask_b32_e64 v58, v59, v58, s[16:17]
	v_cmp_ge_i32_e64 s[16:17], v57, v6
	s_waitcnt lgkmcnt(0)
	v_cmp_lt_i16_sdwa s[18:19], sext(v61), sext(v60) src0_sel:BYTE_0 src1_sel:BYTE_0
	v_cndmask_b32_e64 v54, v54, v55, s[14:15]
	v_cmp_lt_i32_e64 s[14:15], v58, v7
	s_or_b64 s[16:17], s[16:17], s[18:19]
	s_and_b64 s[14:15], s[14:15], s[16:17]
	v_cndmask_b32_e64 v55, v60, v61, s[14:15]
	s_barrier
	ds_write_b8 v50, v54
	ds_write_b8 v50, v56 offset:1
	ds_write_b8 v50, v55 offset:2
	v_mov_b32_e32 v54, v32
	s_waitcnt lgkmcnt(0)
	s_barrier
	s_and_saveexec_b64 s[16:17], s[0:1]
	s_cbranch_execz .LBB64_18
; %bb.15:                               ;   in Loop: Header=BB64_2 Depth=1
	s_mov_b64 s[18:19], 0
	v_mov_b32_e32 v54, v32
	v_mov_b32_e32 v55, v18
.LBB64_16:                              ;   Parent Loop BB64_2 Depth=1
                                        ; =>  This Inner Loop Header: Depth=2
	v_sub_u32_e32 v56, v55, v54
	v_lshrrev_b32_e32 v56, 1, v56
	v_add_u32_e32 v56, v56, v54
	v_add_u32_e32 v57, v1, v56
	v_xad_u32 v58, v56, -1, v33
	ds_read_i8 v57, v57
	ds_read_i8 v58, v58 offset:6
	v_add_u32_e32 v59, 1, v56
	s_waitcnt lgkmcnt(0)
	v_cmp_lt_i16_e64 s[14:15], v58, v57
	v_cndmask_b32_e64 v55, v55, v56, s[14:15]
	v_cndmask_b32_e64 v54, v59, v54, s[14:15]
	v_cmp_ge_i32_e64 s[14:15], v54, v55
	s_or_b64 s[18:19], s[14:15], s[18:19]
	s_andn2_b64 exec, exec, s[18:19]
	s_cbranch_execnz .LBB64_16
; %bb.17:                               ;   in Loop: Header=BB64_2 Depth=1
	s_or_b64 exec, exec, s[18:19]
.LBB64_18:                              ;   in Loop: Header=BB64_2 Depth=1
	s_or_b64 exec, exec, s[16:17]
	v_add_u32_e32 v57, v54, v1
	v_sub_u32_e32 v60, v33, v54
	ds_read_u8 v55, v57
	ds_read_u8 v56, v60 offset:6
	v_sub_u32_e32 v59, v34, v54
	v_cmp_le_i32_e64 s[16:17], v8, v57
	v_cmp_gt_i32_e64 s[14:15], v9, v59
	s_waitcnt lgkmcnt(1)
	v_bfe_i32 v54, v55, 0, 8
	s_waitcnt lgkmcnt(0)
	v_bfe_i32 v55, v56, 0, 8
	v_cmp_lt_i16_e64 s[18:19], v55, v54
	s_or_b64 s[16:17], s[16:17], s[18:19]
	s_and_b64 s[14:15], s[14:15], s[16:17]
	s_xor_b64 s[16:17], s[14:15], -1
                                        ; implicit-def: $vgpr56
	s_and_saveexec_b64 s[18:19], s[16:17]
	s_xor_b64 s[16:17], exec, s[18:19]
; %bb.19:                               ;   in Loop: Header=BB64_2 Depth=1
	ds_read_u8 v56, v57 offset:1
                                        ; implicit-def: $vgpr60
; %bb.20:                               ;   in Loop: Header=BB64_2 Depth=1
	s_or_saveexec_b64 s[16:17], s[16:17]
	v_mov_b32_e32 v58, v55
	s_xor_b64 exec, exec, s[16:17]
	s_cbranch_execz .LBB64_22
; %bb.21:                               ;   in Loop: Header=BB64_2 Depth=1
	ds_read_u8 v58, v60 offset:7
	s_waitcnt lgkmcnt(1)
	v_mov_b32_e32 v56, v54
.LBB64_22:                              ;   in Loop: Header=BB64_2 Depth=1
	s_or_b64 exec, exec, s[16:17]
	v_add_u32_e32 v61, 1, v57
	v_add_u32_e32 v60, 1, v59
	v_cndmask_b32_e64 v57, v61, v57, s[14:15]
	v_cndmask_b32_e64 v59, v59, v60, s[14:15]
	v_cmp_ge_i32_e64 s[18:19], v57, v8
	s_waitcnt lgkmcnt(0)
	v_cmp_lt_i16_sdwa s[28:29], sext(v58), sext(v56) src0_sel:BYTE_0 src1_sel:BYTE_0
	v_cmp_lt_i32_e64 s[16:17], v59, v9
	s_or_b64 s[18:19], s[18:19], s[28:29]
	s_and_b64 s[16:17], s[16:17], s[18:19]
	s_xor_b64 s[18:19], s[16:17], -1
                                        ; implicit-def: $vgpr60
	s_and_saveexec_b64 s[28:29], s[18:19]
	s_xor_b64 s[18:19], exec, s[28:29]
; %bb.23:                               ;   in Loop: Header=BB64_2 Depth=1
	ds_read_u8 v60, v57 offset:1
; %bb.24:                               ;   in Loop: Header=BB64_2 Depth=1
	s_or_saveexec_b64 s[18:19], s[18:19]
	v_mov_b32_e32 v61, v58
	s_xor_b64 exec, exec, s[18:19]
	s_cbranch_execz .LBB64_26
; %bb.25:                               ;   in Loop: Header=BB64_2 Depth=1
	ds_read_u8 v61, v59 offset:1
	s_waitcnt lgkmcnt(1)
	v_mov_b32_e32 v60, v56
.LBB64_26:                              ;   in Loop: Header=BB64_2 Depth=1
	s_or_b64 exec, exec, s[18:19]
	v_add_u32_e32 v62, 1, v57
	v_cndmask_b32_e64 v56, v56, v58, s[16:17]
	v_add_u32_e32 v58, 1, v59
	v_cndmask_b32_e64 v57, v62, v57, s[16:17]
	v_cndmask_b32_e64 v58, v59, v58, s[16:17]
	v_cmp_ge_i32_e64 s[16:17], v57, v8
	s_waitcnt lgkmcnt(0)
	v_cmp_lt_i16_sdwa s[18:19], sext(v61), sext(v60) src0_sel:BYTE_0 src1_sel:BYTE_0
	v_cndmask_b32_e64 v54, v54, v55, s[14:15]
	v_cmp_lt_i32_e64 s[14:15], v58, v9
	s_or_b64 s[16:17], s[16:17], s[18:19]
	s_and_b64 s[14:15], s[14:15], s[16:17]
	v_cndmask_b32_e64 v55, v60, v61, s[14:15]
	s_barrier
	ds_write_b8 v50, v54
	ds_write_b8 v50, v56 offset:1
	ds_write_b8 v50, v55 offset:2
	v_mov_b32_e32 v54, v35
	s_waitcnt lgkmcnt(0)
	s_barrier
	s_and_saveexec_b64 s[16:17], s[2:3]
	s_cbranch_execz .LBB64_30
; %bb.27:                               ;   in Loop: Header=BB64_2 Depth=1
	s_mov_b64 s[18:19], 0
	v_mov_b32_e32 v54, v35
	v_mov_b32_e32 v55, v19
.LBB64_28:                              ;   Parent Loop BB64_2 Depth=1
                                        ; =>  This Inner Loop Header: Depth=2
	v_sub_u32_e32 v56, v55, v54
	v_lshrrev_b32_e32 v56, 1, v56
	v_add_u32_e32 v56, v56, v54
	v_add_u32_e32 v57, v2, v56
	v_xad_u32 v58, v56, -1, v36
	ds_read_i8 v57, v57
	ds_read_i8 v58, v58 offset:12
	v_add_u32_e32 v59, 1, v56
	s_waitcnt lgkmcnt(0)
	v_cmp_lt_i16_e64 s[14:15], v58, v57
	v_cndmask_b32_e64 v55, v55, v56, s[14:15]
	v_cndmask_b32_e64 v54, v59, v54, s[14:15]
	v_cmp_ge_i32_e64 s[14:15], v54, v55
	s_or_b64 s[18:19], s[14:15], s[18:19]
	s_andn2_b64 exec, exec, s[18:19]
	s_cbranch_execnz .LBB64_28
; %bb.29:                               ;   in Loop: Header=BB64_2 Depth=1
	s_or_b64 exec, exec, s[18:19]
.LBB64_30:                              ;   in Loop: Header=BB64_2 Depth=1
	s_or_b64 exec, exec, s[16:17]
	v_add_u32_e32 v57, v54, v2
	v_sub_u32_e32 v60, v36, v54
	ds_read_u8 v55, v57
	ds_read_u8 v56, v60 offset:12
	v_sub_u32_e32 v59, v37, v54
	v_cmp_le_i32_e64 s[16:17], v10, v57
	v_cmp_gt_i32_e64 s[14:15], v11, v59
	s_waitcnt lgkmcnt(1)
	v_bfe_i32 v54, v55, 0, 8
	s_waitcnt lgkmcnt(0)
	v_bfe_i32 v55, v56, 0, 8
	v_cmp_lt_i16_e64 s[18:19], v55, v54
	s_or_b64 s[16:17], s[16:17], s[18:19]
	s_and_b64 s[14:15], s[14:15], s[16:17]
	s_xor_b64 s[16:17], s[14:15], -1
                                        ; implicit-def: $vgpr56
	s_and_saveexec_b64 s[18:19], s[16:17]
	s_xor_b64 s[16:17], exec, s[18:19]
; %bb.31:                               ;   in Loop: Header=BB64_2 Depth=1
	ds_read_u8 v56, v57 offset:1
                                        ; implicit-def: $vgpr60
; %bb.32:                               ;   in Loop: Header=BB64_2 Depth=1
	s_or_saveexec_b64 s[16:17], s[16:17]
	v_mov_b32_e32 v58, v55
	s_xor_b64 exec, exec, s[16:17]
	s_cbranch_execz .LBB64_34
; %bb.33:                               ;   in Loop: Header=BB64_2 Depth=1
	ds_read_u8 v58, v60 offset:13
	s_waitcnt lgkmcnt(1)
	v_mov_b32_e32 v56, v54
.LBB64_34:                              ;   in Loop: Header=BB64_2 Depth=1
	s_or_b64 exec, exec, s[16:17]
	v_add_u32_e32 v61, 1, v57
	v_add_u32_e32 v60, 1, v59
	v_cndmask_b32_e64 v57, v61, v57, s[14:15]
	v_cndmask_b32_e64 v59, v59, v60, s[14:15]
	v_cmp_ge_i32_e64 s[18:19], v57, v10
	s_waitcnt lgkmcnt(0)
	v_cmp_lt_i16_sdwa s[28:29], sext(v58), sext(v56) src0_sel:BYTE_0 src1_sel:BYTE_0
	v_cmp_lt_i32_e64 s[16:17], v59, v11
	s_or_b64 s[18:19], s[18:19], s[28:29]
	s_and_b64 s[16:17], s[16:17], s[18:19]
	s_xor_b64 s[18:19], s[16:17], -1
                                        ; implicit-def: $vgpr60
	s_and_saveexec_b64 s[28:29], s[18:19]
	s_xor_b64 s[18:19], exec, s[28:29]
; %bb.35:                               ;   in Loop: Header=BB64_2 Depth=1
	ds_read_u8 v60, v57 offset:1
; %bb.36:                               ;   in Loop: Header=BB64_2 Depth=1
	s_or_saveexec_b64 s[18:19], s[18:19]
	v_mov_b32_e32 v61, v58
	s_xor_b64 exec, exec, s[18:19]
	s_cbranch_execz .LBB64_38
; %bb.37:                               ;   in Loop: Header=BB64_2 Depth=1
	ds_read_u8 v61, v59 offset:1
	s_waitcnt lgkmcnt(1)
	v_mov_b32_e32 v60, v56
.LBB64_38:                              ;   in Loop: Header=BB64_2 Depth=1
	s_or_b64 exec, exec, s[18:19]
	v_add_u32_e32 v62, 1, v57
	v_cndmask_b32_e64 v56, v56, v58, s[16:17]
	v_add_u32_e32 v58, 1, v59
	v_cndmask_b32_e64 v57, v62, v57, s[16:17]
	v_cndmask_b32_e64 v58, v59, v58, s[16:17]
	v_cmp_ge_i32_e64 s[16:17], v57, v10
	s_waitcnt lgkmcnt(0)
	v_cmp_lt_i16_sdwa s[18:19], sext(v61), sext(v60) src0_sel:BYTE_0 src1_sel:BYTE_0
	v_cndmask_b32_e64 v54, v54, v55, s[14:15]
	v_cmp_lt_i32_e64 s[14:15], v58, v11
	s_or_b64 s[16:17], s[16:17], s[18:19]
	s_and_b64 s[14:15], s[14:15], s[16:17]
	v_cndmask_b32_e64 v55, v60, v61, s[14:15]
	s_barrier
	ds_write_b8 v50, v54
	ds_write_b8 v50, v56 offset:1
	ds_write_b8 v50, v55 offset:2
	v_mov_b32_e32 v54, v38
	s_waitcnt lgkmcnt(0)
	s_barrier
	s_and_saveexec_b64 s[16:17], s[4:5]
	s_cbranch_execz .LBB64_42
; %bb.39:                               ;   in Loop: Header=BB64_2 Depth=1
	s_mov_b64 s[18:19], 0
	v_mov_b32_e32 v54, v38
	v_mov_b32_e32 v55, v20
.LBB64_40:                              ;   Parent Loop BB64_2 Depth=1
                                        ; =>  This Inner Loop Header: Depth=2
	v_sub_u32_e32 v56, v55, v54
	v_lshrrev_b32_e32 v56, 1, v56
	v_add_u32_e32 v56, v56, v54
	v_add_u32_e32 v57, v3, v56
	v_xad_u32 v58, v56, -1, v39
	ds_read_i8 v57, v57
	ds_read_i8 v58, v58 offset:24
	v_add_u32_e32 v59, 1, v56
	s_waitcnt lgkmcnt(0)
	v_cmp_lt_i16_e64 s[14:15], v58, v57
	v_cndmask_b32_e64 v55, v55, v56, s[14:15]
	v_cndmask_b32_e64 v54, v59, v54, s[14:15]
	v_cmp_ge_i32_e64 s[14:15], v54, v55
	s_or_b64 s[18:19], s[14:15], s[18:19]
	s_andn2_b64 exec, exec, s[18:19]
	s_cbranch_execnz .LBB64_40
; %bb.41:                               ;   in Loop: Header=BB64_2 Depth=1
	s_or_b64 exec, exec, s[18:19]
.LBB64_42:                              ;   in Loop: Header=BB64_2 Depth=1
	s_or_b64 exec, exec, s[16:17]
	v_add_u32_e32 v57, v54, v3
	v_sub_u32_e32 v60, v39, v54
	ds_read_u8 v55, v57
	ds_read_u8 v56, v60 offset:24
	v_sub_u32_e32 v59, v40, v54
	v_cmp_le_i32_e64 s[16:17], v13, v57
	v_cmp_gt_i32_e64 s[14:15], v12, v59
	s_waitcnt lgkmcnt(1)
	v_bfe_i32 v54, v55, 0, 8
	s_waitcnt lgkmcnt(0)
	v_bfe_i32 v55, v56, 0, 8
	v_cmp_lt_i16_e64 s[18:19], v55, v54
	s_or_b64 s[16:17], s[16:17], s[18:19]
	s_and_b64 s[14:15], s[14:15], s[16:17]
	s_xor_b64 s[16:17], s[14:15], -1
                                        ; implicit-def: $vgpr56
	s_and_saveexec_b64 s[18:19], s[16:17]
	s_xor_b64 s[16:17], exec, s[18:19]
; %bb.43:                               ;   in Loop: Header=BB64_2 Depth=1
	ds_read_u8 v56, v57 offset:1
                                        ; implicit-def: $vgpr60
; %bb.44:                               ;   in Loop: Header=BB64_2 Depth=1
	s_or_saveexec_b64 s[16:17], s[16:17]
	v_mov_b32_e32 v58, v55
	s_xor_b64 exec, exec, s[16:17]
	s_cbranch_execz .LBB64_46
; %bb.45:                               ;   in Loop: Header=BB64_2 Depth=1
	ds_read_u8 v58, v60 offset:25
	s_waitcnt lgkmcnt(1)
	v_mov_b32_e32 v56, v54
.LBB64_46:                              ;   in Loop: Header=BB64_2 Depth=1
	s_or_b64 exec, exec, s[16:17]
	v_add_u32_e32 v61, 1, v57
	v_add_u32_e32 v60, 1, v59
	v_cndmask_b32_e64 v57, v61, v57, s[14:15]
	v_cndmask_b32_e64 v59, v59, v60, s[14:15]
	v_cmp_ge_i32_e64 s[18:19], v57, v13
	s_waitcnt lgkmcnt(0)
	v_cmp_lt_i16_sdwa s[28:29], sext(v58), sext(v56) src0_sel:BYTE_0 src1_sel:BYTE_0
	v_cmp_lt_i32_e64 s[16:17], v59, v12
	s_or_b64 s[18:19], s[18:19], s[28:29]
	s_and_b64 s[16:17], s[16:17], s[18:19]
	s_xor_b64 s[18:19], s[16:17], -1
                                        ; implicit-def: $vgpr60
	s_and_saveexec_b64 s[28:29], s[18:19]
	s_xor_b64 s[18:19], exec, s[28:29]
; %bb.47:                               ;   in Loop: Header=BB64_2 Depth=1
	ds_read_u8 v60, v57 offset:1
; %bb.48:                               ;   in Loop: Header=BB64_2 Depth=1
	s_or_saveexec_b64 s[18:19], s[18:19]
	v_mov_b32_e32 v61, v58
	s_xor_b64 exec, exec, s[18:19]
	s_cbranch_execz .LBB64_50
; %bb.49:                               ;   in Loop: Header=BB64_2 Depth=1
	ds_read_u8 v61, v59 offset:1
	s_waitcnt lgkmcnt(1)
	v_mov_b32_e32 v60, v56
.LBB64_50:                              ;   in Loop: Header=BB64_2 Depth=1
	s_or_b64 exec, exec, s[18:19]
	v_add_u32_e32 v62, 1, v57
	v_cndmask_b32_e64 v56, v56, v58, s[16:17]
	v_add_u32_e32 v58, 1, v59
	v_cndmask_b32_e64 v57, v62, v57, s[16:17]
	v_cndmask_b32_e64 v58, v59, v58, s[16:17]
	v_cmp_ge_i32_e64 s[16:17], v57, v13
	s_waitcnt lgkmcnt(0)
	v_cmp_lt_i16_sdwa s[18:19], sext(v61), sext(v60) src0_sel:BYTE_0 src1_sel:BYTE_0
	v_cndmask_b32_e64 v54, v54, v55, s[14:15]
	v_cmp_lt_i32_e64 s[14:15], v58, v12
	s_or_b64 s[16:17], s[16:17], s[18:19]
	s_and_b64 s[14:15], s[14:15], s[16:17]
	v_cndmask_b32_e64 v55, v60, v61, s[14:15]
	s_barrier
	ds_write_b8 v50, v54
	ds_write_b8 v50, v56 offset:1
	ds_write_b8 v50, v55 offset:2
	v_mov_b32_e32 v54, v41
	s_waitcnt lgkmcnt(0)
	s_barrier
	s_and_saveexec_b64 s[16:17], s[6:7]
	s_cbranch_execz .LBB64_54
; %bb.51:                               ;   in Loop: Header=BB64_2 Depth=1
	s_mov_b64 s[18:19], 0
	v_mov_b32_e32 v54, v41
	v_mov_b32_e32 v55, v21
.LBB64_52:                              ;   Parent Loop BB64_2 Depth=1
                                        ; =>  This Inner Loop Header: Depth=2
	v_sub_u32_e32 v56, v55, v54
	v_lshrrev_b32_e32 v56, 1, v56
	v_add_u32_e32 v56, v56, v54
	v_add_u32_e32 v57, v4, v56
	v_xad_u32 v58, v56, -1, v42
	ds_read_i8 v57, v57
	ds_read_i8 v58, v58 offset:48
	v_add_u32_e32 v59, 1, v56
	s_waitcnt lgkmcnt(0)
	v_cmp_lt_i16_e64 s[14:15], v58, v57
	v_cndmask_b32_e64 v55, v55, v56, s[14:15]
	v_cndmask_b32_e64 v54, v59, v54, s[14:15]
	v_cmp_ge_i32_e64 s[14:15], v54, v55
	s_or_b64 s[18:19], s[14:15], s[18:19]
	s_andn2_b64 exec, exec, s[18:19]
	s_cbranch_execnz .LBB64_52
; %bb.53:                               ;   in Loop: Header=BB64_2 Depth=1
	s_or_b64 exec, exec, s[18:19]
.LBB64_54:                              ;   in Loop: Header=BB64_2 Depth=1
	s_or_b64 exec, exec, s[16:17]
	v_add_u32_e32 v57, v54, v4
	v_sub_u32_e32 v60, v42, v54
	ds_read_u8 v55, v57
	ds_read_u8 v56, v60 offset:48
	v_sub_u32_e32 v59, v43, v54
	v_cmp_le_i32_e64 s[16:17], v15, v57
	v_cmp_gt_i32_e64 s[14:15], v14, v59
	s_waitcnt lgkmcnt(1)
	v_bfe_i32 v54, v55, 0, 8
	s_waitcnt lgkmcnt(0)
	v_bfe_i32 v55, v56, 0, 8
	v_cmp_lt_i16_e64 s[18:19], v55, v54
	s_or_b64 s[16:17], s[16:17], s[18:19]
	s_and_b64 s[14:15], s[14:15], s[16:17]
	s_xor_b64 s[16:17], s[14:15], -1
                                        ; implicit-def: $vgpr56
	s_and_saveexec_b64 s[18:19], s[16:17]
	s_xor_b64 s[16:17], exec, s[18:19]
; %bb.55:                               ;   in Loop: Header=BB64_2 Depth=1
	ds_read_u8 v56, v57 offset:1
                                        ; implicit-def: $vgpr60
; %bb.56:                               ;   in Loop: Header=BB64_2 Depth=1
	s_or_saveexec_b64 s[16:17], s[16:17]
	v_mov_b32_e32 v58, v55
	s_xor_b64 exec, exec, s[16:17]
	s_cbranch_execz .LBB64_58
; %bb.57:                               ;   in Loop: Header=BB64_2 Depth=1
	ds_read_u8 v58, v60 offset:49
	s_waitcnt lgkmcnt(1)
	v_mov_b32_e32 v56, v54
.LBB64_58:                              ;   in Loop: Header=BB64_2 Depth=1
	s_or_b64 exec, exec, s[16:17]
	v_add_u32_e32 v61, 1, v57
	v_add_u32_e32 v60, 1, v59
	v_cndmask_b32_e64 v57, v61, v57, s[14:15]
	v_cndmask_b32_e64 v59, v59, v60, s[14:15]
	v_cmp_ge_i32_e64 s[18:19], v57, v15
	s_waitcnt lgkmcnt(0)
	v_cmp_lt_i16_sdwa s[28:29], sext(v58), sext(v56) src0_sel:BYTE_0 src1_sel:BYTE_0
	v_cmp_lt_i32_e64 s[16:17], v59, v14
	s_or_b64 s[18:19], s[18:19], s[28:29]
	s_and_b64 s[16:17], s[16:17], s[18:19]
	s_xor_b64 s[18:19], s[16:17], -1
                                        ; implicit-def: $vgpr60
	s_and_saveexec_b64 s[28:29], s[18:19]
	s_xor_b64 s[18:19], exec, s[28:29]
; %bb.59:                               ;   in Loop: Header=BB64_2 Depth=1
	ds_read_u8 v60, v57 offset:1
; %bb.60:                               ;   in Loop: Header=BB64_2 Depth=1
	s_or_saveexec_b64 s[18:19], s[18:19]
	v_mov_b32_e32 v61, v58
	s_xor_b64 exec, exec, s[18:19]
	s_cbranch_execz .LBB64_62
; %bb.61:                               ;   in Loop: Header=BB64_2 Depth=1
	ds_read_u8 v61, v59 offset:1
	s_waitcnt lgkmcnt(1)
	v_mov_b32_e32 v60, v56
.LBB64_62:                              ;   in Loop: Header=BB64_2 Depth=1
	s_or_b64 exec, exec, s[18:19]
	v_add_u32_e32 v62, 1, v57
	v_cndmask_b32_e64 v56, v56, v58, s[16:17]
	v_add_u32_e32 v58, 1, v59
	v_cndmask_b32_e64 v57, v62, v57, s[16:17]
	v_cndmask_b32_e64 v58, v59, v58, s[16:17]
	v_cmp_ge_i32_e64 s[16:17], v57, v15
	s_waitcnt lgkmcnt(0)
	v_cmp_lt_i16_sdwa s[18:19], sext(v61), sext(v60) src0_sel:BYTE_0 src1_sel:BYTE_0
	v_cndmask_b32_e64 v54, v54, v55, s[14:15]
	v_cmp_lt_i32_e64 s[14:15], v58, v14
	s_or_b64 s[16:17], s[16:17], s[18:19]
	s_and_b64 s[14:15], s[14:15], s[16:17]
	v_cndmask_b32_e64 v55, v60, v61, s[14:15]
	s_barrier
	ds_write_b8 v50, v54
	ds_write_b8 v50, v56 offset:1
	ds_write_b8 v50, v55 offset:2
	v_mov_b32_e32 v54, v44
	s_waitcnt lgkmcnt(0)
	s_barrier
	s_and_saveexec_b64 s[16:17], s[8:9]
	s_cbranch_execz .LBB64_66
; %bb.63:                               ;   in Loop: Header=BB64_2 Depth=1
	s_mov_b64 s[18:19], 0
	v_mov_b32_e32 v54, v44
	v_mov_b32_e32 v55, v22
.LBB64_64:                              ;   Parent Loop BB64_2 Depth=1
                                        ; =>  This Inner Loop Header: Depth=2
	v_sub_u32_e32 v56, v55, v54
	v_lshrrev_b32_e32 v56, 1, v56
	v_add_u32_e32 v56, v56, v54
	v_add_u32_e32 v57, v5, v56
	v_xad_u32 v58, v56, -1, v45
	ds_read_i8 v57, v57
	ds_read_i8 v58, v58 offset:96
	v_add_u32_e32 v59, 1, v56
	s_waitcnt lgkmcnt(0)
	v_cmp_lt_i16_e64 s[14:15], v58, v57
	v_cndmask_b32_e64 v55, v55, v56, s[14:15]
	v_cndmask_b32_e64 v54, v59, v54, s[14:15]
	v_cmp_ge_i32_e64 s[14:15], v54, v55
	s_or_b64 s[18:19], s[14:15], s[18:19]
	s_andn2_b64 exec, exec, s[18:19]
	s_cbranch_execnz .LBB64_64
; %bb.65:                               ;   in Loop: Header=BB64_2 Depth=1
	s_or_b64 exec, exec, s[18:19]
.LBB64_66:                              ;   in Loop: Header=BB64_2 Depth=1
	s_or_b64 exec, exec, s[16:17]
	v_add_u32_e32 v57, v54, v5
	v_sub_u32_e32 v60, v45, v54
	ds_read_u8 v55, v57
	ds_read_u8 v56, v60 offset:96
	v_sub_u32_e32 v59, v46, v54
	v_cmp_le_i32_e64 s[16:17], v17, v57
	v_cmp_gt_i32_e64 s[14:15], v16, v59
	s_waitcnt lgkmcnt(1)
	v_bfe_i32 v54, v55, 0, 8
	s_waitcnt lgkmcnt(0)
	v_bfe_i32 v55, v56, 0, 8
	v_cmp_lt_i16_e64 s[18:19], v55, v54
	s_or_b64 s[16:17], s[16:17], s[18:19]
	s_and_b64 s[14:15], s[14:15], s[16:17]
	s_xor_b64 s[16:17], s[14:15], -1
                                        ; implicit-def: $vgpr56
	s_and_saveexec_b64 s[18:19], s[16:17]
	s_xor_b64 s[16:17], exec, s[18:19]
; %bb.67:                               ;   in Loop: Header=BB64_2 Depth=1
	ds_read_u8 v56, v57 offset:1
                                        ; implicit-def: $vgpr60
; %bb.68:                               ;   in Loop: Header=BB64_2 Depth=1
	s_or_saveexec_b64 s[16:17], s[16:17]
	v_mov_b32_e32 v58, v55
	s_xor_b64 exec, exec, s[16:17]
	s_cbranch_execz .LBB64_70
; %bb.69:                               ;   in Loop: Header=BB64_2 Depth=1
	ds_read_u8 v58, v60 offset:97
	s_waitcnt lgkmcnt(1)
	v_mov_b32_e32 v56, v54
.LBB64_70:                              ;   in Loop: Header=BB64_2 Depth=1
	s_or_b64 exec, exec, s[16:17]
	v_add_u32_e32 v61, 1, v57
	v_add_u32_e32 v60, 1, v59
	v_cndmask_b32_e64 v57, v61, v57, s[14:15]
	v_cndmask_b32_e64 v59, v59, v60, s[14:15]
	v_cmp_ge_i32_e64 s[18:19], v57, v17
	s_waitcnt lgkmcnt(0)
	v_cmp_lt_i16_sdwa s[28:29], sext(v58), sext(v56) src0_sel:BYTE_0 src1_sel:BYTE_0
	v_cmp_lt_i32_e64 s[16:17], v59, v16
	s_or_b64 s[18:19], s[18:19], s[28:29]
	s_and_b64 s[16:17], s[16:17], s[18:19]
	s_xor_b64 s[18:19], s[16:17], -1
                                        ; implicit-def: $vgpr60
	s_and_saveexec_b64 s[28:29], s[18:19]
	s_xor_b64 s[18:19], exec, s[28:29]
; %bb.71:                               ;   in Loop: Header=BB64_2 Depth=1
	ds_read_u8 v60, v57 offset:1
; %bb.72:                               ;   in Loop: Header=BB64_2 Depth=1
	s_or_saveexec_b64 s[18:19], s[18:19]
	v_mov_b32_e32 v61, v58
	s_xor_b64 exec, exec, s[18:19]
	s_cbranch_execz .LBB64_74
; %bb.73:                               ;   in Loop: Header=BB64_2 Depth=1
	ds_read_u8 v61, v59 offset:1
	s_waitcnt lgkmcnt(1)
	v_mov_b32_e32 v60, v56
.LBB64_74:                              ;   in Loop: Header=BB64_2 Depth=1
	s_or_b64 exec, exec, s[18:19]
	v_add_u32_e32 v62, 1, v57
	v_cndmask_b32_e64 v56, v56, v58, s[16:17]
	v_add_u32_e32 v58, 1, v59
	v_cndmask_b32_e64 v57, v62, v57, s[16:17]
	v_cndmask_b32_e64 v58, v59, v58, s[16:17]
	v_cmp_ge_i32_e64 s[16:17], v57, v17
	s_waitcnt lgkmcnt(0)
	v_cmp_lt_i16_sdwa s[18:19], sext(v61), sext(v60) src0_sel:BYTE_0 src1_sel:BYTE_0
	v_cndmask_b32_e64 v54, v54, v55, s[14:15]
	v_cmp_lt_i32_e64 s[14:15], v58, v16
	s_or_b64 s[16:17], s[16:17], s[18:19]
	s_and_b64 s[14:15], s[14:15], s[16:17]
	v_cndmask_b32_e64 v55, v60, v61, s[14:15]
	s_barrier
	ds_write_b8 v50, v54
	ds_write_b8 v50, v56 offset:1
	ds_write_b8 v50, v55 offset:2
	v_mov_b32_e32 v54, v47
	s_waitcnt lgkmcnt(0)
	s_barrier
	s_and_saveexec_b64 s[16:17], s[10:11]
	s_cbranch_execz .LBB64_78
; %bb.75:                               ;   in Loop: Header=BB64_2 Depth=1
	s_mov_b64 s[18:19], 0
	v_mov_b32_e32 v54, v47
	v_mov_b32_e32 v55, v26
.LBB64_76:                              ;   Parent Loop BB64_2 Depth=1
                                        ; =>  This Inner Loop Header: Depth=2
	v_sub_u32_e32 v56, v55, v54
	v_lshrrev_b32_e32 v56, 1, v56
	v_add_u32_e32 v56, v56, v54
	v_add_u32_e32 v57, v25, v56
	v_xad_u32 v58, v56, -1, v48
	ds_read_i8 v57, v57
	ds_read_i8 v58, v58 offset:192
	v_add_u32_e32 v59, 1, v56
	s_waitcnt lgkmcnt(0)
	v_cmp_lt_i16_e64 s[14:15], v58, v57
	v_cndmask_b32_e64 v55, v55, v56, s[14:15]
	v_cndmask_b32_e64 v54, v59, v54, s[14:15]
	v_cmp_ge_i32_e64 s[14:15], v54, v55
	s_or_b64 s[18:19], s[14:15], s[18:19]
	s_andn2_b64 exec, exec, s[18:19]
	s_cbranch_execnz .LBB64_76
; %bb.77:                               ;   in Loop: Header=BB64_2 Depth=1
	s_or_b64 exec, exec, s[18:19]
.LBB64_78:                              ;   in Loop: Header=BB64_2 Depth=1
	s_or_b64 exec, exec, s[16:17]
	v_add_u32_e32 v57, v54, v25
	v_sub_u32_e32 v60, v48, v54
	ds_read_u8 v55, v57
	ds_read_u8 v56, v60 offset:192
	v_sub_u32_e32 v59, v49, v54
	v_cmp_le_i32_e64 s[16:17], v24, v57
	v_cmp_gt_i32_e64 s[14:15], v23, v59
	s_waitcnt lgkmcnt(1)
	v_bfe_i32 v54, v55, 0, 8
	s_waitcnt lgkmcnt(0)
	v_bfe_i32 v55, v56, 0, 8
	v_cmp_lt_i16_e64 s[18:19], v55, v54
	s_or_b64 s[16:17], s[16:17], s[18:19]
	s_and_b64 s[14:15], s[14:15], s[16:17]
	s_xor_b64 s[16:17], s[14:15], -1
                                        ; implicit-def: $vgpr56
	s_and_saveexec_b64 s[18:19], s[16:17]
	s_xor_b64 s[16:17], exec, s[18:19]
; %bb.79:                               ;   in Loop: Header=BB64_2 Depth=1
	ds_read_u8 v56, v57 offset:1
                                        ; implicit-def: $vgpr60
; %bb.80:                               ;   in Loop: Header=BB64_2 Depth=1
	s_or_saveexec_b64 s[16:17], s[16:17]
	v_mov_b32_e32 v58, v55
	s_xor_b64 exec, exec, s[16:17]
	s_cbranch_execz .LBB64_82
; %bb.81:                               ;   in Loop: Header=BB64_2 Depth=1
	ds_read_u8 v58, v60 offset:193
	s_waitcnt lgkmcnt(1)
	v_mov_b32_e32 v56, v54
.LBB64_82:                              ;   in Loop: Header=BB64_2 Depth=1
	s_or_b64 exec, exec, s[16:17]
	v_add_u32_e32 v61, 1, v57
	v_add_u32_e32 v60, 1, v59
	v_cndmask_b32_e64 v57, v61, v57, s[14:15]
	v_cndmask_b32_e64 v59, v59, v60, s[14:15]
	v_cmp_ge_i32_e64 s[18:19], v57, v24
	s_waitcnt lgkmcnt(0)
	v_cmp_lt_i16_sdwa s[28:29], sext(v58), sext(v56) src0_sel:BYTE_0 src1_sel:BYTE_0
	v_cmp_lt_i32_e64 s[16:17], v59, v23
	s_or_b64 s[18:19], s[18:19], s[28:29]
	s_and_b64 s[16:17], s[16:17], s[18:19]
	s_xor_b64 s[18:19], s[16:17], -1
                                        ; implicit-def: $vgpr60
	s_and_saveexec_b64 s[28:29], s[18:19]
	s_xor_b64 s[18:19], exec, s[28:29]
; %bb.83:                               ;   in Loop: Header=BB64_2 Depth=1
	ds_read_u8 v60, v57 offset:1
; %bb.84:                               ;   in Loop: Header=BB64_2 Depth=1
	s_or_saveexec_b64 s[18:19], s[18:19]
	v_mov_b32_e32 v61, v58
	s_xor_b64 exec, exec, s[18:19]
	s_cbranch_execz .LBB64_86
; %bb.85:                               ;   in Loop: Header=BB64_2 Depth=1
	ds_read_u8 v61, v59 offset:1
	s_waitcnt lgkmcnt(1)
	v_mov_b32_e32 v60, v56
.LBB64_86:                              ;   in Loop: Header=BB64_2 Depth=1
	s_or_b64 exec, exec, s[18:19]
	v_add_u32_e32 v62, 1, v57
	v_cndmask_b32_e64 v56, v56, v58, s[16:17]
	v_add_u32_e32 v58, 1, v59
	v_cndmask_b32_e64 v57, v62, v57, s[16:17]
	v_cndmask_b32_e64 v58, v59, v58, s[16:17]
	v_cmp_ge_i32_e64 s[16:17], v57, v24
	s_waitcnt lgkmcnt(0)
	v_cmp_lt_i16_sdwa s[18:19], sext(v61), sext(v60) src0_sel:BYTE_0 src1_sel:BYTE_0
	v_cndmask_b32_e64 v54, v54, v55, s[14:15]
	v_cmp_lt_i32_e64 s[14:15], v58, v23
	s_or_b64 s[16:17], s[16:17], s[18:19]
	s_and_b64 s[14:15], s[14:15], s[16:17]
	v_cndmask_b32_e64 v55, v60, v61, s[14:15]
	s_barrier
	ds_write_b8 v50, v54
	ds_write_b8 v50, v56 offset:1
	ds_write_b8 v50, v55 offset:2
	v_mov_b32_e32 v54, v52
	s_waitcnt lgkmcnt(0)
	s_barrier
	s_and_saveexec_b64 s[16:17], s[12:13]
	s_cbranch_execz .LBB64_90
; %bb.87:                               ;   in Loop: Header=BB64_2 Depth=1
	s_mov_b64 s[18:19], 0
	v_mov_b32_e32 v54, v52
	v_mov_b32_e32 v55, v53
.LBB64_88:                              ;   Parent Loop BB64_2 Depth=1
                                        ; =>  This Inner Loop Header: Depth=2
	v_sub_u32_e32 v56, v55, v54
	v_lshrrev_b32_e32 v56, 1, v56
	v_add_u32_e32 v56, v56, v54
	v_xad_u32 v57, v56, -1, v50
	ds_read_i8 v58, v56
	ds_read_i8 v57, v57 offset:384
	v_add_u32_e32 v59, 1, v56
	s_waitcnt lgkmcnt(0)
	v_cmp_lt_i16_e64 s[14:15], v57, v58
	v_cndmask_b32_e64 v55, v55, v56, s[14:15]
	v_cndmask_b32_e64 v54, v59, v54, s[14:15]
	v_cmp_ge_i32_e64 s[14:15], v54, v55
	s_or_b64 s[18:19], s[14:15], s[18:19]
	s_andn2_b64 exec, exec, s[18:19]
	s_cbranch_execnz .LBB64_88
; %bb.89:                               ;   in Loop: Header=BB64_2 Depth=1
	s_or_b64 exec, exec, s[18:19]
.LBB64_90:                              ;   in Loop: Header=BB64_2 Depth=1
	s_or_b64 exec, exec, s[16:17]
	v_sub_u32_e32 v60, v50, v54
	ds_read_u8 v55, v54
	ds_read_u8 v56, v60 offset:384
	v_mad_u32_u24 v57, v0, 3, v51
	v_sub_u32_e32 v59, v57, v54
	v_cmp_le_i32_e64 s[16:17], v51, v54
	s_waitcnt lgkmcnt(1)
	v_bfe_i32 v55, v55, 0, 8
	s_waitcnt lgkmcnt(0)
	v_bfe_i32 v56, v56, 0, 8
	v_cmp_lt_i16_e64 s[18:19], v56, v55
	v_cmp_gt_i32_e64 s[14:15], s20, v59
	s_or_b64 s[16:17], s[16:17], s[18:19]
	s_and_b64 s[14:15], s[14:15], s[16:17]
	s_xor_b64 s[16:17], s[14:15], -1
                                        ; implicit-def: $vgpr57
	s_and_saveexec_b64 s[18:19], s[16:17]
	s_xor_b64 s[16:17], exec, s[18:19]
; %bb.91:                               ;   in Loop: Header=BB64_2 Depth=1
	ds_read_u8 v57, v54 offset:1
                                        ; implicit-def: $vgpr60
; %bb.92:                               ;   in Loop: Header=BB64_2 Depth=1
	s_or_saveexec_b64 s[16:17], s[16:17]
	v_mov_b32_e32 v58, v56
	s_xor_b64 exec, exec, s[16:17]
	s_cbranch_execz .LBB64_94
; %bb.93:                               ;   in Loop: Header=BB64_2 Depth=1
	ds_read_u8 v58, v60 offset:385
	s_waitcnt lgkmcnt(1)
	v_mov_b32_e32 v57, v55
.LBB64_94:                              ;   in Loop: Header=BB64_2 Depth=1
	s_or_b64 exec, exec, s[16:17]
	v_add_u32_e32 v61, 1, v54
	v_add_u32_e32 v60, 1, v59
	v_cndmask_b32_e64 v61, v61, v54, s[14:15]
	v_cndmask_b32_e64 v59, v59, v60, s[14:15]
	v_cmp_ge_i32_e64 s[18:19], v61, v51
	s_waitcnt lgkmcnt(0)
	v_cmp_lt_i16_sdwa s[28:29], sext(v58), sext(v57) src0_sel:BYTE_0 src1_sel:BYTE_0
	v_cmp_gt_i32_e64 s[16:17], s20, v59
	s_or_b64 s[18:19], s[18:19], s[28:29]
	s_and_b64 s[16:17], s[16:17], s[18:19]
	s_xor_b64 s[18:19], s[16:17], -1
                                        ; implicit-def: $vgpr54
                                        ; implicit-def: $vgpr60
	s_and_saveexec_b64 s[28:29], s[18:19]
	s_xor_b64 s[18:19], exec, s[28:29]
; %bb.95:                               ;   in Loop: Header=BB64_2 Depth=1
	ds_read_u8 v54, v61 offset:1
	v_add_u32_e32 v60, 1, v61
                                        ; implicit-def: $vgpr61
; %bb.96:                               ;   in Loop: Header=BB64_2 Depth=1
	s_or_saveexec_b64 s[18:19], s[18:19]
	v_mov_b32_e32 v62, v58
	s_xor_b64 exec, exec, s[18:19]
	s_cbranch_execz .LBB64_1
; %bb.97:                               ;   in Loop: Header=BB64_2 Depth=1
	ds_read_u8 v62, v59 offset:1
	v_add_u32_e32 v59, 1, v59
	v_mov_b32_e32 v60, v61
	s_waitcnt lgkmcnt(1)
	v_mov_b32_e32 v54, v57
	s_branch .LBB64_1
.LBB64_98:
	s_add_u32 s0, s22, s24
	s_addc_u32 s1, s23, 0
	v_mov_b32_e32 v1, s1
	v_add_co_u32_e32 v0, vcc, s0, v0
	v_addc_co_u32_e32 v1, vcc, 0, v1, vcc
	global_store_byte v[0:1], v55, off
	global_store_byte v[0:1], v56, off offset:256
	global_store_byte v[0:1], v57, off offset:512
	s_endpgm
	.section	.rodata,"a",@progbits
	.p2align	6, 0x0
	.amdhsa_kernel _Z16sort_keys_kernelIaLj256ELj3EN10test_utils4lessELj10EEvPKT_PS2_T2_
		.amdhsa_group_segment_fixed_size 769
		.amdhsa_private_segment_fixed_size 0
		.amdhsa_kernarg_size 20
		.amdhsa_user_sgpr_count 6
		.amdhsa_user_sgpr_private_segment_buffer 1
		.amdhsa_user_sgpr_dispatch_ptr 0
		.amdhsa_user_sgpr_queue_ptr 0
		.amdhsa_user_sgpr_kernarg_segment_ptr 1
		.amdhsa_user_sgpr_dispatch_id 0
		.amdhsa_user_sgpr_flat_scratch_init 0
		.amdhsa_user_sgpr_private_segment_size 0
		.amdhsa_uses_dynamic_stack 0
		.amdhsa_system_sgpr_private_segment_wavefront_offset 0
		.amdhsa_system_sgpr_workgroup_id_x 1
		.amdhsa_system_sgpr_workgroup_id_y 0
		.amdhsa_system_sgpr_workgroup_id_z 0
		.amdhsa_system_sgpr_workgroup_info 0
		.amdhsa_system_vgpr_workitem_id 0
		.amdhsa_next_free_vgpr 63
		.amdhsa_next_free_sgpr 30
		.amdhsa_reserve_vcc 1
		.amdhsa_reserve_flat_scratch 0
		.amdhsa_float_round_mode_32 0
		.amdhsa_float_round_mode_16_64 0
		.amdhsa_float_denorm_mode_32 3
		.amdhsa_float_denorm_mode_16_64 3
		.amdhsa_dx10_clamp 1
		.amdhsa_ieee_mode 1
		.amdhsa_fp16_overflow 0
		.amdhsa_exception_fp_ieee_invalid_op 0
		.amdhsa_exception_fp_denorm_src 0
		.amdhsa_exception_fp_ieee_div_zero 0
		.amdhsa_exception_fp_ieee_overflow 0
		.amdhsa_exception_fp_ieee_underflow 0
		.amdhsa_exception_fp_ieee_inexact 0
		.amdhsa_exception_int_div_zero 0
	.end_amdhsa_kernel
	.section	.text._Z16sort_keys_kernelIaLj256ELj3EN10test_utils4lessELj10EEvPKT_PS2_T2_,"axG",@progbits,_Z16sort_keys_kernelIaLj256ELj3EN10test_utils4lessELj10EEvPKT_PS2_T2_,comdat
.Lfunc_end64:
	.size	_Z16sort_keys_kernelIaLj256ELj3EN10test_utils4lessELj10EEvPKT_PS2_T2_, .Lfunc_end64-_Z16sort_keys_kernelIaLj256ELj3EN10test_utils4lessELj10EEvPKT_PS2_T2_
                                        ; -- End function
	.set _Z16sort_keys_kernelIaLj256ELj3EN10test_utils4lessELj10EEvPKT_PS2_T2_.num_vgpr, 63
	.set _Z16sort_keys_kernelIaLj256ELj3EN10test_utils4lessELj10EEvPKT_PS2_T2_.num_agpr, 0
	.set _Z16sort_keys_kernelIaLj256ELj3EN10test_utils4lessELj10EEvPKT_PS2_T2_.numbered_sgpr, 30
	.set _Z16sort_keys_kernelIaLj256ELj3EN10test_utils4lessELj10EEvPKT_PS2_T2_.num_named_barrier, 0
	.set _Z16sort_keys_kernelIaLj256ELj3EN10test_utils4lessELj10EEvPKT_PS2_T2_.private_seg_size, 0
	.set _Z16sort_keys_kernelIaLj256ELj3EN10test_utils4lessELj10EEvPKT_PS2_T2_.uses_vcc, 1
	.set _Z16sort_keys_kernelIaLj256ELj3EN10test_utils4lessELj10EEvPKT_PS2_T2_.uses_flat_scratch, 0
	.set _Z16sort_keys_kernelIaLj256ELj3EN10test_utils4lessELj10EEvPKT_PS2_T2_.has_dyn_sized_stack, 0
	.set _Z16sort_keys_kernelIaLj256ELj3EN10test_utils4lessELj10EEvPKT_PS2_T2_.has_recursion, 0
	.set _Z16sort_keys_kernelIaLj256ELj3EN10test_utils4lessELj10EEvPKT_PS2_T2_.has_indirect_call, 0
	.section	.AMDGPU.csdata,"",@progbits
; Kernel info:
; codeLenInByte = 5132
; TotalNumSgprs: 34
; NumVgprs: 63
; ScratchSize: 0
; MemoryBound: 0
; FloatMode: 240
; IeeeMode: 1
; LDSByteSize: 769 bytes/workgroup (compile time only)
; SGPRBlocks: 4
; VGPRBlocks: 15
; NumSGPRsForWavesPerEU: 34
; NumVGPRsForWavesPerEU: 63
; Occupancy: 4
; WaveLimiterHint : 1
; COMPUTE_PGM_RSRC2:SCRATCH_EN: 0
; COMPUTE_PGM_RSRC2:USER_SGPR: 6
; COMPUTE_PGM_RSRC2:TRAP_HANDLER: 0
; COMPUTE_PGM_RSRC2:TGID_X_EN: 1
; COMPUTE_PGM_RSRC2:TGID_Y_EN: 0
; COMPUTE_PGM_RSRC2:TGID_Z_EN: 0
; COMPUTE_PGM_RSRC2:TIDIG_COMP_CNT: 0
	.section	.text._Z17sort_pairs_kernelIaLj256ELj3EN10test_utils4lessELj10EEvPKT_PS2_T2_,"axG",@progbits,_Z17sort_pairs_kernelIaLj256ELj3EN10test_utils4lessELj10EEvPKT_PS2_T2_,comdat
	.protected	_Z17sort_pairs_kernelIaLj256ELj3EN10test_utils4lessELj10EEvPKT_PS2_T2_ ; -- Begin function _Z17sort_pairs_kernelIaLj256ELj3EN10test_utils4lessELj10EEvPKT_PS2_T2_
	.globl	_Z17sort_pairs_kernelIaLj256ELj3EN10test_utils4lessELj10EEvPKT_PS2_T2_
	.p2align	8
	.type	_Z17sort_pairs_kernelIaLj256ELj3EN10test_utils4lessELj10EEvPKT_PS2_T2_,@function
_Z17sort_pairs_kernelIaLj256ELj3EN10test_utils4lessELj10EEvPKT_PS2_T2_: ; @_Z17sort_pairs_kernelIaLj256ELj3EN10test_utils4lessELj10EEvPKT_PS2_T2_
; %bb.0:
	s_load_dwordx4 s[24:27], s[4:5], 0x0
	s_mul_i32 s28, s6, 0x300
	s_mov_b32 s29, 0xc0c0004
	v_and_b32_e32 v1, 0xfe, v0
	v_and_b32_e32 v2, 1, v0
	s_waitcnt lgkmcnt(0)
	s_add_u32 s0, s24, s28
	s_addc_u32 s1, s25, 0
	global_load_ubyte v27, v0, s[0:1]
	global_load_ubyte v28, v0, s[0:1] offset:256
	global_load_ubyte v29, v0, s[0:1] offset:512
	v_and_b32_e32 v3, 0xfc, v0
	v_and_b32_e32 v4, 0xf8, v0
	;; [unrolled: 1-line block ×5, first 2 shown]
	v_mul_u32_u24_e32 v30, 3, v1
	v_cmp_eq_u32_e32 vcc, 1, v2
	v_mul_u32_u24_e32 v2, 3, v3
	v_mul_u32_u24_e32 v3, 3, v4
	;; [unrolled: 1-line block ×5, first 2 shown]
	v_min_u32_e32 v33, 0x2fd, v30
	v_min_u32_e32 v7, 0x2fa, v30
	;; [unrolled: 1-line block ×12, first 2 shown]
	v_and_b32_e32 v34, 3, v0
	v_and_b32_e32 v37, 7, v0
	;; [unrolled: 1-line block ×5, first 2 shown]
	v_min_u32_e32 v1, 0x300, v2
	v_min_u32_e32 v2, 0x300, v3
	;; [unrolled: 1-line block ×5, first 2 shown]
	v_add_u32_e32 v6, 3, v33
	v_add_u32_e32 v7, 6, v7
	;; [unrolled: 1-line block ×12, first 2 shown]
	v_and_b32_e32 v64, 0x7f, v0
	v_cndmask_b32_e64 v31, 0, 3, vcc
	v_mul_u32_u24_e32 v32, 3, v34
	v_mul_u32_u24_e32 v35, 3, v37
	;; [unrolled: 1-line block ×5, first 2 shown]
	v_sub_u32_e32 v48, v7, v6
	v_sub_u32_e32 v49, v9, v8
	;; [unrolled: 1-line block ×6, first 2 shown]
	v_mul_u32_u24_e32 v65, 3, v64
	v_sub_u32_e32 v18, v8, v1
	v_sub_u32_e32 v19, v10, v2
	;; [unrolled: 1-line block ×11, first 2 shown]
	v_cmp_ge_i32_e32 vcc, v31, v48
	v_cmp_ge_i32_e64 s[0:1], v32, v49
	v_cmp_ge_i32_e64 s[2:3], v35, v50
	;; [unrolled: 1-line block ×5, first 2 shown]
	s_waitcnt vmcnt(2)
	v_add_u16_e32 v56, 1, v27
	s_waitcnt vmcnt(1)
	v_perm_b32 v23, v27, v28, s29
	s_waitcnt vmcnt(0)
	v_lshlrev_b32_e32 v24, 16, v29
	v_or_b32_e32 v58, v23, v24
	v_and_b32_e32 v23, 0x80, v0
	v_mul_u32_u24_e32 v25, 3, v23
	v_min_u32_e32 v23, 0x180, v25
	v_min_u32_e32 v66, 0x240, v25
	v_add_u32_e32 v23, 0x180, v23
	v_add_u32_e32 v24, 0xc0, v66
	v_sub_u32_e32 v67, v23, v24
	v_min_u32_e32 v25, 0x300, v25
	v_min_u32_e32 v27, 0x300, v30
	v_sub_u32_e32 v68, v65, v67
	v_sub_u32_e32 v26, v24, v25
	v_add_u16_e32 v55, 1, v29
	v_sub_u32_e32 v29, v6, v27
	v_cmp_ge_i32_e64 s[10:11], v65, v67
	v_mul_u32_u24_e32 v50, 3, v0
	v_mov_b32_e32 v51, 0x180
	v_min_i32_e32 v18, v32, v18
	v_min_i32_e32 v19, v35, v19
	v_min_i32_e32 v20, v38, v20
	v_min_i32_e32 v21, v41, v21
	v_min_i32_e32 v22, v44, v22
	v_min_i32_e32 v26, v65, v26
	v_add_u16_e32 v57, 1, v28
	v_cndmask_b32_e32 v28, 0, v54, vcc
	v_min_i32_e32 v29, v31, v29
	v_add_u32_e32 v30, v33, v31
	v_cndmask_b32_e64 v32, 0, v59, s[0:1]
	v_mad_u32_u24 v33, v34, 3, v36
	v_cndmask_b32_e64 v35, 0, v60, s[2:3]
	v_mad_u32_u24 v36, v37, 3, v39
	;; [unrolled: 2-line block ×5, first 2 shown]
	v_cndmask_b32_e64 v47, 0, v68, s[10:11]
	v_sub_u32_e64 v52, v50, v51 clamp
	v_min_i32_e32 v53, 0x180, v50
	s_movk_i32 s30, 0x300
	s_mov_b32 s31, 0
	v_cmp_lt_i32_e32 vcc, v28, v29
	v_add_u32_e32 v31, v6, v31
	v_cmp_lt_i32_e64 s[0:1], v32, v18
	v_mad_u32_u24 v34, v34, 3, v8
	v_cmp_lt_i32_e64 s[2:3], v35, v19
	v_mad_u32_u24 v37, v37, 3, v10
	;; [unrolled: 2-line block ×6, first 2 shown]
	v_mad_u32_u24 v49, v64, 3, v24
	v_cmp_lt_i32_e64 s[12:13], v52, v53
	s_mov_b32 s33, 0x7060405
	s_mov_b32 s34, 0x7000604
	s_mov_b32 s35, 0xffff0000
	s_mov_b32 s36, 0xc0c0001
	s_mov_b32 s37, 0xff0000
	v_mad_u32_u24 v54, v0, 3, v51
	s_branch .LBB65_2
.LBB65_1:                               ;   in Loop: Header=BB65_2 Depth=1
	s_or_b64 exec, exec, s[18:19]
	v_cndmask_b32_e64 v60, v60, v61, s[14:15]
	v_cndmask_b32_e64 v61, v62, v63, s[16:17]
	v_cmp_ge_i32_e64 s[16:17], v65, v51
	s_waitcnt lgkmcnt(0)
	v_cmp_lt_i16_sdwa s[18:19], sext(v69), sext(v67) src0_sel:BYTE_0 src1_sel:BYTE_0
	v_cndmask_b32_e64 v58, v58, v59, s[14:15]
	v_cmp_gt_i32_e64 s[14:15], s30, v64
	s_or_b64 s[16:17], s[16:17], s[18:19]
	s_and_b64 s[14:15], s[14:15], s[16:17]
	v_cndmask_b32_e64 v64, v65, v64, s[14:15]
	s_barrier
	ds_write_b8 v50, v55
	ds_write_b8 v50, v57 offset:1
	ds_write_b8 v50, v56 offset:2
	s_waitcnt lgkmcnt(0)
	s_barrier
	ds_read_u8 v56, v58
	ds_read_u8 v57, v66
	ds_read_u8 v55, v64
	v_cndmask_b32_e64 v59, v67, v69, s[14:15]
	v_lshlrev_b16_e32 v62, 8, v61
	v_and_b32_e32 v63, 0xff, v59
	v_or_b32_sdwa v62, v60, v62 dst_sel:DWORD dst_unused:UNUSED_PAD src0_sel:BYTE_0 src1_sel:DWORD
	v_lshlrev_b32_e32 v58, 16, v63
	s_add_i32 s31, s31, 1
	s_cmp_eq_u32 s31, 10
	v_or_b32_sdwa v58, v62, v58 dst_sel:DWORD dst_unused:UNUSED_PAD src0_sel:WORD_0 src1_sel:DWORD
	s_cbranch_scc1 .LBB65_98
.LBB65_2:                               ; =>This Loop Header: Depth=1
                                        ;     Child Loop BB65_4 Depth 2
                                        ;     Child Loop BB65_16 Depth 2
	;; [unrolled: 1-line block ×8, first 2 shown]
	v_lshrrev_b32_e32 v60, 8, v58
	v_perm_b32 v59, v58, v58, s33
	v_cmp_lt_i16_sdwa s[14:15], sext(v60), sext(v58) src0_sel:BYTE_0 src1_sel:BYTE_0
	v_cndmask_b32_e64 v59, v58, v59, s[14:15]
	v_lshrrev_b32_e32 v61, 16, v59
	v_max_i16_sdwa v58, sext(v60), sext(v58) dst_sel:DWORD dst_unused:UNUSED_PAD src0_sel:BYTE_0 src1_sel:BYTE_0
	v_perm_b32 v60, v59, v58, s34
	v_cmp_lt_i16_sdwa s[16:17], sext(v61), v58 src0_sel:BYTE_0 src1_sel:DWORD
	v_cndmask_b32_e64 v59, v59, v60, s[16:17]
	v_lshlrev_b16_e32 v60, 8, v59
	v_min_i16_sdwa v58, sext(v61), v58 dst_sel:DWORD dst_unused:UNUSED_PAD src0_sel:BYTE_0 src1_sel:DWORD
	v_or_b32_sdwa v60, v58, v60 dst_sel:DWORD dst_unused:UNUSED_PAD src0_sel:BYTE_0 src1_sel:DWORD
	v_and_b32_e32 v60, 0xffff, v60
	v_and_or_b32 v60, v59, s35, v60
	v_cmp_lt_i16_sdwa s[18:19], v58, sext(v59) src0_sel:DWORD src1_sel:BYTE_0
	v_cndmask_b32_e64 v58, v59, v60, s[18:19]
	v_lshrrev_b32_e32 v59, 8, v58
	s_waitcnt lgkmcnt(0)
	s_barrier
	ds_write_b8 v50, v58
	ds_write_b8 v50, v59 offset:1
	ds_write_b8_d16_hi v50, v58 offset:2
	v_mov_b32_e32 v59, v28
	s_waitcnt lgkmcnt(0)
	s_barrier
	s_and_saveexec_b64 s[22:23], vcc
	s_cbranch_execz .LBB65_6
; %bb.3:                                ;   in Loop: Header=BB65_2 Depth=1
	s_mov_b64 s[24:25], 0
	v_mov_b32_e32 v59, v28
	v_mov_b32_e32 v58, v29
.LBB65_4:                               ;   Parent Loop BB65_2 Depth=1
                                        ; =>  This Inner Loop Header: Depth=2
	v_sub_u32_e32 v60, v58, v59
	v_lshrrev_b32_e32 v60, 1, v60
	v_add_u32_e32 v60, v60, v59
	v_add_u32_e32 v61, v27, v60
	v_xad_u32 v62, v60, -1, v30
	ds_read_i8 v61, v61
	ds_read_i8 v62, v62 offset:3
	v_add_u32_e32 v63, 1, v60
	s_waitcnt lgkmcnt(0)
	v_cmp_lt_i16_e64 s[20:21], v62, v61
	v_cndmask_b32_e64 v58, v58, v60, s[20:21]
	v_cndmask_b32_e64 v59, v63, v59, s[20:21]
	v_cmp_ge_i32_e64 s[20:21], v59, v58
	s_or_b64 s[24:25], s[20:21], s[24:25]
	s_andn2_b64 exec, exec, s[24:25]
	s_cbranch_execnz .LBB65_4
; %bb.5:                                ;   in Loop: Header=BB65_2 Depth=1
	s_or_b64 exec, exec, s[24:25]
.LBB65_6:                               ;   in Loop: Header=BB65_2 Depth=1
	s_or_b64 exec, exec, s[22:23]
	v_add_u32_e32 v58, v59, v27
	v_sub_u32_e32 v63, v30, v59
	ds_read_u8 v60, v58
	ds_read_u8 v61, v63 offset:3
	v_sub_u32_e32 v59, v31, v59
	v_cmp_le_i32_e64 s[22:23], v6, v58
	v_cmp_gt_i32_e64 s[20:21], v7, v59
	s_waitcnt lgkmcnt(1)
	v_bfe_i32 v60, v60, 0, 8
	s_waitcnt lgkmcnt(0)
	v_bfe_i32 v61, v61, 0, 8
	v_cmp_lt_i16_e64 s[24:25], v61, v60
	s_or_b64 s[22:23], s[22:23], s[24:25]
	s_and_b64 s[20:21], s[20:21], s[22:23]
	s_xor_b64 s[22:23], s[20:21], -1
                                        ; implicit-def: $vgpr62
	s_and_saveexec_b64 s[24:25], s[22:23]
	s_xor_b64 s[22:23], exec, s[24:25]
; %bb.7:                                ;   in Loop: Header=BB65_2 Depth=1
	ds_read_u8 v62, v58 offset:1
                                        ; implicit-def: $vgpr63
; %bb.8:                                ;   in Loop: Header=BB65_2 Depth=1
	s_or_saveexec_b64 s[22:23], s[22:23]
	v_mov_b32_e32 v64, v61
	s_xor_b64 exec, exec, s[22:23]
	s_cbranch_execz .LBB65_10
; %bb.9:                                ;   in Loop: Header=BB65_2 Depth=1
	ds_read_u8 v64, v63 offset:4
	s_waitcnt lgkmcnt(1)
	v_mov_b32_e32 v62, v60
.LBB65_10:                              ;   in Loop: Header=BB65_2 Depth=1
	s_or_b64 exec, exec, s[22:23]
	v_add_u32_e32 v66, 1, v58
	v_add_u32_e32 v63, 1, v59
	v_cndmask_b32_e64 v66, v66, v58, s[20:21]
	v_cndmask_b32_e64 v65, v59, v63, s[20:21]
	v_cmp_ge_i32_e64 s[24:25], v66, v6
	s_waitcnt lgkmcnt(0)
	v_cmp_lt_i16_sdwa s[38:39], sext(v64), sext(v62) src0_sel:BYTE_0 src1_sel:BYTE_0
	v_cmp_lt_i32_e64 s[22:23], v65, v7
	s_or_b64 s[24:25], s[24:25], s[38:39]
	s_and_b64 s[22:23], s[22:23], s[24:25]
	s_xor_b64 s[24:25], s[22:23], -1
                                        ; implicit-def: $vgpr63
	s_and_saveexec_b64 s[38:39], s[24:25]
	s_xor_b64 s[24:25], exec, s[38:39]
; %bb.11:                               ;   in Loop: Header=BB65_2 Depth=1
	ds_read_u8 v63, v66 offset:1
; %bb.12:                               ;   in Loop: Header=BB65_2 Depth=1
	s_or_saveexec_b64 s[24:25], s[24:25]
	v_mov_b32_e32 v67, v64
	s_xor_b64 exec, exec, s[24:25]
	s_cbranch_execz .LBB65_14
; %bb.13:                               ;   in Loop: Header=BB65_2 Depth=1
	ds_read_u8 v67, v65 offset:1
	s_waitcnt lgkmcnt(1)
	v_mov_b32_e32 v63, v62
.LBB65_14:                              ;   in Loop: Header=BB65_2 Depth=1
	s_or_b64 exec, exec, s[24:25]
	v_cndmask_b32_e64 v58, v58, v59, s[20:21]
	v_perm_b32 v59, v57, v56, s29
	v_perm_b32 v56, v56, v57, s29
	v_and_b32_e32 v57, 0xff, v55
	v_cndmask_b32_e64 v56, v56, v59, s[14:15]
	v_lshlrev_b32_e32 v57, 16, v57
	v_lshrrev_b16_e32 v59, 8, v56
	v_or_b32_e32 v57, v56, v57
	v_perm_b32 v55, v56, v55, s29
	v_lshlrev_b32_e32 v56, 16, v59
	v_or_b32_e32 v55, v55, v56
	v_cndmask_b32_e64 v55, v57, v55, s[16:17]
	v_add_u32_e32 v68, 1, v66
	v_perm_b32 v56, 0, v55, s36
	v_cndmask_b32_e64 v62, v62, v64, s[22:23]
	v_add_u32_e32 v64, 1, v65
	v_cndmask_b32_e64 v68, v68, v66, s[22:23]
	v_and_or_b32 v56, v55, s37, v56
	v_cndmask_b32_e64 v64, v65, v64, s[22:23]
	v_cndmask_b32_e64 v55, v55, v56, s[18:19]
	v_cmp_ge_i32_e64 s[16:17], v68, v6
	s_waitcnt lgkmcnt(0)
	v_cmp_lt_i16_sdwa s[18:19], sext(v67), sext(v63) src0_sel:BYTE_0 src1_sel:BYTE_0
	v_cmp_lt_i32_e64 s[14:15], v64, v7
	s_or_b64 s[16:17], s[16:17], s[18:19]
	s_and_b64 s[14:15], s[14:15], s[16:17]
	v_cndmask_b32_e64 v56, v68, v64, s[14:15]
	v_lshrrev_b32_e32 v57, 8, v55
	v_cndmask_b32_e64 v65, v66, v65, s[22:23]
	s_barrier
	ds_write_b8 v50, v55
	ds_write_b8 v50, v57 offset:1
	ds_write_b8_d16_hi v50, v55 offset:2
	s_waitcnt lgkmcnt(0)
	s_barrier
	ds_read_u8 v55, v58
	ds_read_u8 v56, v56
	;; [unrolled: 1-line block ×3, first 2 shown]
	v_cndmask_b32_e64 v60, v60, v61, s[20:21]
	v_cndmask_b32_e64 v59, v63, v67, s[14:15]
	s_waitcnt lgkmcnt(0)
	s_barrier
	ds_write_b8 v50, v60
	ds_write_b8 v50, v62 offset:1
	ds_write_b8 v50, v59 offset:2
	v_mov_b32_e32 v59, v32
	s_waitcnt lgkmcnt(0)
	s_barrier
	s_and_saveexec_b64 s[16:17], s[0:1]
	s_cbranch_execz .LBB65_18
; %bb.15:                               ;   in Loop: Header=BB65_2 Depth=1
	s_mov_b64 s[18:19], 0
	v_mov_b32_e32 v59, v32
	v_mov_b32_e32 v58, v18
.LBB65_16:                              ;   Parent Loop BB65_2 Depth=1
                                        ; =>  This Inner Loop Header: Depth=2
	v_sub_u32_e32 v60, v58, v59
	v_lshrrev_b32_e32 v60, 1, v60
	v_add_u32_e32 v60, v60, v59
	v_add_u32_e32 v61, v1, v60
	v_xad_u32 v62, v60, -1, v33
	ds_read_i8 v61, v61
	ds_read_i8 v62, v62 offset:6
	v_add_u32_e32 v63, 1, v60
	s_waitcnt lgkmcnt(0)
	v_cmp_lt_i16_e64 s[14:15], v62, v61
	v_cndmask_b32_e64 v58, v58, v60, s[14:15]
	v_cndmask_b32_e64 v59, v63, v59, s[14:15]
	v_cmp_ge_i32_e64 s[14:15], v59, v58
	s_or_b64 s[18:19], s[14:15], s[18:19]
	s_andn2_b64 exec, exec, s[18:19]
	s_cbranch_execnz .LBB65_16
; %bb.17:                               ;   in Loop: Header=BB65_2 Depth=1
	s_or_b64 exec, exec, s[18:19]
.LBB65_18:                              ;   in Loop: Header=BB65_2 Depth=1
	s_or_b64 exec, exec, s[16:17]
	v_add_u32_e32 v58, v59, v1
	v_sub_u32_e32 v64, v33, v59
	ds_read_u8 v60, v58
	ds_read_u8 v61, v64 offset:6
	v_sub_u32_e32 v59, v34, v59
	v_cmp_le_i32_e64 s[16:17], v8, v58
	v_cmp_gt_i32_e64 s[14:15], v9, v59
	s_waitcnt lgkmcnt(1)
	v_bfe_i32 v60, v60, 0, 8
	s_waitcnt lgkmcnt(0)
	v_bfe_i32 v61, v61, 0, 8
	v_cmp_lt_i16_e64 s[18:19], v61, v60
	s_or_b64 s[16:17], s[16:17], s[18:19]
	s_and_b64 s[14:15], s[14:15], s[16:17]
	s_xor_b64 s[16:17], s[14:15], -1
                                        ; implicit-def: $vgpr62
	s_and_saveexec_b64 s[18:19], s[16:17]
	s_xor_b64 s[16:17], exec, s[18:19]
; %bb.19:                               ;   in Loop: Header=BB65_2 Depth=1
	ds_read_u8 v62, v58 offset:1
                                        ; implicit-def: $vgpr64
; %bb.20:                               ;   in Loop: Header=BB65_2 Depth=1
	s_or_saveexec_b64 s[16:17], s[16:17]
	v_mov_b32_e32 v63, v61
	s_xor_b64 exec, exec, s[16:17]
	s_cbranch_execz .LBB65_22
; %bb.21:                               ;   in Loop: Header=BB65_2 Depth=1
	ds_read_u8 v63, v64 offset:7
	s_waitcnt lgkmcnt(1)
	v_mov_b32_e32 v62, v60
.LBB65_22:                              ;   in Loop: Header=BB65_2 Depth=1
	s_or_b64 exec, exec, s[16:17]
	v_add_u32_e32 v65, 1, v58
	v_add_u32_e32 v64, 1, v59
	v_cndmask_b32_e64 v65, v65, v58, s[14:15]
	v_cndmask_b32_e64 v64, v59, v64, s[14:15]
	v_cmp_ge_i32_e64 s[18:19], v65, v8
	s_waitcnt lgkmcnt(0)
	v_cmp_lt_i16_sdwa s[20:21], sext(v63), sext(v62) src0_sel:BYTE_0 src1_sel:BYTE_0
	v_cmp_lt_i32_e64 s[16:17], v64, v9
	s_or_b64 s[18:19], s[18:19], s[20:21]
	s_and_b64 s[16:17], s[16:17], s[18:19]
	s_xor_b64 s[18:19], s[16:17], -1
                                        ; implicit-def: $vgpr66
	s_and_saveexec_b64 s[20:21], s[18:19]
	s_xor_b64 s[18:19], exec, s[20:21]
; %bb.23:                               ;   in Loop: Header=BB65_2 Depth=1
	ds_read_u8 v66, v65 offset:1
; %bb.24:                               ;   in Loop: Header=BB65_2 Depth=1
	s_or_saveexec_b64 s[18:19], s[18:19]
	v_mov_b32_e32 v67, v63
	s_xor_b64 exec, exec, s[18:19]
	s_cbranch_execz .LBB65_26
; %bb.25:                               ;   in Loop: Header=BB65_2 Depth=1
	ds_read_u8 v67, v64 offset:1
	s_waitcnt lgkmcnt(1)
	v_mov_b32_e32 v66, v62
.LBB65_26:                              ;   in Loop: Header=BB65_2 Depth=1
	s_or_b64 exec, exec, s[18:19]
	v_add_u32_e32 v68, 1, v65
	v_cndmask_b32_e64 v62, v62, v63, s[16:17]
	v_add_u32_e32 v63, 1, v64
	v_cndmask_b32_e64 v68, v68, v65, s[16:17]
	v_cndmask_b32_e64 v63, v64, v63, s[16:17]
	;; [unrolled: 1-line block ×3, first 2 shown]
	v_cmp_ge_i32_e64 s[16:17], v68, v8
	s_waitcnt lgkmcnt(0)
	v_cmp_lt_i16_sdwa s[18:19], sext(v67), sext(v66) src0_sel:BYTE_0 src1_sel:BYTE_0
	v_cndmask_b32_e64 v60, v60, v61, s[14:15]
	v_cndmask_b32_e64 v58, v58, v59, s[14:15]
	v_cmp_lt_i32_e64 s[14:15], v63, v9
	s_or_b64 s[16:17], s[16:17], s[18:19]
	s_and_b64 s[14:15], s[14:15], s[16:17]
	v_cndmask_b32_e64 v61, v68, v63, s[14:15]
	s_barrier
	ds_write_b8 v50, v55
	ds_write_b8 v50, v57 offset:1
	ds_write_b8 v50, v56 offset:2
	s_waitcnt lgkmcnt(0)
	s_barrier
	ds_read_u8 v55, v58
	ds_read_u8 v56, v61
	;; [unrolled: 1-line block ×3, first 2 shown]
	v_cndmask_b32_e64 v59, v66, v67, s[14:15]
	s_waitcnt lgkmcnt(0)
	s_barrier
	ds_write_b8 v50, v60
	ds_write_b8 v50, v62 offset:1
	ds_write_b8 v50, v59 offset:2
	v_mov_b32_e32 v59, v35
	s_waitcnt lgkmcnt(0)
	s_barrier
	s_and_saveexec_b64 s[16:17], s[2:3]
	s_cbranch_execz .LBB65_30
; %bb.27:                               ;   in Loop: Header=BB65_2 Depth=1
	s_mov_b64 s[18:19], 0
	v_mov_b32_e32 v59, v35
	v_mov_b32_e32 v58, v19
.LBB65_28:                              ;   Parent Loop BB65_2 Depth=1
                                        ; =>  This Inner Loop Header: Depth=2
	v_sub_u32_e32 v60, v58, v59
	v_lshrrev_b32_e32 v60, 1, v60
	v_add_u32_e32 v60, v60, v59
	v_add_u32_e32 v61, v2, v60
	v_xad_u32 v62, v60, -1, v36
	ds_read_i8 v61, v61
	ds_read_i8 v62, v62 offset:12
	v_add_u32_e32 v63, 1, v60
	s_waitcnt lgkmcnt(0)
	v_cmp_lt_i16_e64 s[14:15], v62, v61
	v_cndmask_b32_e64 v58, v58, v60, s[14:15]
	v_cndmask_b32_e64 v59, v63, v59, s[14:15]
	v_cmp_ge_i32_e64 s[14:15], v59, v58
	s_or_b64 s[18:19], s[14:15], s[18:19]
	s_andn2_b64 exec, exec, s[18:19]
	s_cbranch_execnz .LBB65_28
; %bb.29:                               ;   in Loop: Header=BB65_2 Depth=1
	s_or_b64 exec, exec, s[18:19]
.LBB65_30:                              ;   in Loop: Header=BB65_2 Depth=1
	s_or_b64 exec, exec, s[16:17]
	v_add_u32_e32 v58, v59, v2
	v_sub_u32_e32 v64, v36, v59
	ds_read_u8 v60, v58
	ds_read_u8 v61, v64 offset:12
	v_sub_u32_e32 v59, v37, v59
	v_cmp_le_i32_e64 s[16:17], v10, v58
	v_cmp_gt_i32_e64 s[14:15], v11, v59
	s_waitcnt lgkmcnt(1)
	v_bfe_i32 v60, v60, 0, 8
	s_waitcnt lgkmcnt(0)
	v_bfe_i32 v61, v61, 0, 8
	v_cmp_lt_i16_e64 s[18:19], v61, v60
	s_or_b64 s[16:17], s[16:17], s[18:19]
	s_and_b64 s[14:15], s[14:15], s[16:17]
	s_xor_b64 s[16:17], s[14:15], -1
                                        ; implicit-def: $vgpr62
	s_and_saveexec_b64 s[18:19], s[16:17]
	s_xor_b64 s[16:17], exec, s[18:19]
; %bb.31:                               ;   in Loop: Header=BB65_2 Depth=1
	ds_read_u8 v62, v58 offset:1
                                        ; implicit-def: $vgpr64
; %bb.32:                               ;   in Loop: Header=BB65_2 Depth=1
	s_or_saveexec_b64 s[16:17], s[16:17]
	v_mov_b32_e32 v63, v61
	s_xor_b64 exec, exec, s[16:17]
	s_cbranch_execz .LBB65_34
; %bb.33:                               ;   in Loop: Header=BB65_2 Depth=1
	ds_read_u8 v63, v64 offset:13
	s_waitcnt lgkmcnt(1)
	v_mov_b32_e32 v62, v60
.LBB65_34:                              ;   in Loop: Header=BB65_2 Depth=1
	s_or_b64 exec, exec, s[16:17]
	v_add_u32_e32 v65, 1, v58
	v_add_u32_e32 v64, 1, v59
	v_cndmask_b32_e64 v65, v65, v58, s[14:15]
	v_cndmask_b32_e64 v64, v59, v64, s[14:15]
	v_cmp_ge_i32_e64 s[18:19], v65, v10
	s_waitcnt lgkmcnt(0)
	v_cmp_lt_i16_sdwa s[20:21], sext(v63), sext(v62) src0_sel:BYTE_0 src1_sel:BYTE_0
	v_cmp_lt_i32_e64 s[16:17], v64, v11
	s_or_b64 s[18:19], s[18:19], s[20:21]
	s_and_b64 s[16:17], s[16:17], s[18:19]
	s_xor_b64 s[18:19], s[16:17], -1
                                        ; implicit-def: $vgpr66
	s_and_saveexec_b64 s[20:21], s[18:19]
	s_xor_b64 s[18:19], exec, s[20:21]
; %bb.35:                               ;   in Loop: Header=BB65_2 Depth=1
	ds_read_u8 v66, v65 offset:1
; %bb.36:                               ;   in Loop: Header=BB65_2 Depth=1
	s_or_saveexec_b64 s[18:19], s[18:19]
	v_mov_b32_e32 v67, v63
	s_xor_b64 exec, exec, s[18:19]
	s_cbranch_execz .LBB65_38
; %bb.37:                               ;   in Loop: Header=BB65_2 Depth=1
	ds_read_u8 v67, v64 offset:1
	s_waitcnt lgkmcnt(1)
	v_mov_b32_e32 v66, v62
.LBB65_38:                              ;   in Loop: Header=BB65_2 Depth=1
	s_or_b64 exec, exec, s[18:19]
	v_add_u32_e32 v68, 1, v65
	v_cndmask_b32_e64 v62, v62, v63, s[16:17]
	v_add_u32_e32 v63, 1, v64
	v_cndmask_b32_e64 v68, v68, v65, s[16:17]
	v_cndmask_b32_e64 v63, v64, v63, s[16:17]
	;; [unrolled: 1-line block ×3, first 2 shown]
	v_cmp_ge_i32_e64 s[16:17], v68, v10
	s_waitcnt lgkmcnt(0)
	v_cmp_lt_i16_sdwa s[18:19], sext(v67), sext(v66) src0_sel:BYTE_0 src1_sel:BYTE_0
	v_cndmask_b32_e64 v60, v60, v61, s[14:15]
	v_cndmask_b32_e64 v58, v58, v59, s[14:15]
	v_cmp_lt_i32_e64 s[14:15], v63, v11
	s_or_b64 s[16:17], s[16:17], s[18:19]
	s_and_b64 s[14:15], s[14:15], s[16:17]
	v_cndmask_b32_e64 v61, v68, v63, s[14:15]
	s_barrier
	ds_write_b8 v50, v55
	ds_write_b8 v50, v57 offset:1
	ds_write_b8 v50, v56 offset:2
	s_waitcnt lgkmcnt(0)
	s_barrier
	ds_read_u8 v55, v58
	ds_read_u8 v56, v61
	;; [unrolled: 1-line block ×3, first 2 shown]
	v_cndmask_b32_e64 v59, v66, v67, s[14:15]
	s_waitcnt lgkmcnt(0)
	s_barrier
	ds_write_b8 v50, v60
	ds_write_b8 v50, v62 offset:1
	ds_write_b8 v50, v59 offset:2
	v_mov_b32_e32 v59, v38
	s_waitcnt lgkmcnt(0)
	s_barrier
	s_and_saveexec_b64 s[16:17], s[4:5]
	s_cbranch_execz .LBB65_42
; %bb.39:                               ;   in Loop: Header=BB65_2 Depth=1
	s_mov_b64 s[18:19], 0
	v_mov_b32_e32 v59, v38
	v_mov_b32_e32 v58, v20
.LBB65_40:                              ;   Parent Loop BB65_2 Depth=1
                                        ; =>  This Inner Loop Header: Depth=2
	v_sub_u32_e32 v60, v58, v59
	v_lshrrev_b32_e32 v60, 1, v60
	v_add_u32_e32 v60, v60, v59
	v_add_u32_e32 v61, v3, v60
	v_xad_u32 v62, v60, -1, v39
	ds_read_i8 v61, v61
	ds_read_i8 v62, v62 offset:24
	v_add_u32_e32 v63, 1, v60
	s_waitcnt lgkmcnt(0)
	v_cmp_lt_i16_e64 s[14:15], v62, v61
	v_cndmask_b32_e64 v58, v58, v60, s[14:15]
	v_cndmask_b32_e64 v59, v63, v59, s[14:15]
	v_cmp_ge_i32_e64 s[14:15], v59, v58
	s_or_b64 s[18:19], s[14:15], s[18:19]
	s_andn2_b64 exec, exec, s[18:19]
	s_cbranch_execnz .LBB65_40
; %bb.41:                               ;   in Loop: Header=BB65_2 Depth=1
	s_or_b64 exec, exec, s[18:19]
.LBB65_42:                              ;   in Loop: Header=BB65_2 Depth=1
	s_or_b64 exec, exec, s[16:17]
	v_add_u32_e32 v58, v59, v3
	v_sub_u32_e32 v64, v39, v59
	ds_read_u8 v60, v58
	ds_read_u8 v61, v64 offset:24
	v_sub_u32_e32 v59, v40, v59
	v_cmp_le_i32_e64 s[16:17], v13, v58
	v_cmp_gt_i32_e64 s[14:15], v12, v59
	s_waitcnt lgkmcnt(1)
	v_bfe_i32 v60, v60, 0, 8
	s_waitcnt lgkmcnt(0)
	v_bfe_i32 v61, v61, 0, 8
	v_cmp_lt_i16_e64 s[18:19], v61, v60
	s_or_b64 s[16:17], s[16:17], s[18:19]
	s_and_b64 s[14:15], s[14:15], s[16:17]
	s_xor_b64 s[16:17], s[14:15], -1
                                        ; implicit-def: $vgpr62
	s_and_saveexec_b64 s[18:19], s[16:17]
	s_xor_b64 s[16:17], exec, s[18:19]
; %bb.43:                               ;   in Loop: Header=BB65_2 Depth=1
	ds_read_u8 v62, v58 offset:1
                                        ; implicit-def: $vgpr64
; %bb.44:                               ;   in Loop: Header=BB65_2 Depth=1
	s_or_saveexec_b64 s[16:17], s[16:17]
	v_mov_b32_e32 v63, v61
	s_xor_b64 exec, exec, s[16:17]
	s_cbranch_execz .LBB65_46
; %bb.45:                               ;   in Loop: Header=BB65_2 Depth=1
	ds_read_u8 v63, v64 offset:25
	s_waitcnt lgkmcnt(1)
	v_mov_b32_e32 v62, v60
.LBB65_46:                              ;   in Loop: Header=BB65_2 Depth=1
	s_or_b64 exec, exec, s[16:17]
	v_add_u32_e32 v65, 1, v58
	v_add_u32_e32 v64, 1, v59
	v_cndmask_b32_e64 v65, v65, v58, s[14:15]
	v_cndmask_b32_e64 v64, v59, v64, s[14:15]
	v_cmp_ge_i32_e64 s[18:19], v65, v13
	s_waitcnt lgkmcnt(0)
	v_cmp_lt_i16_sdwa s[20:21], sext(v63), sext(v62) src0_sel:BYTE_0 src1_sel:BYTE_0
	v_cmp_lt_i32_e64 s[16:17], v64, v12
	s_or_b64 s[18:19], s[18:19], s[20:21]
	s_and_b64 s[16:17], s[16:17], s[18:19]
	s_xor_b64 s[18:19], s[16:17], -1
                                        ; implicit-def: $vgpr66
	s_and_saveexec_b64 s[20:21], s[18:19]
	s_xor_b64 s[18:19], exec, s[20:21]
; %bb.47:                               ;   in Loop: Header=BB65_2 Depth=1
	ds_read_u8 v66, v65 offset:1
; %bb.48:                               ;   in Loop: Header=BB65_2 Depth=1
	s_or_saveexec_b64 s[18:19], s[18:19]
	v_mov_b32_e32 v67, v63
	s_xor_b64 exec, exec, s[18:19]
	s_cbranch_execz .LBB65_50
; %bb.49:                               ;   in Loop: Header=BB65_2 Depth=1
	ds_read_u8 v67, v64 offset:1
	s_waitcnt lgkmcnt(1)
	v_mov_b32_e32 v66, v62
.LBB65_50:                              ;   in Loop: Header=BB65_2 Depth=1
	s_or_b64 exec, exec, s[18:19]
	v_add_u32_e32 v68, 1, v65
	v_cndmask_b32_e64 v62, v62, v63, s[16:17]
	v_add_u32_e32 v63, 1, v64
	v_cndmask_b32_e64 v68, v68, v65, s[16:17]
	v_cndmask_b32_e64 v63, v64, v63, s[16:17]
	;; [unrolled: 1-line block ×3, first 2 shown]
	v_cmp_ge_i32_e64 s[16:17], v68, v13
	s_waitcnt lgkmcnt(0)
	v_cmp_lt_i16_sdwa s[18:19], sext(v67), sext(v66) src0_sel:BYTE_0 src1_sel:BYTE_0
	v_cndmask_b32_e64 v60, v60, v61, s[14:15]
	v_cndmask_b32_e64 v58, v58, v59, s[14:15]
	v_cmp_lt_i32_e64 s[14:15], v63, v12
	s_or_b64 s[16:17], s[16:17], s[18:19]
	s_and_b64 s[14:15], s[14:15], s[16:17]
	v_cndmask_b32_e64 v61, v68, v63, s[14:15]
	s_barrier
	ds_write_b8 v50, v55
	ds_write_b8 v50, v57 offset:1
	ds_write_b8 v50, v56 offset:2
	s_waitcnt lgkmcnt(0)
	s_barrier
	ds_read_u8 v55, v58
	ds_read_u8 v56, v61
	ds_read_u8 v57, v64
	v_cndmask_b32_e64 v59, v66, v67, s[14:15]
	s_waitcnt lgkmcnt(0)
	s_barrier
	ds_write_b8 v50, v60
	ds_write_b8 v50, v62 offset:1
	ds_write_b8 v50, v59 offset:2
	v_mov_b32_e32 v59, v41
	s_waitcnt lgkmcnt(0)
	s_barrier
	s_and_saveexec_b64 s[16:17], s[6:7]
	s_cbranch_execz .LBB65_54
; %bb.51:                               ;   in Loop: Header=BB65_2 Depth=1
	s_mov_b64 s[18:19], 0
	v_mov_b32_e32 v59, v41
	v_mov_b32_e32 v58, v21
.LBB65_52:                              ;   Parent Loop BB65_2 Depth=1
                                        ; =>  This Inner Loop Header: Depth=2
	v_sub_u32_e32 v60, v58, v59
	v_lshrrev_b32_e32 v60, 1, v60
	v_add_u32_e32 v60, v60, v59
	v_add_u32_e32 v61, v4, v60
	v_xad_u32 v62, v60, -1, v42
	ds_read_i8 v61, v61
	ds_read_i8 v62, v62 offset:48
	v_add_u32_e32 v63, 1, v60
	s_waitcnt lgkmcnt(0)
	v_cmp_lt_i16_e64 s[14:15], v62, v61
	v_cndmask_b32_e64 v58, v58, v60, s[14:15]
	v_cndmask_b32_e64 v59, v63, v59, s[14:15]
	v_cmp_ge_i32_e64 s[14:15], v59, v58
	s_or_b64 s[18:19], s[14:15], s[18:19]
	s_andn2_b64 exec, exec, s[18:19]
	s_cbranch_execnz .LBB65_52
; %bb.53:                               ;   in Loop: Header=BB65_2 Depth=1
	s_or_b64 exec, exec, s[18:19]
.LBB65_54:                              ;   in Loop: Header=BB65_2 Depth=1
	s_or_b64 exec, exec, s[16:17]
	v_add_u32_e32 v58, v59, v4
	v_sub_u32_e32 v64, v42, v59
	ds_read_u8 v60, v58
	ds_read_u8 v61, v64 offset:48
	v_sub_u32_e32 v59, v43, v59
	v_cmp_le_i32_e64 s[16:17], v15, v58
	v_cmp_gt_i32_e64 s[14:15], v14, v59
	s_waitcnt lgkmcnt(1)
	v_bfe_i32 v60, v60, 0, 8
	s_waitcnt lgkmcnt(0)
	v_bfe_i32 v61, v61, 0, 8
	v_cmp_lt_i16_e64 s[18:19], v61, v60
	s_or_b64 s[16:17], s[16:17], s[18:19]
	s_and_b64 s[14:15], s[14:15], s[16:17]
	s_xor_b64 s[16:17], s[14:15], -1
                                        ; implicit-def: $vgpr62
	s_and_saveexec_b64 s[18:19], s[16:17]
	s_xor_b64 s[16:17], exec, s[18:19]
; %bb.55:                               ;   in Loop: Header=BB65_2 Depth=1
	ds_read_u8 v62, v58 offset:1
                                        ; implicit-def: $vgpr64
; %bb.56:                               ;   in Loop: Header=BB65_2 Depth=1
	s_or_saveexec_b64 s[16:17], s[16:17]
	v_mov_b32_e32 v63, v61
	s_xor_b64 exec, exec, s[16:17]
	s_cbranch_execz .LBB65_58
; %bb.57:                               ;   in Loop: Header=BB65_2 Depth=1
	ds_read_u8 v63, v64 offset:49
	s_waitcnt lgkmcnt(1)
	v_mov_b32_e32 v62, v60
.LBB65_58:                              ;   in Loop: Header=BB65_2 Depth=1
	s_or_b64 exec, exec, s[16:17]
	v_add_u32_e32 v65, 1, v58
	v_add_u32_e32 v64, 1, v59
	v_cndmask_b32_e64 v65, v65, v58, s[14:15]
	v_cndmask_b32_e64 v64, v59, v64, s[14:15]
	v_cmp_ge_i32_e64 s[18:19], v65, v15
	s_waitcnt lgkmcnt(0)
	v_cmp_lt_i16_sdwa s[20:21], sext(v63), sext(v62) src0_sel:BYTE_0 src1_sel:BYTE_0
	v_cmp_lt_i32_e64 s[16:17], v64, v14
	s_or_b64 s[18:19], s[18:19], s[20:21]
	s_and_b64 s[16:17], s[16:17], s[18:19]
	s_xor_b64 s[18:19], s[16:17], -1
                                        ; implicit-def: $vgpr66
	s_and_saveexec_b64 s[20:21], s[18:19]
	s_xor_b64 s[18:19], exec, s[20:21]
; %bb.59:                               ;   in Loop: Header=BB65_2 Depth=1
	ds_read_u8 v66, v65 offset:1
; %bb.60:                               ;   in Loop: Header=BB65_2 Depth=1
	s_or_saveexec_b64 s[18:19], s[18:19]
	v_mov_b32_e32 v67, v63
	s_xor_b64 exec, exec, s[18:19]
	s_cbranch_execz .LBB65_62
; %bb.61:                               ;   in Loop: Header=BB65_2 Depth=1
	ds_read_u8 v67, v64 offset:1
	s_waitcnt lgkmcnt(1)
	v_mov_b32_e32 v66, v62
.LBB65_62:                              ;   in Loop: Header=BB65_2 Depth=1
	s_or_b64 exec, exec, s[18:19]
	v_add_u32_e32 v68, 1, v65
	v_cndmask_b32_e64 v62, v62, v63, s[16:17]
	v_add_u32_e32 v63, 1, v64
	v_cndmask_b32_e64 v68, v68, v65, s[16:17]
	v_cndmask_b32_e64 v63, v64, v63, s[16:17]
	;; [unrolled: 1-line block ×3, first 2 shown]
	v_cmp_ge_i32_e64 s[16:17], v68, v15
	s_waitcnt lgkmcnt(0)
	v_cmp_lt_i16_sdwa s[18:19], sext(v67), sext(v66) src0_sel:BYTE_0 src1_sel:BYTE_0
	v_cndmask_b32_e64 v60, v60, v61, s[14:15]
	v_cndmask_b32_e64 v58, v58, v59, s[14:15]
	v_cmp_lt_i32_e64 s[14:15], v63, v14
	s_or_b64 s[16:17], s[16:17], s[18:19]
	s_and_b64 s[14:15], s[14:15], s[16:17]
	v_cndmask_b32_e64 v61, v68, v63, s[14:15]
	s_barrier
	ds_write_b8 v50, v55
	ds_write_b8 v50, v57 offset:1
	ds_write_b8 v50, v56 offset:2
	s_waitcnt lgkmcnt(0)
	s_barrier
	ds_read_u8 v55, v58
	ds_read_u8 v56, v61
	;; [unrolled: 1-line block ×3, first 2 shown]
	v_cndmask_b32_e64 v59, v66, v67, s[14:15]
	s_waitcnt lgkmcnt(0)
	s_barrier
	ds_write_b8 v50, v60
	ds_write_b8 v50, v62 offset:1
	ds_write_b8 v50, v59 offset:2
	v_mov_b32_e32 v59, v44
	s_waitcnt lgkmcnt(0)
	s_barrier
	s_and_saveexec_b64 s[16:17], s[8:9]
	s_cbranch_execz .LBB65_66
; %bb.63:                               ;   in Loop: Header=BB65_2 Depth=1
	s_mov_b64 s[18:19], 0
	v_mov_b32_e32 v59, v44
	v_mov_b32_e32 v58, v22
.LBB65_64:                              ;   Parent Loop BB65_2 Depth=1
                                        ; =>  This Inner Loop Header: Depth=2
	v_sub_u32_e32 v60, v58, v59
	v_lshrrev_b32_e32 v60, 1, v60
	v_add_u32_e32 v60, v60, v59
	v_add_u32_e32 v61, v5, v60
	v_xad_u32 v62, v60, -1, v45
	ds_read_i8 v61, v61
	ds_read_i8 v62, v62 offset:96
	v_add_u32_e32 v63, 1, v60
	s_waitcnt lgkmcnt(0)
	v_cmp_lt_i16_e64 s[14:15], v62, v61
	v_cndmask_b32_e64 v58, v58, v60, s[14:15]
	v_cndmask_b32_e64 v59, v63, v59, s[14:15]
	v_cmp_ge_i32_e64 s[14:15], v59, v58
	s_or_b64 s[18:19], s[14:15], s[18:19]
	s_andn2_b64 exec, exec, s[18:19]
	s_cbranch_execnz .LBB65_64
; %bb.65:                               ;   in Loop: Header=BB65_2 Depth=1
	s_or_b64 exec, exec, s[18:19]
.LBB65_66:                              ;   in Loop: Header=BB65_2 Depth=1
	s_or_b64 exec, exec, s[16:17]
	v_add_u32_e32 v58, v59, v5
	v_sub_u32_e32 v64, v45, v59
	ds_read_u8 v60, v58
	ds_read_u8 v61, v64 offset:96
	v_sub_u32_e32 v59, v46, v59
	v_cmp_le_i32_e64 s[16:17], v17, v58
	v_cmp_gt_i32_e64 s[14:15], v16, v59
	s_waitcnt lgkmcnt(1)
	v_bfe_i32 v60, v60, 0, 8
	s_waitcnt lgkmcnt(0)
	v_bfe_i32 v61, v61, 0, 8
	v_cmp_lt_i16_e64 s[18:19], v61, v60
	s_or_b64 s[16:17], s[16:17], s[18:19]
	s_and_b64 s[14:15], s[14:15], s[16:17]
	s_xor_b64 s[16:17], s[14:15], -1
                                        ; implicit-def: $vgpr62
	s_and_saveexec_b64 s[18:19], s[16:17]
	s_xor_b64 s[16:17], exec, s[18:19]
; %bb.67:                               ;   in Loop: Header=BB65_2 Depth=1
	ds_read_u8 v62, v58 offset:1
                                        ; implicit-def: $vgpr64
; %bb.68:                               ;   in Loop: Header=BB65_2 Depth=1
	s_or_saveexec_b64 s[16:17], s[16:17]
	v_mov_b32_e32 v63, v61
	s_xor_b64 exec, exec, s[16:17]
	s_cbranch_execz .LBB65_70
; %bb.69:                               ;   in Loop: Header=BB65_2 Depth=1
	ds_read_u8 v63, v64 offset:97
	s_waitcnt lgkmcnt(1)
	v_mov_b32_e32 v62, v60
.LBB65_70:                              ;   in Loop: Header=BB65_2 Depth=1
	s_or_b64 exec, exec, s[16:17]
	v_add_u32_e32 v65, 1, v58
	v_add_u32_e32 v64, 1, v59
	v_cndmask_b32_e64 v65, v65, v58, s[14:15]
	v_cndmask_b32_e64 v64, v59, v64, s[14:15]
	v_cmp_ge_i32_e64 s[18:19], v65, v17
	s_waitcnt lgkmcnt(0)
	v_cmp_lt_i16_sdwa s[20:21], sext(v63), sext(v62) src0_sel:BYTE_0 src1_sel:BYTE_0
	v_cmp_lt_i32_e64 s[16:17], v64, v16
	s_or_b64 s[18:19], s[18:19], s[20:21]
	s_and_b64 s[16:17], s[16:17], s[18:19]
	s_xor_b64 s[18:19], s[16:17], -1
                                        ; implicit-def: $vgpr66
	s_and_saveexec_b64 s[20:21], s[18:19]
	s_xor_b64 s[18:19], exec, s[20:21]
; %bb.71:                               ;   in Loop: Header=BB65_2 Depth=1
	ds_read_u8 v66, v65 offset:1
; %bb.72:                               ;   in Loop: Header=BB65_2 Depth=1
	s_or_saveexec_b64 s[18:19], s[18:19]
	v_mov_b32_e32 v67, v63
	s_xor_b64 exec, exec, s[18:19]
	s_cbranch_execz .LBB65_74
; %bb.73:                               ;   in Loop: Header=BB65_2 Depth=1
	ds_read_u8 v67, v64 offset:1
	s_waitcnt lgkmcnt(1)
	v_mov_b32_e32 v66, v62
.LBB65_74:                              ;   in Loop: Header=BB65_2 Depth=1
	s_or_b64 exec, exec, s[18:19]
	v_add_u32_e32 v68, 1, v65
	v_cndmask_b32_e64 v62, v62, v63, s[16:17]
	v_add_u32_e32 v63, 1, v64
	v_cndmask_b32_e64 v68, v68, v65, s[16:17]
	v_cndmask_b32_e64 v63, v64, v63, s[16:17]
	;; [unrolled: 1-line block ×3, first 2 shown]
	v_cmp_ge_i32_e64 s[16:17], v68, v17
	s_waitcnt lgkmcnt(0)
	v_cmp_lt_i16_sdwa s[18:19], sext(v67), sext(v66) src0_sel:BYTE_0 src1_sel:BYTE_0
	v_cndmask_b32_e64 v60, v60, v61, s[14:15]
	v_cndmask_b32_e64 v58, v58, v59, s[14:15]
	v_cmp_lt_i32_e64 s[14:15], v63, v16
	s_or_b64 s[16:17], s[16:17], s[18:19]
	s_and_b64 s[14:15], s[14:15], s[16:17]
	v_cndmask_b32_e64 v61, v68, v63, s[14:15]
	s_barrier
	ds_write_b8 v50, v55
	ds_write_b8 v50, v57 offset:1
	ds_write_b8 v50, v56 offset:2
	s_waitcnt lgkmcnt(0)
	s_barrier
	ds_read_u8 v55, v58
	ds_read_u8 v56, v61
	;; [unrolled: 1-line block ×3, first 2 shown]
	v_cndmask_b32_e64 v59, v66, v67, s[14:15]
	s_waitcnt lgkmcnt(0)
	s_barrier
	ds_write_b8 v50, v60
	ds_write_b8 v50, v62 offset:1
	ds_write_b8 v50, v59 offset:2
	v_mov_b32_e32 v59, v47
	s_waitcnt lgkmcnt(0)
	s_barrier
	s_and_saveexec_b64 s[16:17], s[10:11]
	s_cbranch_execz .LBB65_78
; %bb.75:                               ;   in Loop: Header=BB65_2 Depth=1
	s_mov_b64 s[18:19], 0
	v_mov_b32_e32 v59, v47
	v_mov_b32_e32 v58, v26
.LBB65_76:                              ;   Parent Loop BB65_2 Depth=1
                                        ; =>  This Inner Loop Header: Depth=2
	v_sub_u32_e32 v60, v58, v59
	v_lshrrev_b32_e32 v60, 1, v60
	v_add_u32_e32 v60, v60, v59
	v_add_u32_e32 v61, v25, v60
	v_xad_u32 v62, v60, -1, v48
	ds_read_i8 v61, v61
	ds_read_i8 v62, v62 offset:192
	v_add_u32_e32 v63, 1, v60
	s_waitcnt lgkmcnt(0)
	v_cmp_lt_i16_e64 s[14:15], v62, v61
	v_cndmask_b32_e64 v58, v58, v60, s[14:15]
	v_cndmask_b32_e64 v59, v63, v59, s[14:15]
	v_cmp_ge_i32_e64 s[14:15], v59, v58
	s_or_b64 s[18:19], s[14:15], s[18:19]
	s_andn2_b64 exec, exec, s[18:19]
	s_cbranch_execnz .LBB65_76
; %bb.77:                               ;   in Loop: Header=BB65_2 Depth=1
	s_or_b64 exec, exec, s[18:19]
.LBB65_78:                              ;   in Loop: Header=BB65_2 Depth=1
	s_or_b64 exec, exec, s[16:17]
	v_add_u32_e32 v58, v59, v25
	v_sub_u32_e32 v64, v48, v59
	ds_read_u8 v60, v58
	ds_read_u8 v61, v64 offset:192
	v_sub_u32_e32 v59, v49, v59
	v_cmp_le_i32_e64 s[16:17], v24, v58
	v_cmp_gt_i32_e64 s[14:15], v23, v59
	s_waitcnt lgkmcnt(1)
	v_bfe_i32 v60, v60, 0, 8
	s_waitcnt lgkmcnt(0)
	v_bfe_i32 v61, v61, 0, 8
	v_cmp_lt_i16_e64 s[18:19], v61, v60
	s_or_b64 s[16:17], s[16:17], s[18:19]
	s_and_b64 s[14:15], s[14:15], s[16:17]
	s_xor_b64 s[16:17], s[14:15], -1
                                        ; implicit-def: $vgpr62
	s_and_saveexec_b64 s[18:19], s[16:17]
	s_xor_b64 s[16:17], exec, s[18:19]
; %bb.79:                               ;   in Loop: Header=BB65_2 Depth=1
	ds_read_u8 v62, v58 offset:1
                                        ; implicit-def: $vgpr64
; %bb.80:                               ;   in Loop: Header=BB65_2 Depth=1
	s_or_saveexec_b64 s[16:17], s[16:17]
	v_mov_b32_e32 v63, v61
	s_xor_b64 exec, exec, s[16:17]
	s_cbranch_execz .LBB65_82
; %bb.81:                               ;   in Loop: Header=BB65_2 Depth=1
	ds_read_u8 v63, v64 offset:193
	s_waitcnt lgkmcnt(1)
	v_mov_b32_e32 v62, v60
.LBB65_82:                              ;   in Loop: Header=BB65_2 Depth=1
	s_or_b64 exec, exec, s[16:17]
	v_add_u32_e32 v65, 1, v58
	v_add_u32_e32 v64, 1, v59
	v_cndmask_b32_e64 v65, v65, v58, s[14:15]
	v_cndmask_b32_e64 v64, v59, v64, s[14:15]
	v_cmp_ge_i32_e64 s[18:19], v65, v24
	s_waitcnt lgkmcnt(0)
	v_cmp_lt_i16_sdwa s[20:21], sext(v63), sext(v62) src0_sel:BYTE_0 src1_sel:BYTE_0
	v_cmp_lt_i32_e64 s[16:17], v64, v23
	s_or_b64 s[18:19], s[18:19], s[20:21]
	s_and_b64 s[16:17], s[16:17], s[18:19]
	s_xor_b64 s[18:19], s[16:17], -1
                                        ; implicit-def: $vgpr66
	s_and_saveexec_b64 s[20:21], s[18:19]
	s_xor_b64 s[18:19], exec, s[20:21]
; %bb.83:                               ;   in Loop: Header=BB65_2 Depth=1
	ds_read_u8 v66, v65 offset:1
; %bb.84:                               ;   in Loop: Header=BB65_2 Depth=1
	s_or_saveexec_b64 s[18:19], s[18:19]
	v_mov_b32_e32 v67, v63
	s_xor_b64 exec, exec, s[18:19]
	s_cbranch_execz .LBB65_86
; %bb.85:                               ;   in Loop: Header=BB65_2 Depth=1
	ds_read_u8 v67, v64 offset:1
	s_waitcnt lgkmcnt(1)
	v_mov_b32_e32 v66, v62
.LBB65_86:                              ;   in Loop: Header=BB65_2 Depth=1
	s_or_b64 exec, exec, s[18:19]
	v_add_u32_e32 v68, 1, v65
	v_cndmask_b32_e64 v62, v62, v63, s[16:17]
	v_add_u32_e32 v63, 1, v64
	v_cndmask_b32_e64 v68, v68, v65, s[16:17]
	v_cndmask_b32_e64 v63, v64, v63, s[16:17]
	;; [unrolled: 1-line block ×3, first 2 shown]
	v_cmp_ge_i32_e64 s[16:17], v68, v24
	s_waitcnt lgkmcnt(0)
	v_cmp_lt_i16_sdwa s[18:19], sext(v67), sext(v66) src0_sel:BYTE_0 src1_sel:BYTE_0
	v_cndmask_b32_e64 v60, v60, v61, s[14:15]
	v_cndmask_b32_e64 v58, v58, v59, s[14:15]
	v_cmp_lt_i32_e64 s[14:15], v63, v23
	s_or_b64 s[16:17], s[16:17], s[18:19]
	s_and_b64 s[14:15], s[14:15], s[16:17]
	v_cndmask_b32_e64 v61, v68, v63, s[14:15]
	s_barrier
	ds_write_b8 v50, v55
	ds_write_b8 v50, v57 offset:1
	ds_write_b8 v50, v56 offset:2
	s_waitcnt lgkmcnt(0)
	s_barrier
	ds_read_u8 v55, v58
	ds_read_u8 v56, v61
	;; [unrolled: 1-line block ×3, first 2 shown]
	v_mov_b32_e32 v58, v52
	v_cndmask_b32_e64 v59, v66, v67, s[14:15]
	s_waitcnt lgkmcnt(0)
	s_barrier
	ds_write_b8 v50, v60
	ds_write_b8 v50, v62 offset:1
	ds_write_b8 v50, v59 offset:2
	s_waitcnt lgkmcnt(0)
	s_barrier
	s_and_saveexec_b64 s[16:17], s[12:13]
	s_cbranch_execz .LBB65_90
; %bb.87:                               ;   in Loop: Header=BB65_2 Depth=1
	s_mov_b64 s[18:19], 0
	v_mov_b32_e32 v58, v52
	v_mov_b32_e32 v59, v53
.LBB65_88:                              ;   Parent Loop BB65_2 Depth=1
                                        ; =>  This Inner Loop Header: Depth=2
	v_sub_u32_e32 v60, v59, v58
	v_lshrrev_b32_e32 v60, 1, v60
	v_add_u32_e32 v60, v60, v58
	v_xad_u32 v61, v60, -1, v50
	ds_read_i8 v62, v60
	ds_read_i8 v61, v61 offset:384
	v_add_u32_e32 v63, 1, v60
	s_waitcnt lgkmcnt(0)
	v_cmp_lt_i16_e64 s[14:15], v61, v62
	v_cndmask_b32_e64 v59, v59, v60, s[14:15]
	v_cndmask_b32_e64 v58, v63, v58, s[14:15]
	v_cmp_ge_i32_e64 s[14:15], v58, v59
	s_or_b64 s[18:19], s[14:15], s[18:19]
	s_andn2_b64 exec, exec, s[18:19]
	s_cbranch_execnz .LBB65_88
; %bb.89:                               ;   in Loop: Header=BB65_2 Depth=1
	s_or_b64 exec, exec, s[18:19]
.LBB65_90:                              ;   in Loop: Header=BB65_2 Depth=1
	s_or_b64 exec, exec, s[16:17]
	v_sub_u32_e32 v64, v50, v58
	ds_read_u8 v60, v58
	ds_read_u8 v61, v64 offset:384
	v_sub_u32_e32 v59, v54, v58
	v_cmp_le_i32_e64 s[16:17], v51, v58
	v_cmp_gt_i32_e64 s[14:15], s30, v59
	s_waitcnt lgkmcnt(1)
	v_bfe_i32 v60, v60, 0, 8
	s_waitcnt lgkmcnt(0)
	v_bfe_i32 v61, v61, 0, 8
	v_cmp_lt_i16_e64 s[18:19], v61, v60
	s_or_b64 s[16:17], s[16:17], s[18:19]
	s_and_b64 s[14:15], s[14:15], s[16:17]
	s_xor_b64 s[16:17], s[14:15], -1
                                        ; implicit-def: $vgpr62
	s_and_saveexec_b64 s[18:19], s[16:17]
	s_xor_b64 s[16:17], exec, s[18:19]
; %bb.91:                               ;   in Loop: Header=BB65_2 Depth=1
	ds_read_u8 v62, v58 offset:1
                                        ; implicit-def: $vgpr64
; %bb.92:                               ;   in Loop: Header=BB65_2 Depth=1
	s_or_saveexec_b64 s[16:17], s[16:17]
	v_mov_b32_e32 v63, v61
	s_xor_b64 exec, exec, s[16:17]
	s_cbranch_execz .LBB65_94
; %bb.93:                               ;   in Loop: Header=BB65_2 Depth=1
	ds_read_u8 v63, v64 offset:385
	s_waitcnt lgkmcnt(1)
	v_mov_b32_e32 v62, v60
.LBB65_94:                              ;   in Loop: Header=BB65_2 Depth=1
	s_or_b64 exec, exec, s[16:17]
	v_add_u32_e32 v65, 1, v58
	v_add_u32_e32 v64, 1, v59
	v_cndmask_b32_e64 v68, v65, v58, s[14:15]
	v_cndmask_b32_e64 v64, v59, v64, s[14:15]
	v_cmp_ge_i32_e64 s[18:19], v68, v51
	s_waitcnt lgkmcnt(0)
	v_cmp_lt_i16_sdwa s[20:21], sext(v63), sext(v62) src0_sel:BYTE_0 src1_sel:BYTE_0
	v_cmp_gt_i32_e64 s[16:17], s30, v64
	s_or_b64 s[18:19], s[18:19], s[20:21]
	s_and_b64 s[16:17], s[16:17], s[18:19]
	s_xor_b64 s[18:19], s[16:17], -1
                                        ; implicit-def: $vgpr67
                                        ; implicit-def: $vgpr65
	s_and_saveexec_b64 s[20:21], s[18:19]
	s_xor_b64 s[18:19], exec, s[20:21]
; %bb.95:                               ;   in Loop: Header=BB65_2 Depth=1
	ds_read_u8 v67, v68 offset:1
	v_add_u32_e32 v65, 1, v68
; %bb.96:                               ;   in Loop: Header=BB65_2 Depth=1
	s_or_saveexec_b64 s[18:19], s[18:19]
	v_mov_b32_e32 v66, v68
	v_mov_b32_e32 v69, v63
	s_xor_b64 exec, exec, s[18:19]
	s_cbranch_execz .LBB65_1
; %bb.97:                               ;   in Loop: Header=BB65_2 Depth=1
	ds_read_u8 v69, v64 offset:1
	s_waitcnt lgkmcnt(1)
	v_add_u32_e32 v67, 1, v64
	v_mov_b32_e32 v66, v64
	v_mov_b32_e32 v65, v68
	v_mov_b32_e32 v64, v67
	v_mov_b32_e32 v67, v62
	s_branch .LBB65_1
.LBB65_98:
	s_add_u32 s0, s26, s28
	s_addc_u32 s1, s27, 0
	v_mov_b32_e32 v1, s1
	v_add_co_u32_e32 v0, vcc, s0, v0
	s_waitcnt lgkmcnt(2)
	v_add_u16_e32 v2, v60, v56
	v_addc_co_u32_e32 v1, vcc, 0, v1, vcc
	s_waitcnt lgkmcnt(1)
	v_add_u16_e32 v3, v61, v57
	s_waitcnt lgkmcnt(0)
	v_add_u16_e32 v4, v59, v55
	global_store_byte v[0:1], v2, off
	global_store_byte v[0:1], v3, off offset:256
	global_store_byte v[0:1], v4, off offset:512
	s_endpgm
	.section	.rodata,"a",@progbits
	.p2align	6, 0x0
	.amdhsa_kernel _Z17sort_pairs_kernelIaLj256ELj3EN10test_utils4lessELj10EEvPKT_PS2_T2_
		.amdhsa_group_segment_fixed_size 769
		.amdhsa_private_segment_fixed_size 0
		.amdhsa_kernarg_size 20
		.amdhsa_user_sgpr_count 6
		.amdhsa_user_sgpr_private_segment_buffer 1
		.amdhsa_user_sgpr_dispatch_ptr 0
		.amdhsa_user_sgpr_queue_ptr 0
		.amdhsa_user_sgpr_kernarg_segment_ptr 1
		.amdhsa_user_sgpr_dispatch_id 0
		.amdhsa_user_sgpr_flat_scratch_init 0
		.amdhsa_user_sgpr_private_segment_size 0
		.amdhsa_uses_dynamic_stack 0
		.amdhsa_system_sgpr_private_segment_wavefront_offset 0
		.amdhsa_system_sgpr_workgroup_id_x 1
		.amdhsa_system_sgpr_workgroup_id_y 0
		.amdhsa_system_sgpr_workgroup_id_z 0
		.amdhsa_system_sgpr_workgroup_info 0
		.amdhsa_system_vgpr_workitem_id 0
		.amdhsa_next_free_vgpr 70
		.amdhsa_next_free_sgpr 40
		.amdhsa_reserve_vcc 1
		.amdhsa_reserve_flat_scratch 0
		.amdhsa_float_round_mode_32 0
		.amdhsa_float_round_mode_16_64 0
		.amdhsa_float_denorm_mode_32 3
		.amdhsa_float_denorm_mode_16_64 3
		.amdhsa_dx10_clamp 1
		.amdhsa_ieee_mode 1
		.amdhsa_fp16_overflow 0
		.amdhsa_exception_fp_ieee_invalid_op 0
		.amdhsa_exception_fp_denorm_src 0
		.amdhsa_exception_fp_ieee_div_zero 0
		.amdhsa_exception_fp_ieee_overflow 0
		.amdhsa_exception_fp_ieee_underflow 0
		.amdhsa_exception_fp_ieee_inexact 0
		.amdhsa_exception_int_div_zero 0
	.end_amdhsa_kernel
	.section	.text._Z17sort_pairs_kernelIaLj256ELj3EN10test_utils4lessELj10EEvPKT_PS2_T2_,"axG",@progbits,_Z17sort_pairs_kernelIaLj256ELj3EN10test_utils4lessELj10EEvPKT_PS2_T2_,comdat
.Lfunc_end65:
	.size	_Z17sort_pairs_kernelIaLj256ELj3EN10test_utils4lessELj10EEvPKT_PS2_T2_, .Lfunc_end65-_Z17sort_pairs_kernelIaLj256ELj3EN10test_utils4lessELj10EEvPKT_PS2_T2_
                                        ; -- End function
	.set _Z17sort_pairs_kernelIaLj256ELj3EN10test_utils4lessELj10EEvPKT_PS2_T2_.num_vgpr, 70
	.set _Z17sort_pairs_kernelIaLj256ELj3EN10test_utils4lessELj10EEvPKT_PS2_T2_.num_agpr, 0
	.set _Z17sort_pairs_kernelIaLj256ELj3EN10test_utils4lessELj10EEvPKT_PS2_T2_.numbered_sgpr, 40
	.set _Z17sort_pairs_kernelIaLj256ELj3EN10test_utils4lessELj10EEvPKT_PS2_T2_.num_named_barrier, 0
	.set _Z17sort_pairs_kernelIaLj256ELj3EN10test_utils4lessELj10EEvPKT_PS2_T2_.private_seg_size, 0
	.set _Z17sort_pairs_kernelIaLj256ELj3EN10test_utils4lessELj10EEvPKT_PS2_T2_.uses_vcc, 1
	.set _Z17sort_pairs_kernelIaLj256ELj3EN10test_utils4lessELj10EEvPKT_PS2_T2_.uses_flat_scratch, 0
	.set _Z17sort_pairs_kernelIaLj256ELj3EN10test_utils4lessELj10EEvPKT_PS2_T2_.has_dyn_sized_stack, 0
	.set _Z17sort_pairs_kernelIaLj256ELj3EN10test_utils4lessELj10EEvPKT_PS2_T2_.has_recursion, 0
	.set _Z17sort_pairs_kernelIaLj256ELj3EN10test_utils4lessELj10EEvPKT_PS2_T2_.has_indirect_call, 0
	.section	.AMDGPU.csdata,"",@progbits
; Kernel info:
; codeLenInByte = 5988
; TotalNumSgprs: 44
; NumVgprs: 70
; ScratchSize: 0
; MemoryBound: 0
; FloatMode: 240
; IeeeMode: 1
; LDSByteSize: 769 bytes/workgroup (compile time only)
; SGPRBlocks: 5
; VGPRBlocks: 17
; NumSGPRsForWavesPerEU: 44
; NumVGPRsForWavesPerEU: 70
; Occupancy: 3
; WaveLimiterHint : 1
; COMPUTE_PGM_RSRC2:SCRATCH_EN: 0
; COMPUTE_PGM_RSRC2:USER_SGPR: 6
; COMPUTE_PGM_RSRC2:TRAP_HANDLER: 0
; COMPUTE_PGM_RSRC2:TGID_X_EN: 1
; COMPUTE_PGM_RSRC2:TGID_Y_EN: 0
; COMPUTE_PGM_RSRC2:TGID_Z_EN: 0
; COMPUTE_PGM_RSRC2:TIDIG_COMP_CNT: 0
	.section	.text._Z16sort_keys_kernelIaLj256ELj4EN10test_utils4lessELj10EEvPKT_PS2_T2_,"axG",@progbits,_Z16sort_keys_kernelIaLj256ELj4EN10test_utils4lessELj10EEvPKT_PS2_T2_,comdat
	.protected	_Z16sort_keys_kernelIaLj256ELj4EN10test_utils4lessELj10EEvPKT_PS2_T2_ ; -- Begin function _Z16sort_keys_kernelIaLj256ELj4EN10test_utils4lessELj10EEvPKT_PS2_T2_
	.globl	_Z16sort_keys_kernelIaLj256ELj4EN10test_utils4lessELj10EEvPKT_PS2_T2_
	.p2align	8
	.type	_Z16sort_keys_kernelIaLj256ELj4EN10test_utils4lessELj10EEvPKT_PS2_T2_,@function
_Z16sort_keys_kernelIaLj256ELj4EN10test_utils4lessELj10EEvPKT_PS2_T2_: ; @_Z16sort_keys_kernelIaLj256ELj4EN10test_utils4lessELj10EEvPKT_PS2_T2_
; %bb.0:
	s_load_dwordx4 s[20:23], s[4:5], 0x0
	s_lshl_b32 s24, s6, 10
	v_lshlrev_b32_e32 v1, 2, v0
	v_and_b32_e32 v2, 0x3f8, v1
	v_and_b32_e32 v3, 0x3f0, v1
	s_waitcnt lgkmcnt(0)
	s_add_u32 s0, s20, s24
	s_addc_u32 s1, s21, 0
	global_load_ubyte v38, v0, s[0:1] offset:256
	global_load_ubyte v39, v0, s[0:1] offset:512
	;; [unrolled: 1-line block ×3, first 2 shown]
	global_load_ubyte v41, v0, s[0:1]
	v_or_b32_e32 v9, 4, v2
	v_add_u32_e32 v10, 8, v2
	v_and_b32_e32 v33, 4, v1
	v_and_b32_e32 v4, 0x3e0, v1
	v_or_b32_e32 v11, 8, v3
	v_add_u32_e32 v12, 16, v3
	v_sub_u32_e32 v44, v10, v9
	v_and_b32_e32 v34, 12, v1
	v_and_b32_e32 v5, 0x3c0, v1
	v_or_b32_e32 v13, 16, v4
	v_add_u32_e32 v14, 32, v4
	v_sub_u32_e32 v45, v12, v11
	v_sub_u32_e32 v28, v9, v2
	;; [unrolled: 1-line block ×3, first 2 shown]
	v_cmp_ge_i32_e32 vcc, v33, v44
	v_and_b32_e32 v35, 28, v1
	v_and_b32_e32 v6, 0x380, v1
	v_or_b32_e32 v15, 32, v5
	v_add_u32_e32 v16, 64, v5
	v_sub_u32_e32 v46, v14, v13
	v_add_u32_e32 v23, v9, v33
	v_sub_u32_e32 v29, v11, v3
	v_min_i32_e32 v28, v33, v28
	v_sub_u32_e32 v52, v34, v45
	v_cndmask_b32_e32 v33, 0, v51, vcc
	v_cmp_ge_i32_e32 vcc, v34, v45
	s_mov_b32 s8, 0xc0c0004
	v_and_b32_e32 v36, 60, v1
	v_and_b32_e32 v7, 0x300, v1
	;; [unrolled: 1-line block ×3, first 2 shown]
	v_or_b32_e32 v17, 64, v6
	v_add_u32_e32 v18, 0x80, v6
	v_sub_u32_e32 v47, v16, v15
	v_add_u32_e32 v24, v11, v34
	v_sub_u32_e32 v30, v13, v4
	v_min_i32_e32 v29, v34, v29
	v_sub_u32_e32 v53, v35, v46
	v_cndmask_b32_e32 v34, 0, v52, vcc
	v_cmp_ge_i32_e32 vcc, v35, v46
	v_and_b32_e32 v37, 0x7c, v1
	v_or_b32_e32 v19, 0x80, v7
	v_add_u32_e32 v20, 0x100, v7
	v_or_b32_e32 v21, 0x100, v8
	v_add_u32_e32 v22, 0x200, v8
	v_sub_u32_e32 v48, v18, v17
	v_add_u32_e32 v25, v13, v35
	v_sub_u32_e32 v31, v15, v5
	v_min_i32_e32 v30, v35, v30
	v_sub_u32_e32 v54, v36, v47
	v_cndmask_b32_e32 v35, 0, v53, vcc
	v_cmp_ge_i32_e32 vcc, v36, v47
	v_and_b32_e32 v42, 0xfc, v1
	v_and_b32_e32 v43, 0x1fc, v1
	v_sub_u32_e32 v49, v20, v19
	v_add_u32_e32 v26, v15, v36
	v_sub_u32_e32 v50, v22, v21
	v_min_i32_e32 v31, v36, v31
	v_sub_u32_e32 v55, v37, v48
	v_cndmask_b32_e32 v36, 0, v54, vcc
	v_cmp_ge_i32_e32 vcc, v37, v48
	v_sub_u32_e32 v32, v17, v6
	v_sub_u32_e32 v56, v42, v49
	;; [unrolled: 1-line block ×3, first 2 shown]
	v_cmp_ge_i32_e64 s[10:11], v43, v50
	v_mov_b32_e32 v44, 0x200
	v_add_u32_e32 v27, v17, v37
	v_min_i32_e32 v32, v37, v32
	v_cndmask_b32_e32 v37, 0, v55, vcc
	v_sub_u32_e64 v45, v1, v44 clamp
	v_min_i32_e32 v46, 0x200, v1
	s_mov_b32 s25, 0
	v_cmp_lt_i32_e32 vcc, v33, v28
	v_cmp_lt_i32_e64 s[0:1], v34, v29
	v_cmp_lt_i32_e64 s[2:3], v35, v30
	;; [unrolled: 1-line block ×5, first 2 shown]
	s_mov_b32 s26, 0x7060405
	s_waitcnt vmcnt(1)
	v_perm_b32 v39, v39, v40, s8
	s_waitcnt vmcnt(0)
	v_perm_b32 v38, v41, v38, s8
	v_lshl_or_b32 v48, v39, 16, v38
	v_sub_u32_e32 v39, v19, v7
	v_cmp_ge_i32_e64 s[8:9], v42, v49
	v_min_i32_e32 v39, v42, v39
	v_add_u32_e32 v40, v19, v42
	v_sub_u32_e32 v42, v21, v8
	v_cndmask_b32_e64 v38, 0, v56, s[8:9]
	v_cndmask_b32_e64 v41, 0, v57, s[10:11]
	v_min_i32_e32 v42, v43, v42
	v_cmp_lt_i32_e64 s[8:9], v38, v39
	v_cmp_lt_i32_e64 s[10:11], v41, v42
	v_add_u32_e32 v43, v21, v43
	s_mov_b32 s27, 0xc0c0001
	s_mov_b32 s28, 0xffff
	s_mov_b32 s29, 0xc0c0304
	s_mov_b32 s30, 0xffff0000
	s_movk_i32 s31, 0x400
	v_add_u32_e32 v47, 0x200, v1
	s_branch .LBB66_2
.LBB66_1:                               ;   in Loop: Header=BB66_2 Depth=1
	s_or_b64 exec, exec, s[20:21]
	v_cndmask_b32_e64 v50, v50, v51, s[16:17]
	v_cndmask_b32_e64 v51, v52, v53, s[18:19]
	v_cmp_ge_i32_e64 s[16:17], v56, v44
	s_waitcnt lgkmcnt(0)
	v_cmp_lt_i16_sdwa s[18:19], sext(v58), sext(v55) src0_sel:BYTE_0 src1_sel:BYTE_0
	v_cndmask_b32_e64 v49, v48, v49, s[14:15]
	v_cmp_gt_i32_e64 s[14:15], s31, v54
	s_or_b64 s[16:17], s[16:17], s[18:19]
	s_and_b64 s[14:15], s[14:15], s[16:17]
	v_cndmask_b32_e64 v52, v55, v58, s[14:15]
	v_lshlrev_b16_e32 v48, 8, v50
	v_lshlrev_b16_e32 v53, 8, v52
	v_or_b32_sdwa v48, v49, v48 dst_sel:DWORD dst_unused:UNUSED_PAD src0_sel:BYTE_0 src1_sel:DWORD
	v_or_b32_sdwa v53, v51, v53 dst_sel:WORD_1 dst_unused:UNUSED_PAD src0_sel:BYTE_0 src1_sel:DWORD
	s_add_i32 s25, s25, 1
	s_cmp_eq_u32 s25, 10
	v_or_b32_sdwa v48, v48, v53 dst_sel:DWORD dst_unused:UNUSED_PAD src0_sel:WORD_0 src1_sel:DWORD
	s_cbranch_scc1 .LBB66_130
.LBB66_2:                               ; =>This Loop Header: Depth=1
                                        ;     Child Loop BB66_4 Depth 2
                                        ;     Child Loop BB66_20 Depth 2
	;; [unrolled: 1-line block ×8, first 2 shown]
	v_lshrrev_b32_e32 v50, 8, v48
	v_perm_b32 v49, v48, v48, s26
	v_cmp_lt_i16_sdwa s[14:15], sext(v50), sext(v48) src0_sel:BYTE_0 src1_sel:BYTE_0
	v_cndmask_b32_e64 v49, v48, v49, s[14:15]
	v_lshrrev_b32_e32 v51, 16, v49
	v_perm_b32 v52, 0, v51, s27
	v_min_i16_sdwa v53, sext(v50), sext(v48) dst_sel:DWORD dst_unused:UNUSED_PAD src0_sel:BYTE_0 src1_sel:BYTE_0
	v_max_i16_sdwa v48, sext(v50), sext(v48) dst_sel:DWORD dst_unused:UNUSED_PAD src0_sel:BYTE_0 src1_sel:BYTE_0
	v_lshrrev_b32_e32 v50, 24, v49
	v_lshlrev_b32_e32 v52, 16, v52
	v_and_or_b32 v52, v49, s28, v52
	v_cmp_lt_i16_sdwa s[14:15], sext(v50), sext(v51) src0_sel:BYTE_0 src1_sel:BYTE_0
	v_cndmask_b32_e64 v49, v49, v52, s[14:15]
	v_max_i16_sdwa v52, sext(v50), sext(v51) dst_sel:DWORD dst_unused:UNUSED_PAD src0_sel:BYTE_0 src1_sel:BYTE_0
	v_min_i16_sdwa v50, sext(v50), sext(v51) dst_sel:DWORD dst_unused:UNUSED_PAD src0_sel:BYTE_0 src1_sel:BYTE_0
	v_lshlrev_b16_e32 v51, 8, v50
	v_or_b32_sdwa v51, v49, v51 dst_sel:DWORD dst_unused:UNUSED_PAD src0_sel:BYTE_0 src1_sel:DWORD
	v_and_b32_e32 v51, 0xffff, v51
	v_perm_b32 v54, v48, v49, s29
	v_lshl_or_b32 v51, v54, 16, v51
	v_cmp_lt_i16_e64 s[14:15], v50, v48
	v_cndmask_b32_e64 v49, v49, v51, s[14:15]
	v_min_i16_e32 v51, v50, v48
	v_lshlrev_b16_e32 v54, 8, v53
	v_or_b32_sdwa v54, v51, v54 dst_sel:DWORD dst_unused:UNUSED_PAD src0_sel:BYTE_0 src1_sel:DWORD
	v_and_b32_e32 v54, 0xffff, v54
	v_max_i16_e32 v55, v50, v48
	v_cmp_lt_i16_e64 s[14:15], v50, v53
	v_and_or_b32 v54, v49, s30, v54
	v_cndmask_b32_e64 v50, v51, v53, s[14:15]
	v_lshlrev_b16_e32 v51, 8, v55
	v_cndmask_b32_e64 v49, v49, v54, s[14:15]
	v_or_b32_sdwa v51, v52, v51 dst_sel:WORD_1 dst_unused:UNUSED_PAD src0_sel:BYTE_0 src1_sel:DWORD
	v_and_or_b32 v51, v49, s28, v51
	v_cmp_gt_i16_e64 s[14:15], v48, v52
	v_cndmask_b32_e64 v48, v49, v51, s[14:15]
	v_cndmask_b32_e64 v49, v55, v52, s[14:15]
	v_lshlrev_b16_e32 v51, 8, v49
	v_or_b32_sdwa v51, v48, v51 dst_sel:DWORD dst_unused:UNUSED_PAD src0_sel:BYTE_0 src1_sel:DWORD
	v_and_b32_e32 v51, 0xffff, v51
	v_perm_b32 v52, v50, v48, s29
	v_lshl_or_b32 v51, v52, 16, v51
	v_cmp_lt_i16_e64 s[14:15], v49, v50
	v_cndmask_b32_e64 v48, v48, v51, s[14:15]
	s_barrier
	ds_write_b32 v1, v48
	v_mov_b32_e32 v48, v33
	s_waitcnt lgkmcnt(0)
	s_barrier
	s_and_saveexec_b64 s[16:17], vcc
	s_cbranch_execz .LBB66_6
; %bb.3:                                ;   in Loop: Header=BB66_2 Depth=1
	s_mov_b64 s[18:19], 0
	v_mov_b32_e32 v48, v33
	v_mov_b32_e32 v49, v28
.LBB66_4:                               ;   Parent Loop BB66_2 Depth=1
                                        ; =>  This Inner Loop Header: Depth=2
	v_sub_u32_e32 v50, v49, v48
	v_lshrrev_b32_e32 v50, 1, v50
	v_add_u32_e32 v50, v50, v48
	v_add_u32_e32 v51, v2, v50
	v_xad_u32 v52, v50, -1, v23
	ds_read_i8 v51, v51
	ds_read_i8 v52, v52
	v_add_u32_e32 v53, 1, v50
	s_waitcnt lgkmcnt(0)
	v_cmp_lt_i16_e64 s[14:15], v52, v51
	v_cndmask_b32_e64 v49, v49, v50, s[14:15]
	v_cndmask_b32_e64 v48, v53, v48, s[14:15]
	v_cmp_ge_i32_e64 s[14:15], v48, v49
	s_or_b64 s[18:19], s[14:15], s[18:19]
	s_andn2_b64 exec, exec, s[18:19]
	s_cbranch_execnz .LBB66_4
; %bb.5:                                ;   in Loop: Header=BB66_2 Depth=1
	s_or_b64 exec, exec, s[18:19]
.LBB66_6:                               ;   in Loop: Header=BB66_2 Depth=1
	s_or_b64 exec, exec, s[16:17]
	v_add_u32_e32 v52, v48, v2
	v_sub_u32_e32 v53, v23, v48
	ds_read_u8 v48, v52
	ds_read_u8 v49, v53
	v_cmp_le_i32_e64 s[16:17], v9, v52
	v_cmp_gt_i32_e64 s[14:15], v10, v53
                                        ; implicit-def: $vgpr50
	s_waitcnt lgkmcnt(1)
	v_bfe_i32 v48, v48, 0, 8
	s_waitcnt lgkmcnt(0)
	v_bfe_i32 v49, v49, 0, 8
	v_cmp_lt_i16_e64 s[18:19], v49, v48
	s_or_b64 s[16:17], s[16:17], s[18:19]
	s_and_b64 s[14:15], s[14:15], s[16:17]
	s_xor_b64 s[16:17], s[14:15], -1
	s_and_saveexec_b64 s[18:19], s[16:17]
	s_xor_b64 s[16:17], exec, s[18:19]
; %bb.7:                                ;   in Loop: Header=BB66_2 Depth=1
	ds_read_u8 v50, v52 offset:1
; %bb.8:                                ;   in Loop: Header=BB66_2 Depth=1
	s_or_saveexec_b64 s[16:17], s[16:17]
	v_mov_b32_e32 v51, v49
	s_xor_b64 exec, exec, s[16:17]
	s_cbranch_execz .LBB66_10
; %bb.9:                                ;   in Loop: Header=BB66_2 Depth=1
	ds_read_u8 v51, v53 offset:1
	s_waitcnt lgkmcnt(1)
	v_mov_b32_e32 v50, v48
.LBB66_10:                              ;   in Loop: Header=BB66_2 Depth=1
	s_or_b64 exec, exec, s[16:17]
	v_add_u32_e32 v55, 1, v52
	v_add_u32_e32 v54, 1, v53
	v_cndmask_b32_e64 v55, v55, v52, s[14:15]
	v_cndmask_b32_e64 v54, v53, v54, s[14:15]
	v_cmp_ge_i32_e64 s[18:19], v55, v9
	s_waitcnt lgkmcnt(0)
	v_cmp_lt_i16_sdwa s[20:21], sext(v51), sext(v50) src0_sel:BYTE_0 src1_sel:BYTE_0
	v_cmp_lt_i32_e64 s[16:17], v54, v10
	s_or_b64 s[18:19], s[18:19], s[20:21]
	s_and_b64 s[16:17], s[16:17], s[18:19]
	s_xor_b64 s[18:19], s[16:17], -1
                                        ; implicit-def: $vgpr52
	s_and_saveexec_b64 s[20:21], s[18:19]
	s_xor_b64 s[18:19], exec, s[20:21]
; %bb.11:                               ;   in Loop: Header=BB66_2 Depth=1
	ds_read_u8 v52, v55 offset:1
; %bb.12:                               ;   in Loop: Header=BB66_2 Depth=1
	s_or_saveexec_b64 s[18:19], s[18:19]
	v_mov_b32_e32 v53, v51
	s_xor_b64 exec, exec, s[18:19]
	s_cbranch_execz .LBB66_14
; %bb.13:                               ;   in Loop: Header=BB66_2 Depth=1
	ds_read_u8 v53, v54 offset:1
	s_waitcnt lgkmcnt(1)
	v_mov_b32_e32 v52, v50
.LBB66_14:                              ;   in Loop: Header=BB66_2 Depth=1
	s_or_b64 exec, exec, s[18:19]
	v_add_u32_e32 v57, 1, v55
	v_add_u32_e32 v56, 1, v54
	v_cndmask_b32_e64 v55, v57, v55, s[16:17]
	v_cndmask_b32_e64 v54, v54, v56, s[16:17]
	v_cmp_ge_i32_e64 s[20:21], v55, v9
	s_waitcnt lgkmcnt(0)
	v_cmp_lt_i16_sdwa s[34:35], sext(v53), sext(v52) src0_sel:BYTE_0 src1_sel:BYTE_0
	v_cmp_lt_i32_e64 s[18:19], v54, v10
	s_or_b64 s[20:21], s[20:21], s[34:35]
	s_and_b64 s[18:19], s[18:19], s[20:21]
	s_xor_b64 s[20:21], s[18:19], -1
                                        ; implicit-def: $vgpr56
	s_and_saveexec_b64 s[34:35], s[20:21]
	s_xor_b64 s[20:21], exec, s[34:35]
; %bb.15:                               ;   in Loop: Header=BB66_2 Depth=1
	ds_read_u8 v56, v55 offset:1
; %bb.16:                               ;   in Loop: Header=BB66_2 Depth=1
	s_or_saveexec_b64 s[20:21], s[20:21]
	v_mov_b32_e32 v57, v53
	s_xor_b64 exec, exec, s[20:21]
	s_cbranch_execz .LBB66_18
; %bb.17:                               ;   in Loop: Header=BB66_2 Depth=1
	ds_read_u8 v57, v54 offset:1
	s_waitcnt lgkmcnt(1)
	v_mov_b32_e32 v56, v52
.LBB66_18:                              ;   in Loop: Header=BB66_2 Depth=1
	s_or_b64 exec, exec, s[20:21]
	v_cndmask_b32_e64 v52, v52, v53, s[18:19]
	v_add_u32_e32 v53, 1, v54
	v_add_u32_e32 v58, 1, v55
	v_cndmask_b32_e64 v53, v54, v53, s[18:19]
	v_cndmask_b32_e64 v54, v58, v55, s[18:19]
	;; [unrolled: 1-line block ×3, first 2 shown]
	v_cmp_ge_i32_e64 s[16:17], v54, v9
	s_waitcnt lgkmcnt(0)
	v_cmp_lt_i16_sdwa s[18:19], sext(v57), sext(v56) src0_sel:BYTE_0 src1_sel:BYTE_0
	v_cndmask_b32_e64 v48, v48, v49, s[14:15]
	v_cmp_lt_i32_e64 s[14:15], v53, v10
	s_or_b64 s[16:17], s[16:17], s[18:19]
	s_and_b64 s[14:15], s[14:15], s[16:17]
	v_cndmask_b32_e64 v49, v56, v57, s[14:15]
	s_barrier
	ds_write_b8 v1, v48
	ds_write_b8 v1, v50 offset:1
	ds_write_b8 v1, v52 offset:2
	;; [unrolled: 1-line block ×3, first 2 shown]
	v_mov_b32_e32 v48, v34
	s_waitcnt lgkmcnt(0)
	s_barrier
	s_and_saveexec_b64 s[16:17], s[0:1]
	s_cbranch_execz .LBB66_22
; %bb.19:                               ;   in Loop: Header=BB66_2 Depth=1
	s_mov_b64 s[18:19], 0
	v_mov_b32_e32 v48, v34
	v_mov_b32_e32 v49, v29
.LBB66_20:                              ;   Parent Loop BB66_2 Depth=1
                                        ; =>  This Inner Loop Header: Depth=2
	v_sub_u32_e32 v50, v49, v48
	v_lshrrev_b32_e32 v50, 1, v50
	v_add_u32_e32 v50, v50, v48
	v_add_u32_e32 v51, v3, v50
	v_xad_u32 v52, v50, -1, v24
	ds_read_i8 v51, v51
	ds_read_i8 v52, v52
	v_add_u32_e32 v53, 1, v50
	s_waitcnt lgkmcnt(0)
	v_cmp_lt_i16_e64 s[14:15], v52, v51
	v_cndmask_b32_e64 v49, v49, v50, s[14:15]
	v_cndmask_b32_e64 v48, v53, v48, s[14:15]
	v_cmp_ge_i32_e64 s[14:15], v48, v49
	s_or_b64 s[18:19], s[14:15], s[18:19]
	s_andn2_b64 exec, exec, s[18:19]
	s_cbranch_execnz .LBB66_20
; %bb.21:                               ;   in Loop: Header=BB66_2 Depth=1
	s_or_b64 exec, exec, s[18:19]
.LBB66_22:                              ;   in Loop: Header=BB66_2 Depth=1
	s_or_b64 exec, exec, s[16:17]
	v_add_u32_e32 v52, v48, v3
	v_sub_u32_e32 v53, v24, v48
	ds_read_u8 v48, v52
	ds_read_u8 v49, v53
	v_cmp_le_i32_e64 s[16:17], v11, v52
	v_cmp_gt_i32_e64 s[14:15], v12, v53
                                        ; implicit-def: $vgpr50
	s_waitcnt lgkmcnt(1)
	v_bfe_i32 v48, v48, 0, 8
	s_waitcnt lgkmcnt(0)
	v_bfe_i32 v49, v49, 0, 8
	v_cmp_lt_i16_e64 s[18:19], v49, v48
	s_or_b64 s[16:17], s[16:17], s[18:19]
	s_and_b64 s[14:15], s[14:15], s[16:17]
	s_xor_b64 s[16:17], s[14:15], -1
	s_and_saveexec_b64 s[18:19], s[16:17]
	s_xor_b64 s[16:17], exec, s[18:19]
; %bb.23:                               ;   in Loop: Header=BB66_2 Depth=1
	ds_read_u8 v50, v52 offset:1
; %bb.24:                               ;   in Loop: Header=BB66_2 Depth=1
	s_or_saveexec_b64 s[16:17], s[16:17]
	v_mov_b32_e32 v51, v49
	s_xor_b64 exec, exec, s[16:17]
	s_cbranch_execz .LBB66_26
; %bb.25:                               ;   in Loop: Header=BB66_2 Depth=1
	ds_read_u8 v51, v53 offset:1
	s_waitcnt lgkmcnt(1)
	v_mov_b32_e32 v50, v48
.LBB66_26:                              ;   in Loop: Header=BB66_2 Depth=1
	s_or_b64 exec, exec, s[16:17]
	v_add_u32_e32 v55, 1, v52
	v_add_u32_e32 v54, 1, v53
	v_cndmask_b32_e64 v55, v55, v52, s[14:15]
	v_cndmask_b32_e64 v54, v53, v54, s[14:15]
	v_cmp_ge_i32_e64 s[18:19], v55, v11
	s_waitcnt lgkmcnt(0)
	v_cmp_lt_i16_sdwa s[20:21], sext(v51), sext(v50) src0_sel:BYTE_0 src1_sel:BYTE_0
	v_cmp_lt_i32_e64 s[16:17], v54, v12
	s_or_b64 s[18:19], s[18:19], s[20:21]
	s_and_b64 s[16:17], s[16:17], s[18:19]
	s_xor_b64 s[18:19], s[16:17], -1
                                        ; implicit-def: $vgpr52
	s_and_saveexec_b64 s[20:21], s[18:19]
	s_xor_b64 s[18:19], exec, s[20:21]
; %bb.27:                               ;   in Loop: Header=BB66_2 Depth=1
	ds_read_u8 v52, v55 offset:1
; %bb.28:                               ;   in Loop: Header=BB66_2 Depth=1
	s_or_saveexec_b64 s[18:19], s[18:19]
	v_mov_b32_e32 v53, v51
	s_xor_b64 exec, exec, s[18:19]
	s_cbranch_execz .LBB66_30
; %bb.29:                               ;   in Loop: Header=BB66_2 Depth=1
	ds_read_u8 v53, v54 offset:1
	s_waitcnt lgkmcnt(1)
	v_mov_b32_e32 v52, v50
.LBB66_30:                              ;   in Loop: Header=BB66_2 Depth=1
	s_or_b64 exec, exec, s[18:19]
	v_add_u32_e32 v57, 1, v55
	v_add_u32_e32 v56, 1, v54
	v_cndmask_b32_e64 v55, v57, v55, s[16:17]
	v_cndmask_b32_e64 v54, v54, v56, s[16:17]
	v_cmp_ge_i32_e64 s[20:21], v55, v11
	s_waitcnt lgkmcnt(0)
	v_cmp_lt_i16_sdwa s[34:35], sext(v53), sext(v52) src0_sel:BYTE_0 src1_sel:BYTE_0
	v_cmp_lt_i32_e64 s[18:19], v54, v12
	s_or_b64 s[20:21], s[20:21], s[34:35]
	s_and_b64 s[18:19], s[18:19], s[20:21]
	s_xor_b64 s[20:21], s[18:19], -1
                                        ; implicit-def: $vgpr56
	s_and_saveexec_b64 s[34:35], s[20:21]
	s_xor_b64 s[20:21], exec, s[34:35]
; %bb.31:                               ;   in Loop: Header=BB66_2 Depth=1
	ds_read_u8 v56, v55 offset:1
; %bb.32:                               ;   in Loop: Header=BB66_2 Depth=1
	s_or_saveexec_b64 s[20:21], s[20:21]
	v_mov_b32_e32 v57, v53
	s_xor_b64 exec, exec, s[20:21]
	s_cbranch_execz .LBB66_34
; %bb.33:                               ;   in Loop: Header=BB66_2 Depth=1
	ds_read_u8 v57, v54 offset:1
	s_waitcnt lgkmcnt(1)
	v_mov_b32_e32 v56, v52
.LBB66_34:                              ;   in Loop: Header=BB66_2 Depth=1
	s_or_b64 exec, exec, s[20:21]
	v_cndmask_b32_e64 v52, v52, v53, s[18:19]
	v_add_u32_e32 v53, 1, v54
	v_add_u32_e32 v58, 1, v55
	v_cndmask_b32_e64 v53, v54, v53, s[18:19]
	v_cndmask_b32_e64 v54, v58, v55, s[18:19]
	;; [unrolled: 1-line block ×3, first 2 shown]
	v_cmp_ge_i32_e64 s[16:17], v54, v11
	s_waitcnt lgkmcnt(0)
	v_cmp_lt_i16_sdwa s[18:19], sext(v57), sext(v56) src0_sel:BYTE_0 src1_sel:BYTE_0
	v_cndmask_b32_e64 v48, v48, v49, s[14:15]
	v_cmp_lt_i32_e64 s[14:15], v53, v12
	s_or_b64 s[16:17], s[16:17], s[18:19]
	s_and_b64 s[14:15], s[14:15], s[16:17]
	v_cndmask_b32_e64 v49, v56, v57, s[14:15]
	s_barrier
	ds_write_b8 v1, v48
	ds_write_b8 v1, v50 offset:1
	ds_write_b8 v1, v52 offset:2
	;; [unrolled: 1-line block ×3, first 2 shown]
	v_mov_b32_e32 v48, v35
	s_waitcnt lgkmcnt(0)
	s_barrier
	s_and_saveexec_b64 s[16:17], s[2:3]
	s_cbranch_execz .LBB66_38
; %bb.35:                               ;   in Loop: Header=BB66_2 Depth=1
	s_mov_b64 s[18:19], 0
	v_mov_b32_e32 v48, v35
	v_mov_b32_e32 v49, v30
.LBB66_36:                              ;   Parent Loop BB66_2 Depth=1
                                        ; =>  This Inner Loop Header: Depth=2
	v_sub_u32_e32 v50, v49, v48
	v_lshrrev_b32_e32 v50, 1, v50
	v_add_u32_e32 v50, v50, v48
	v_add_u32_e32 v51, v4, v50
	v_xad_u32 v52, v50, -1, v25
	ds_read_i8 v51, v51
	ds_read_i8 v52, v52
	v_add_u32_e32 v53, 1, v50
	s_waitcnt lgkmcnt(0)
	v_cmp_lt_i16_e64 s[14:15], v52, v51
	v_cndmask_b32_e64 v49, v49, v50, s[14:15]
	v_cndmask_b32_e64 v48, v53, v48, s[14:15]
	v_cmp_ge_i32_e64 s[14:15], v48, v49
	s_or_b64 s[18:19], s[14:15], s[18:19]
	s_andn2_b64 exec, exec, s[18:19]
	s_cbranch_execnz .LBB66_36
; %bb.37:                               ;   in Loop: Header=BB66_2 Depth=1
	s_or_b64 exec, exec, s[18:19]
.LBB66_38:                              ;   in Loop: Header=BB66_2 Depth=1
	s_or_b64 exec, exec, s[16:17]
	v_add_u32_e32 v52, v48, v4
	v_sub_u32_e32 v53, v25, v48
	ds_read_u8 v48, v52
	ds_read_u8 v49, v53
	v_cmp_le_i32_e64 s[16:17], v13, v52
	v_cmp_gt_i32_e64 s[14:15], v14, v53
                                        ; implicit-def: $vgpr50
	s_waitcnt lgkmcnt(1)
	v_bfe_i32 v48, v48, 0, 8
	s_waitcnt lgkmcnt(0)
	v_bfe_i32 v49, v49, 0, 8
	v_cmp_lt_i16_e64 s[18:19], v49, v48
	s_or_b64 s[16:17], s[16:17], s[18:19]
	s_and_b64 s[14:15], s[14:15], s[16:17]
	s_xor_b64 s[16:17], s[14:15], -1
	s_and_saveexec_b64 s[18:19], s[16:17]
	s_xor_b64 s[16:17], exec, s[18:19]
; %bb.39:                               ;   in Loop: Header=BB66_2 Depth=1
	ds_read_u8 v50, v52 offset:1
; %bb.40:                               ;   in Loop: Header=BB66_2 Depth=1
	s_or_saveexec_b64 s[16:17], s[16:17]
	v_mov_b32_e32 v51, v49
	s_xor_b64 exec, exec, s[16:17]
	s_cbranch_execz .LBB66_42
; %bb.41:                               ;   in Loop: Header=BB66_2 Depth=1
	ds_read_u8 v51, v53 offset:1
	s_waitcnt lgkmcnt(1)
	v_mov_b32_e32 v50, v48
.LBB66_42:                              ;   in Loop: Header=BB66_2 Depth=1
	s_or_b64 exec, exec, s[16:17]
	v_add_u32_e32 v55, 1, v52
	v_add_u32_e32 v54, 1, v53
	v_cndmask_b32_e64 v55, v55, v52, s[14:15]
	v_cndmask_b32_e64 v54, v53, v54, s[14:15]
	v_cmp_ge_i32_e64 s[18:19], v55, v13
	s_waitcnt lgkmcnt(0)
	v_cmp_lt_i16_sdwa s[20:21], sext(v51), sext(v50) src0_sel:BYTE_0 src1_sel:BYTE_0
	v_cmp_lt_i32_e64 s[16:17], v54, v14
	s_or_b64 s[18:19], s[18:19], s[20:21]
	s_and_b64 s[16:17], s[16:17], s[18:19]
	s_xor_b64 s[18:19], s[16:17], -1
                                        ; implicit-def: $vgpr52
	s_and_saveexec_b64 s[20:21], s[18:19]
	s_xor_b64 s[18:19], exec, s[20:21]
; %bb.43:                               ;   in Loop: Header=BB66_2 Depth=1
	ds_read_u8 v52, v55 offset:1
; %bb.44:                               ;   in Loop: Header=BB66_2 Depth=1
	s_or_saveexec_b64 s[18:19], s[18:19]
	v_mov_b32_e32 v53, v51
	s_xor_b64 exec, exec, s[18:19]
	s_cbranch_execz .LBB66_46
; %bb.45:                               ;   in Loop: Header=BB66_2 Depth=1
	ds_read_u8 v53, v54 offset:1
	s_waitcnt lgkmcnt(1)
	v_mov_b32_e32 v52, v50
.LBB66_46:                              ;   in Loop: Header=BB66_2 Depth=1
	s_or_b64 exec, exec, s[18:19]
	v_add_u32_e32 v57, 1, v55
	v_add_u32_e32 v56, 1, v54
	v_cndmask_b32_e64 v55, v57, v55, s[16:17]
	v_cndmask_b32_e64 v54, v54, v56, s[16:17]
	v_cmp_ge_i32_e64 s[20:21], v55, v13
	s_waitcnt lgkmcnt(0)
	v_cmp_lt_i16_sdwa s[34:35], sext(v53), sext(v52) src0_sel:BYTE_0 src1_sel:BYTE_0
	v_cmp_lt_i32_e64 s[18:19], v54, v14
	s_or_b64 s[20:21], s[20:21], s[34:35]
	s_and_b64 s[18:19], s[18:19], s[20:21]
	s_xor_b64 s[20:21], s[18:19], -1
                                        ; implicit-def: $vgpr56
	s_and_saveexec_b64 s[34:35], s[20:21]
	s_xor_b64 s[20:21], exec, s[34:35]
; %bb.47:                               ;   in Loop: Header=BB66_2 Depth=1
	ds_read_u8 v56, v55 offset:1
; %bb.48:                               ;   in Loop: Header=BB66_2 Depth=1
	s_or_saveexec_b64 s[20:21], s[20:21]
	v_mov_b32_e32 v57, v53
	s_xor_b64 exec, exec, s[20:21]
	s_cbranch_execz .LBB66_50
; %bb.49:                               ;   in Loop: Header=BB66_2 Depth=1
	ds_read_u8 v57, v54 offset:1
	s_waitcnt lgkmcnt(1)
	v_mov_b32_e32 v56, v52
.LBB66_50:                              ;   in Loop: Header=BB66_2 Depth=1
	s_or_b64 exec, exec, s[20:21]
	v_cndmask_b32_e64 v52, v52, v53, s[18:19]
	v_add_u32_e32 v53, 1, v54
	v_add_u32_e32 v58, 1, v55
	v_cndmask_b32_e64 v53, v54, v53, s[18:19]
	v_cndmask_b32_e64 v54, v58, v55, s[18:19]
	;; [unrolled: 1-line block ×3, first 2 shown]
	v_cmp_ge_i32_e64 s[16:17], v54, v13
	s_waitcnt lgkmcnt(0)
	v_cmp_lt_i16_sdwa s[18:19], sext(v57), sext(v56) src0_sel:BYTE_0 src1_sel:BYTE_0
	v_cndmask_b32_e64 v48, v48, v49, s[14:15]
	v_cmp_lt_i32_e64 s[14:15], v53, v14
	s_or_b64 s[16:17], s[16:17], s[18:19]
	s_and_b64 s[14:15], s[14:15], s[16:17]
	v_cndmask_b32_e64 v49, v56, v57, s[14:15]
	s_barrier
	ds_write_b8 v1, v48
	ds_write_b8 v1, v50 offset:1
	ds_write_b8 v1, v52 offset:2
	;; [unrolled: 1-line block ×3, first 2 shown]
	v_mov_b32_e32 v48, v36
	s_waitcnt lgkmcnt(0)
	s_barrier
	s_and_saveexec_b64 s[16:17], s[4:5]
	s_cbranch_execz .LBB66_54
; %bb.51:                               ;   in Loop: Header=BB66_2 Depth=1
	s_mov_b64 s[18:19], 0
	v_mov_b32_e32 v48, v36
	v_mov_b32_e32 v49, v31
.LBB66_52:                              ;   Parent Loop BB66_2 Depth=1
                                        ; =>  This Inner Loop Header: Depth=2
	v_sub_u32_e32 v50, v49, v48
	v_lshrrev_b32_e32 v50, 1, v50
	v_add_u32_e32 v50, v50, v48
	v_add_u32_e32 v51, v5, v50
	v_xad_u32 v52, v50, -1, v26
	ds_read_i8 v51, v51
	ds_read_i8 v52, v52
	v_add_u32_e32 v53, 1, v50
	s_waitcnt lgkmcnt(0)
	v_cmp_lt_i16_e64 s[14:15], v52, v51
	v_cndmask_b32_e64 v49, v49, v50, s[14:15]
	v_cndmask_b32_e64 v48, v53, v48, s[14:15]
	v_cmp_ge_i32_e64 s[14:15], v48, v49
	s_or_b64 s[18:19], s[14:15], s[18:19]
	s_andn2_b64 exec, exec, s[18:19]
	s_cbranch_execnz .LBB66_52
; %bb.53:                               ;   in Loop: Header=BB66_2 Depth=1
	s_or_b64 exec, exec, s[18:19]
.LBB66_54:                              ;   in Loop: Header=BB66_2 Depth=1
	s_or_b64 exec, exec, s[16:17]
	v_add_u32_e32 v52, v48, v5
	v_sub_u32_e32 v53, v26, v48
	ds_read_u8 v48, v52
	ds_read_u8 v49, v53
	v_cmp_le_i32_e64 s[16:17], v15, v52
	v_cmp_gt_i32_e64 s[14:15], v16, v53
                                        ; implicit-def: $vgpr50
	s_waitcnt lgkmcnt(1)
	v_bfe_i32 v48, v48, 0, 8
	s_waitcnt lgkmcnt(0)
	v_bfe_i32 v49, v49, 0, 8
	v_cmp_lt_i16_e64 s[18:19], v49, v48
	s_or_b64 s[16:17], s[16:17], s[18:19]
	s_and_b64 s[14:15], s[14:15], s[16:17]
	s_xor_b64 s[16:17], s[14:15], -1
	s_and_saveexec_b64 s[18:19], s[16:17]
	s_xor_b64 s[16:17], exec, s[18:19]
; %bb.55:                               ;   in Loop: Header=BB66_2 Depth=1
	ds_read_u8 v50, v52 offset:1
; %bb.56:                               ;   in Loop: Header=BB66_2 Depth=1
	s_or_saveexec_b64 s[16:17], s[16:17]
	v_mov_b32_e32 v51, v49
	s_xor_b64 exec, exec, s[16:17]
	s_cbranch_execz .LBB66_58
; %bb.57:                               ;   in Loop: Header=BB66_2 Depth=1
	ds_read_u8 v51, v53 offset:1
	s_waitcnt lgkmcnt(1)
	v_mov_b32_e32 v50, v48
.LBB66_58:                              ;   in Loop: Header=BB66_2 Depth=1
	s_or_b64 exec, exec, s[16:17]
	v_add_u32_e32 v55, 1, v52
	v_add_u32_e32 v54, 1, v53
	v_cndmask_b32_e64 v55, v55, v52, s[14:15]
	v_cndmask_b32_e64 v54, v53, v54, s[14:15]
	v_cmp_ge_i32_e64 s[18:19], v55, v15
	s_waitcnt lgkmcnt(0)
	v_cmp_lt_i16_sdwa s[20:21], sext(v51), sext(v50) src0_sel:BYTE_0 src1_sel:BYTE_0
	v_cmp_lt_i32_e64 s[16:17], v54, v16
	s_or_b64 s[18:19], s[18:19], s[20:21]
	s_and_b64 s[16:17], s[16:17], s[18:19]
	s_xor_b64 s[18:19], s[16:17], -1
                                        ; implicit-def: $vgpr52
	s_and_saveexec_b64 s[20:21], s[18:19]
	s_xor_b64 s[18:19], exec, s[20:21]
; %bb.59:                               ;   in Loop: Header=BB66_2 Depth=1
	ds_read_u8 v52, v55 offset:1
; %bb.60:                               ;   in Loop: Header=BB66_2 Depth=1
	s_or_saveexec_b64 s[18:19], s[18:19]
	v_mov_b32_e32 v53, v51
	s_xor_b64 exec, exec, s[18:19]
	s_cbranch_execz .LBB66_62
; %bb.61:                               ;   in Loop: Header=BB66_2 Depth=1
	ds_read_u8 v53, v54 offset:1
	s_waitcnt lgkmcnt(1)
	v_mov_b32_e32 v52, v50
.LBB66_62:                              ;   in Loop: Header=BB66_2 Depth=1
	s_or_b64 exec, exec, s[18:19]
	v_add_u32_e32 v57, 1, v55
	v_add_u32_e32 v56, 1, v54
	v_cndmask_b32_e64 v55, v57, v55, s[16:17]
	v_cndmask_b32_e64 v54, v54, v56, s[16:17]
	v_cmp_ge_i32_e64 s[20:21], v55, v15
	s_waitcnt lgkmcnt(0)
	v_cmp_lt_i16_sdwa s[34:35], sext(v53), sext(v52) src0_sel:BYTE_0 src1_sel:BYTE_0
	v_cmp_lt_i32_e64 s[18:19], v54, v16
	s_or_b64 s[20:21], s[20:21], s[34:35]
	s_and_b64 s[18:19], s[18:19], s[20:21]
	s_xor_b64 s[20:21], s[18:19], -1
                                        ; implicit-def: $vgpr56
	s_and_saveexec_b64 s[34:35], s[20:21]
	s_xor_b64 s[20:21], exec, s[34:35]
; %bb.63:                               ;   in Loop: Header=BB66_2 Depth=1
	ds_read_u8 v56, v55 offset:1
; %bb.64:                               ;   in Loop: Header=BB66_2 Depth=1
	s_or_saveexec_b64 s[20:21], s[20:21]
	v_mov_b32_e32 v57, v53
	s_xor_b64 exec, exec, s[20:21]
	s_cbranch_execz .LBB66_66
; %bb.65:                               ;   in Loop: Header=BB66_2 Depth=1
	ds_read_u8 v57, v54 offset:1
	s_waitcnt lgkmcnt(1)
	v_mov_b32_e32 v56, v52
.LBB66_66:                              ;   in Loop: Header=BB66_2 Depth=1
	s_or_b64 exec, exec, s[20:21]
	v_cndmask_b32_e64 v52, v52, v53, s[18:19]
	v_add_u32_e32 v53, 1, v54
	v_add_u32_e32 v58, 1, v55
	v_cndmask_b32_e64 v53, v54, v53, s[18:19]
	v_cndmask_b32_e64 v54, v58, v55, s[18:19]
	;; [unrolled: 1-line block ×3, first 2 shown]
	v_cmp_ge_i32_e64 s[16:17], v54, v15
	s_waitcnt lgkmcnt(0)
	v_cmp_lt_i16_sdwa s[18:19], sext(v57), sext(v56) src0_sel:BYTE_0 src1_sel:BYTE_0
	v_cndmask_b32_e64 v48, v48, v49, s[14:15]
	v_cmp_lt_i32_e64 s[14:15], v53, v16
	s_or_b64 s[16:17], s[16:17], s[18:19]
	s_and_b64 s[14:15], s[14:15], s[16:17]
	v_cndmask_b32_e64 v49, v56, v57, s[14:15]
	s_barrier
	ds_write_b8 v1, v48
	ds_write_b8 v1, v50 offset:1
	ds_write_b8 v1, v52 offset:2
	;; [unrolled: 1-line block ×3, first 2 shown]
	v_mov_b32_e32 v48, v37
	s_waitcnt lgkmcnt(0)
	s_barrier
	s_and_saveexec_b64 s[16:17], s[6:7]
	s_cbranch_execz .LBB66_70
; %bb.67:                               ;   in Loop: Header=BB66_2 Depth=1
	s_mov_b64 s[18:19], 0
	v_mov_b32_e32 v48, v37
	v_mov_b32_e32 v49, v32
.LBB66_68:                              ;   Parent Loop BB66_2 Depth=1
                                        ; =>  This Inner Loop Header: Depth=2
	v_sub_u32_e32 v50, v49, v48
	v_lshrrev_b32_e32 v50, 1, v50
	v_add_u32_e32 v50, v50, v48
	v_add_u32_e32 v51, v6, v50
	v_xad_u32 v52, v50, -1, v27
	ds_read_i8 v51, v51
	ds_read_i8 v52, v52
	v_add_u32_e32 v53, 1, v50
	s_waitcnt lgkmcnt(0)
	v_cmp_lt_i16_e64 s[14:15], v52, v51
	v_cndmask_b32_e64 v49, v49, v50, s[14:15]
	v_cndmask_b32_e64 v48, v53, v48, s[14:15]
	v_cmp_ge_i32_e64 s[14:15], v48, v49
	s_or_b64 s[18:19], s[14:15], s[18:19]
	s_andn2_b64 exec, exec, s[18:19]
	s_cbranch_execnz .LBB66_68
; %bb.69:                               ;   in Loop: Header=BB66_2 Depth=1
	s_or_b64 exec, exec, s[18:19]
.LBB66_70:                              ;   in Loop: Header=BB66_2 Depth=1
	s_or_b64 exec, exec, s[16:17]
	v_add_u32_e32 v52, v48, v6
	v_sub_u32_e32 v53, v27, v48
	ds_read_u8 v48, v52
	ds_read_u8 v49, v53
	v_cmp_le_i32_e64 s[16:17], v17, v52
	v_cmp_gt_i32_e64 s[14:15], v18, v53
                                        ; implicit-def: $vgpr50
	s_waitcnt lgkmcnt(1)
	v_bfe_i32 v48, v48, 0, 8
	s_waitcnt lgkmcnt(0)
	v_bfe_i32 v49, v49, 0, 8
	v_cmp_lt_i16_e64 s[18:19], v49, v48
	s_or_b64 s[16:17], s[16:17], s[18:19]
	s_and_b64 s[14:15], s[14:15], s[16:17]
	s_xor_b64 s[16:17], s[14:15], -1
	s_and_saveexec_b64 s[18:19], s[16:17]
	s_xor_b64 s[16:17], exec, s[18:19]
; %bb.71:                               ;   in Loop: Header=BB66_2 Depth=1
	ds_read_u8 v50, v52 offset:1
; %bb.72:                               ;   in Loop: Header=BB66_2 Depth=1
	s_or_saveexec_b64 s[16:17], s[16:17]
	v_mov_b32_e32 v51, v49
	s_xor_b64 exec, exec, s[16:17]
	s_cbranch_execz .LBB66_74
; %bb.73:                               ;   in Loop: Header=BB66_2 Depth=1
	ds_read_u8 v51, v53 offset:1
	s_waitcnt lgkmcnt(1)
	v_mov_b32_e32 v50, v48
.LBB66_74:                              ;   in Loop: Header=BB66_2 Depth=1
	s_or_b64 exec, exec, s[16:17]
	v_add_u32_e32 v55, 1, v52
	v_add_u32_e32 v54, 1, v53
	v_cndmask_b32_e64 v55, v55, v52, s[14:15]
	v_cndmask_b32_e64 v54, v53, v54, s[14:15]
	v_cmp_ge_i32_e64 s[18:19], v55, v17
	s_waitcnt lgkmcnt(0)
	v_cmp_lt_i16_sdwa s[20:21], sext(v51), sext(v50) src0_sel:BYTE_0 src1_sel:BYTE_0
	v_cmp_lt_i32_e64 s[16:17], v54, v18
	s_or_b64 s[18:19], s[18:19], s[20:21]
	s_and_b64 s[16:17], s[16:17], s[18:19]
	s_xor_b64 s[18:19], s[16:17], -1
                                        ; implicit-def: $vgpr52
	s_and_saveexec_b64 s[20:21], s[18:19]
	s_xor_b64 s[18:19], exec, s[20:21]
; %bb.75:                               ;   in Loop: Header=BB66_2 Depth=1
	ds_read_u8 v52, v55 offset:1
; %bb.76:                               ;   in Loop: Header=BB66_2 Depth=1
	s_or_saveexec_b64 s[18:19], s[18:19]
	v_mov_b32_e32 v53, v51
	s_xor_b64 exec, exec, s[18:19]
	s_cbranch_execz .LBB66_78
; %bb.77:                               ;   in Loop: Header=BB66_2 Depth=1
	ds_read_u8 v53, v54 offset:1
	s_waitcnt lgkmcnt(1)
	v_mov_b32_e32 v52, v50
.LBB66_78:                              ;   in Loop: Header=BB66_2 Depth=1
	s_or_b64 exec, exec, s[18:19]
	v_add_u32_e32 v57, 1, v55
	v_add_u32_e32 v56, 1, v54
	v_cndmask_b32_e64 v55, v57, v55, s[16:17]
	v_cndmask_b32_e64 v54, v54, v56, s[16:17]
	v_cmp_ge_i32_e64 s[20:21], v55, v17
	s_waitcnt lgkmcnt(0)
	v_cmp_lt_i16_sdwa s[34:35], sext(v53), sext(v52) src0_sel:BYTE_0 src1_sel:BYTE_0
	v_cmp_lt_i32_e64 s[18:19], v54, v18
	s_or_b64 s[20:21], s[20:21], s[34:35]
	s_and_b64 s[18:19], s[18:19], s[20:21]
	s_xor_b64 s[20:21], s[18:19], -1
                                        ; implicit-def: $vgpr56
	s_and_saveexec_b64 s[34:35], s[20:21]
	s_xor_b64 s[20:21], exec, s[34:35]
; %bb.79:                               ;   in Loop: Header=BB66_2 Depth=1
	ds_read_u8 v56, v55 offset:1
; %bb.80:                               ;   in Loop: Header=BB66_2 Depth=1
	s_or_saveexec_b64 s[20:21], s[20:21]
	v_mov_b32_e32 v57, v53
	s_xor_b64 exec, exec, s[20:21]
	s_cbranch_execz .LBB66_82
; %bb.81:                               ;   in Loop: Header=BB66_2 Depth=1
	ds_read_u8 v57, v54 offset:1
	s_waitcnt lgkmcnt(1)
	v_mov_b32_e32 v56, v52
.LBB66_82:                              ;   in Loop: Header=BB66_2 Depth=1
	s_or_b64 exec, exec, s[20:21]
	v_cndmask_b32_e64 v52, v52, v53, s[18:19]
	v_add_u32_e32 v53, 1, v54
	v_add_u32_e32 v58, 1, v55
	v_cndmask_b32_e64 v53, v54, v53, s[18:19]
	v_cndmask_b32_e64 v54, v58, v55, s[18:19]
	;; [unrolled: 1-line block ×3, first 2 shown]
	v_cmp_ge_i32_e64 s[16:17], v54, v17
	s_waitcnt lgkmcnt(0)
	v_cmp_lt_i16_sdwa s[18:19], sext(v57), sext(v56) src0_sel:BYTE_0 src1_sel:BYTE_0
	v_cndmask_b32_e64 v48, v48, v49, s[14:15]
	v_cmp_lt_i32_e64 s[14:15], v53, v18
	s_or_b64 s[16:17], s[16:17], s[18:19]
	s_and_b64 s[14:15], s[14:15], s[16:17]
	v_cndmask_b32_e64 v49, v56, v57, s[14:15]
	s_barrier
	ds_write_b8 v1, v48
	ds_write_b8 v1, v50 offset:1
	ds_write_b8 v1, v52 offset:2
	;; [unrolled: 1-line block ×3, first 2 shown]
	v_mov_b32_e32 v48, v38
	s_waitcnt lgkmcnt(0)
	s_barrier
	s_and_saveexec_b64 s[16:17], s[8:9]
	s_cbranch_execz .LBB66_86
; %bb.83:                               ;   in Loop: Header=BB66_2 Depth=1
	s_mov_b64 s[18:19], 0
	v_mov_b32_e32 v48, v38
	v_mov_b32_e32 v49, v39
.LBB66_84:                              ;   Parent Loop BB66_2 Depth=1
                                        ; =>  This Inner Loop Header: Depth=2
	v_sub_u32_e32 v50, v49, v48
	v_lshrrev_b32_e32 v50, 1, v50
	v_add_u32_e32 v50, v50, v48
	v_add_u32_e32 v51, v7, v50
	v_xad_u32 v52, v50, -1, v40
	ds_read_i8 v51, v51
	ds_read_i8 v52, v52
	v_add_u32_e32 v53, 1, v50
	s_waitcnt lgkmcnt(0)
	v_cmp_lt_i16_e64 s[14:15], v52, v51
	v_cndmask_b32_e64 v49, v49, v50, s[14:15]
	v_cndmask_b32_e64 v48, v53, v48, s[14:15]
	v_cmp_ge_i32_e64 s[14:15], v48, v49
	s_or_b64 s[18:19], s[14:15], s[18:19]
	s_andn2_b64 exec, exec, s[18:19]
	s_cbranch_execnz .LBB66_84
; %bb.85:                               ;   in Loop: Header=BB66_2 Depth=1
	s_or_b64 exec, exec, s[18:19]
.LBB66_86:                              ;   in Loop: Header=BB66_2 Depth=1
	s_or_b64 exec, exec, s[16:17]
	v_add_u32_e32 v52, v48, v7
	v_sub_u32_e32 v53, v40, v48
	ds_read_u8 v48, v52
	ds_read_u8 v49, v53
	v_cmp_le_i32_e64 s[16:17], v19, v52
	v_cmp_gt_i32_e64 s[14:15], v20, v53
                                        ; implicit-def: $vgpr50
	s_waitcnt lgkmcnt(1)
	v_bfe_i32 v48, v48, 0, 8
	s_waitcnt lgkmcnt(0)
	v_bfe_i32 v49, v49, 0, 8
	v_cmp_lt_i16_e64 s[18:19], v49, v48
	s_or_b64 s[16:17], s[16:17], s[18:19]
	s_and_b64 s[14:15], s[14:15], s[16:17]
	s_xor_b64 s[16:17], s[14:15], -1
	s_and_saveexec_b64 s[18:19], s[16:17]
	s_xor_b64 s[16:17], exec, s[18:19]
; %bb.87:                               ;   in Loop: Header=BB66_2 Depth=1
	ds_read_u8 v50, v52 offset:1
; %bb.88:                               ;   in Loop: Header=BB66_2 Depth=1
	s_or_saveexec_b64 s[16:17], s[16:17]
	v_mov_b32_e32 v51, v49
	s_xor_b64 exec, exec, s[16:17]
	s_cbranch_execz .LBB66_90
; %bb.89:                               ;   in Loop: Header=BB66_2 Depth=1
	ds_read_u8 v51, v53 offset:1
	s_waitcnt lgkmcnt(1)
	v_mov_b32_e32 v50, v48
.LBB66_90:                              ;   in Loop: Header=BB66_2 Depth=1
	s_or_b64 exec, exec, s[16:17]
	v_add_u32_e32 v55, 1, v52
	v_add_u32_e32 v54, 1, v53
	v_cndmask_b32_e64 v55, v55, v52, s[14:15]
	v_cndmask_b32_e64 v54, v53, v54, s[14:15]
	v_cmp_ge_i32_e64 s[18:19], v55, v19
	s_waitcnt lgkmcnt(0)
	v_cmp_lt_i16_sdwa s[20:21], sext(v51), sext(v50) src0_sel:BYTE_0 src1_sel:BYTE_0
	v_cmp_lt_i32_e64 s[16:17], v54, v20
	s_or_b64 s[18:19], s[18:19], s[20:21]
	s_and_b64 s[16:17], s[16:17], s[18:19]
	s_xor_b64 s[18:19], s[16:17], -1
                                        ; implicit-def: $vgpr52
	s_and_saveexec_b64 s[20:21], s[18:19]
	s_xor_b64 s[18:19], exec, s[20:21]
; %bb.91:                               ;   in Loop: Header=BB66_2 Depth=1
	ds_read_u8 v52, v55 offset:1
; %bb.92:                               ;   in Loop: Header=BB66_2 Depth=1
	s_or_saveexec_b64 s[18:19], s[18:19]
	v_mov_b32_e32 v53, v51
	s_xor_b64 exec, exec, s[18:19]
	s_cbranch_execz .LBB66_94
; %bb.93:                               ;   in Loop: Header=BB66_2 Depth=1
	ds_read_u8 v53, v54 offset:1
	s_waitcnt lgkmcnt(1)
	v_mov_b32_e32 v52, v50
.LBB66_94:                              ;   in Loop: Header=BB66_2 Depth=1
	s_or_b64 exec, exec, s[18:19]
	v_add_u32_e32 v57, 1, v55
	v_add_u32_e32 v56, 1, v54
	v_cndmask_b32_e64 v55, v57, v55, s[16:17]
	v_cndmask_b32_e64 v54, v54, v56, s[16:17]
	v_cmp_ge_i32_e64 s[20:21], v55, v19
	s_waitcnt lgkmcnt(0)
	v_cmp_lt_i16_sdwa s[34:35], sext(v53), sext(v52) src0_sel:BYTE_0 src1_sel:BYTE_0
	v_cmp_lt_i32_e64 s[18:19], v54, v20
	s_or_b64 s[20:21], s[20:21], s[34:35]
	s_and_b64 s[18:19], s[18:19], s[20:21]
	s_xor_b64 s[20:21], s[18:19], -1
                                        ; implicit-def: $vgpr56
	s_and_saveexec_b64 s[34:35], s[20:21]
	s_xor_b64 s[20:21], exec, s[34:35]
; %bb.95:                               ;   in Loop: Header=BB66_2 Depth=1
	ds_read_u8 v56, v55 offset:1
; %bb.96:                               ;   in Loop: Header=BB66_2 Depth=1
	s_or_saveexec_b64 s[20:21], s[20:21]
	v_mov_b32_e32 v57, v53
	s_xor_b64 exec, exec, s[20:21]
	s_cbranch_execz .LBB66_98
; %bb.97:                               ;   in Loop: Header=BB66_2 Depth=1
	ds_read_u8 v57, v54 offset:1
	s_waitcnt lgkmcnt(1)
	v_mov_b32_e32 v56, v52
.LBB66_98:                              ;   in Loop: Header=BB66_2 Depth=1
	s_or_b64 exec, exec, s[20:21]
	v_cndmask_b32_e64 v52, v52, v53, s[18:19]
	v_add_u32_e32 v53, 1, v54
	v_add_u32_e32 v58, 1, v55
	v_cndmask_b32_e64 v53, v54, v53, s[18:19]
	v_cndmask_b32_e64 v54, v58, v55, s[18:19]
	;; [unrolled: 1-line block ×3, first 2 shown]
	v_cmp_ge_i32_e64 s[16:17], v54, v19
	s_waitcnt lgkmcnt(0)
	v_cmp_lt_i16_sdwa s[18:19], sext(v57), sext(v56) src0_sel:BYTE_0 src1_sel:BYTE_0
	v_cndmask_b32_e64 v48, v48, v49, s[14:15]
	v_cmp_lt_i32_e64 s[14:15], v53, v20
	s_or_b64 s[16:17], s[16:17], s[18:19]
	s_and_b64 s[14:15], s[14:15], s[16:17]
	v_cndmask_b32_e64 v49, v56, v57, s[14:15]
	s_barrier
	ds_write_b8 v1, v48
	ds_write_b8 v1, v50 offset:1
	ds_write_b8 v1, v52 offset:2
	;; [unrolled: 1-line block ×3, first 2 shown]
	v_mov_b32_e32 v48, v41
	s_waitcnt lgkmcnt(0)
	s_barrier
	s_and_saveexec_b64 s[16:17], s[10:11]
	s_cbranch_execz .LBB66_102
; %bb.99:                               ;   in Loop: Header=BB66_2 Depth=1
	s_mov_b64 s[18:19], 0
	v_mov_b32_e32 v48, v41
	v_mov_b32_e32 v49, v42
.LBB66_100:                             ;   Parent Loop BB66_2 Depth=1
                                        ; =>  This Inner Loop Header: Depth=2
	v_sub_u32_e32 v50, v49, v48
	v_lshrrev_b32_e32 v50, 1, v50
	v_add_u32_e32 v50, v50, v48
	v_add_u32_e32 v51, v8, v50
	v_xad_u32 v52, v50, -1, v43
	ds_read_i8 v51, v51
	ds_read_i8 v52, v52
	v_add_u32_e32 v53, 1, v50
	s_waitcnt lgkmcnt(0)
	v_cmp_lt_i16_e64 s[14:15], v52, v51
	v_cndmask_b32_e64 v49, v49, v50, s[14:15]
	v_cndmask_b32_e64 v48, v53, v48, s[14:15]
	v_cmp_ge_i32_e64 s[14:15], v48, v49
	s_or_b64 s[18:19], s[14:15], s[18:19]
	s_andn2_b64 exec, exec, s[18:19]
	s_cbranch_execnz .LBB66_100
; %bb.101:                              ;   in Loop: Header=BB66_2 Depth=1
	s_or_b64 exec, exec, s[18:19]
.LBB66_102:                             ;   in Loop: Header=BB66_2 Depth=1
	s_or_b64 exec, exec, s[16:17]
	v_add_u32_e32 v52, v48, v8
	v_sub_u32_e32 v53, v43, v48
	ds_read_u8 v48, v52
	ds_read_u8 v49, v53
	v_cmp_le_i32_e64 s[16:17], v21, v52
	v_cmp_gt_i32_e64 s[14:15], v22, v53
                                        ; implicit-def: $vgpr50
	s_waitcnt lgkmcnt(1)
	v_bfe_i32 v48, v48, 0, 8
	s_waitcnt lgkmcnt(0)
	v_bfe_i32 v49, v49, 0, 8
	v_cmp_lt_i16_e64 s[18:19], v49, v48
	s_or_b64 s[16:17], s[16:17], s[18:19]
	s_and_b64 s[14:15], s[14:15], s[16:17]
	s_xor_b64 s[16:17], s[14:15], -1
	s_and_saveexec_b64 s[18:19], s[16:17]
	s_xor_b64 s[16:17], exec, s[18:19]
; %bb.103:                              ;   in Loop: Header=BB66_2 Depth=1
	ds_read_u8 v50, v52 offset:1
; %bb.104:                              ;   in Loop: Header=BB66_2 Depth=1
	s_or_saveexec_b64 s[16:17], s[16:17]
	v_mov_b32_e32 v51, v49
	s_xor_b64 exec, exec, s[16:17]
	s_cbranch_execz .LBB66_106
; %bb.105:                              ;   in Loop: Header=BB66_2 Depth=1
	ds_read_u8 v51, v53 offset:1
	s_waitcnt lgkmcnt(1)
	v_mov_b32_e32 v50, v48
.LBB66_106:                             ;   in Loop: Header=BB66_2 Depth=1
	s_or_b64 exec, exec, s[16:17]
	v_add_u32_e32 v55, 1, v52
	v_add_u32_e32 v54, 1, v53
	v_cndmask_b32_e64 v55, v55, v52, s[14:15]
	v_cndmask_b32_e64 v54, v53, v54, s[14:15]
	v_cmp_ge_i32_e64 s[18:19], v55, v21
	s_waitcnt lgkmcnt(0)
	v_cmp_lt_i16_sdwa s[20:21], sext(v51), sext(v50) src0_sel:BYTE_0 src1_sel:BYTE_0
	v_cmp_lt_i32_e64 s[16:17], v54, v22
	s_or_b64 s[18:19], s[18:19], s[20:21]
	s_and_b64 s[16:17], s[16:17], s[18:19]
	s_xor_b64 s[18:19], s[16:17], -1
                                        ; implicit-def: $vgpr52
	s_and_saveexec_b64 s[20:21], s[18:19]
	s_xor_b64 s[18:19], exec, s[20:21]
; %bb.107:                              ;   in Loop: Header=BB66_2 Depth=1
	ds_read_u8 v52, v55 offset:1
; %bb.108:                              ;   in Loop: Header=BB66_2 Depth=1
	s_or_saveexec_b64 s[18:19], s[18:19]
	v_mov_b32_e32 v53, v51
	s_xor_b64 exec, exec, s[18:19]
	s_cbranch_execz .LBB66_110
; %bb.109:                              ;   in Loop: Header=BB66_2 Depth=1
	ds_read_u8 v53, v54 offset:1
	s_waitcnt lgkmcnt(1)
	v_mov_b32_e32 v52, v50
.LBB66_110:                             ;   in Loop: Header=BB66_2 Depth=1
	s_or_b64 exec, exec, s[18:19]
	v_add_u32_e32 v57, 1, v55
	v_add_u32_e32 v56, 1, v54
	v_cndmask_b32_e64 v55, v57, v55, s[16:17]
	v_cndmask_b32_e64 v54, v54, v56, s[16:17]
	v_cmp_ge_i32_e64 s[20:21], v55, v21
	s_waitcnt lgkmcnt(0)
	v_cmp_lt_i16_sdwa s[34:35], sext(v53), sext(v52) src0_sel:BYTE_0 src1_sel:BYTE_0
	v_cmp_lt_i32_e64 s[18:19], v54, v22
	s_or_b64 s[20:21], s[20:21], s[34:35]
	s_and_b64 s[18:19], s[18:19], s[20:21]
	s_xor_b64 s[20:21], s[18:19], -1
                                        ; implicit-def: $vgpr56
	s_and_saveexec_b64 s[34:35], s[20:21]
	s_xor_b64 s[20:21], exec, s[34:35]
; %bb.111:                              ;   in Loop: Header=BB66_2 Depth=1
	ds_read_u8 v56, v55 offset:1
; %bb.112:                              ;   in Loop: Header=BB66_2 Depth=1
	s_or_saveexec_b64 s[20:21], s[20:21]
	v_mov_b32_e32 v57, v53
	s_xor_b64 exec, exec, s[20:21]
	s_cbranch_execz .LBB66_114
; %bb.113:                              ;   in Loop: Header=BB66_2 Depth=1
	ds_read_u8 v57, v54 offset:1
	s_waitcnt lgkmcnt(1)
	v_mov_b32_e32 v56, v52
.LBB66_114:                             ;   in Loop: Header=BB66_2 Depth=1
	s_or_b64 exec, exec, s[20:21]
	v_cndmask_b32_e64 v52, v52, v53, s[18:19]
	v_add_u32_e32 v53, 1, v54
	v_add_u32_e32 v58, 1, v55
	v_cndmask_b32_e64 v53, v54, v53, s[18:19]
	v_cndmask_b32_e64 v54, v58, v55, s[18:19]
	;; [unrolled: 1-line block ×3, first 2 shown]
	v_cmp_ge_i32_e64 s[16:17], v54, v21
	s_waitcnt lgkmcnt(0)
	v_cmp_lt_i16_sdwa s[18:19], sext(v57), sext(v56) src0_sel:BYTE_0 src1_sel:BYTE_0
	v_cndmask_b32_e64 v48, v48, v49, s[14:15]
	v_cmp_lt_i32_e64 s[14:15], v53, v22
	s_or_b64 s[16:17], s[16:17], s[18:19]
	s_and_b64 s[14:15], s[14:15], s[16:17]
	v_cndmask_b32_e64 v49, v56, v57, s[14:15]
	s_barrier
	ds_write_b8 v1, v48
	ds_write_b8 v1, v50 offset:1
	ds_write_b8 v1, v52 offset:2
	;; [unrolled: 1-line block ×3, first 2 shown]
	v_mov_b32_e32 v52, v45
	s_waitcnt lgkmcnt(0)
	s_barrier
	s_and_saveexec_b64 s[16:17], s[12:13]
	s_cbranch_execz .LBB66_118
; %bb.115:                              ;   in Loop: Header=BB66_2 Depth=1
	s_mov_b64 s[18:19], 0
	v_mov_b32_e32 v52, v45
	v_mov_b32_e32 v48, v46
.LBB66_116:                             ;   Parent Loop BB66_2 Depth=1
                                        ; =>  This Inner Loop Header: Depth=2
	v_sub_u32_e32 v49, v48, v52
	v_lshrrev_b32_e32 v49, 1, v49
	v_add_u32_e32 v49, v49, v52
	v_xad_u32 v50, v49, -1, v47
	ds_read_i8 v51, v49
	ds_read_i8 v50, v50
	v_add_u32_e32 v53, 1, v49
	s_waitcnt lgkmcnt(0)
	v_cmp_lt_i16_e64 s[14:15], v50, v51
	v_cndmask_b32_e64 v48, v48, v49, s[14:15]
	v_cndmask_b32_e64 v52, v53, v52, s[14:15]
	v_cmp_ge_i32_e64 s[14:15], v52, v48
	s_or_b64 s[18:19], s[14:15], s[18:19]
	s_andn2_b64 exec, exec, s[18:19]
	s_cbranch_execnz .LBB66_116
; %bb.117:                              ;   in Loop: Header=BB66_2 Depth=1
	s_or_b64 exec, exec, s[18:19]
.LBB66_118:                             ;   in Loop: Header=BB66_2 Depth=1
	s_or_b64 exec, exec, s[16:17]
	v_sub_u32_e32 v53, v47, v52
	ds_read_u8 v48, v52
	ds_read_u8 v49, v53
	v_cmp_le_i32_e64 s[16:17], v44, v52
	v_cmp_gt_i32_e64 s[14:15], s31, v53
                                        ; implicit-def: $vgpr50
	s_waitcnt lgkmcnt(1)
	v_bfe_i32 v48, v48, 0, 8
	s_waitcnt lgkmcnt(0)
	v_bfe_i32 v49, v49, 0, 8
	v_cmp_lt_i16_e64 s[18:19], v49, v48
	s_or_b64 s[16:17], s[16:17], s[18:19]
	s_and_b64 s[14:15], s[14:15], s[16:17]
	s_xor_b64 s[16:17], s[14:15], -1
	s_and_saveexec_b64 s[18:19], s[16:17]
	s_xor_b64 s[16:17], exec, s[18:19]
; %bb.119:                              ;   in Loop: Header=BB66_2 Depth=1
	ds_read_u8 v50, v52 offset:1
; %bb.120:                              ;   in Loop: Header=BB66_2 Depth=1
	s_or_saveexec_b64 s[16:17], s[16:17]
	v_mov_b32_e32 v51, v49
	s_xor_b64 exec, exec, s[16:17]
	s_cbranch_execz .LBB66_122
; %bb.121:                              ;   in Loop: Header=BB66_2 Depth=1
	ds_read_u8 v51, v53 offset:1
	s_waitcnt lgkmcnt(1)
	v_mov_b32_e32 v50, v48
.LBB66_122:                             ;   in Loop: Header=BB66_2 Depth=1
	s_or_b64 exec, exec, s[16:17]
	v_add_u32_e32 v55, 1, v52
	v_add_u32_e32 v54, 1, v53
	v_cndmask_b32_e64 v55, v55, v52, s[14:15]
	v_cndmask_b32_e64 v54, v53, v54, s[14:15]
	v_cmp_ge_i32_e64 s[18:19], v55, v44
	s_waitcnt lgkmcnt(0)
	v_cmp_lt_i16_sdwa s[20:21], sext(v51), sext(v50) src0_sel:BYTE_0 src1_sel:BYTE_0
	v_cmp_gt_i32_e64 s[16:17], s31, v54
	s_or_b64 s[18:19], s[18:19], s[20:21]
	s_and_b64 s[16:17], s[16:17], s[18:19]
	s_xor_b64 s[18:19], s[16:17], -1
                                        ; implicit-def: $vgpr52
	s_and_saveexec_b64 s[20:21], s[18:19]
	s_xor_b64 s[18:19], exec, s[20:21]
; %bb.123:                              ;   in Loop: Header=BB66_2 Depth=1
	ds_read_u8 v52, v55 offset:1
; %bb.124:                              ;   in Loop: Header=BB66_2 Depth=1
	s_or_saveexec_b64 s[18:19], s[18:19]
	v_mov_b32_e32 v53, v51
	s_xor_b64 exec, exec, s[18:19]
	s_cbranch_execz .LBB66_126
; %bb.125:                              ;   in Loop: Header=BB66_2 Depth=1
	ds_read_u8 v53, v54 offset:1
	s_waitcnt lgkmcnt(1)
	v_mov_b32_e32 v52, v50
.LBB66_126:                             ;   in Loop: Header=BB66_2 Depth=1
	s_or_b64 exec, exec, s[18:19]
	v_add_u32_e32 v57, 1, v55
	v_add_u32_e32 v56, 1, v54
	v_cndmask_b32_e64 v57, v57, v55, s[16:17]
	v_cndmask_b32_e64 v54, v54, v56, s[16:17]
	v_cmp_ge_i32_e64 s[20:21], v57, v44
	s_waitcnt lgkmcnt(0)
	v_cmp_lt_i16_sdwa s[34:35], sext(v53), sext(v52) src0_sel:BYTE_0 src1_sel:BYTE_0
	v_cmp_gt_i32_e64 s[18:19], s31, v54
	s_or_b64 s[20:21], s[20:21], s[34:35]
	s_and_b64 s[18:19], s[18:19], s[20:21]
	s_xor_b64 s[20:21], s[18:19], -1
                                        ; implicit-def: $vgpr55
                                        ; implicit-def: $vgpr56
	s_and_saveexec_b64 s[34:35], s[20:21]
	s_xor_b64 s[20:21], exec, s[34:35]
; %bb.127:                              ;   in Loop: Header=BB66_2 Depth=1
	ds_read_u8 v55, v57 offset:1
	v_add_u32_e32 v56, 1, v57
                                        ; implicit-def: $vgpr57
; %bb.128:                              ;   in Loop: Header=BB66_2 Depth=1
	s_or_saveexec_b64 s[20:21], s[20:21]
	v_mov_b32_e32 v58, v53
	s_xor_b64 exec, exec, s[20:21]
	s_cbranch_execz .LBB66_1
; %bb.129:                              ;   in Loop: Header=BB66_2 Depth=1
	ds_read_u8 v58, v54 offset:1
	v_add_u32_e32 v54, 1, v54
	v_mov_b32_e32 v56, v57
	s_waitcnt lgkmcnt(1)
	v_mov_b32_e32 v55, v52
	s_branch .LBB66_1
.LBB66_130:
	s_add_u32 s0, s22, s24
	s_addc_u32 s1, s23, 0
	v_mov_b32_e32 v1, s1
	v_add_co_u32_e32 v0, vcc, s0, v0
	v_addc_co_u32_e32 v1, vcc, 0, v1, vcc
	global_store_byte v[0:1], v49, off
	global_store_byte v[0:1], v50, off offset:256
	global_store_byte v[0:1], v51, off offset:512
	;; [unrolled: 1-line block ×3, first 2 shown]
	s_endpgm
	.section	.rodata,"a",@progbits
	.p2align	6, 0x0
	.amdhsa_kernel _Z16sort_keys_kernelIaLj256ELj4EN10test_utils4lessELj10EEvPKT_PS2_T2_
		.amdhsa_group_segment_fixed_size 1025
		.amdhsa_private_segment_fixed_size 0
		.amdhsa_kernarg_size 20
		.amdhsa_user_sgpr_count 6
		.amdhsa_user_sgpr_private_segment_buffer 1
		.amdhsa_user_sgpr_dispatch_ptr 0
		.amdhsa_user_sgpr_queue_ptr 0
		.amdhsa_user_sgpr_kernarg_segment_ptr 1
		.amdhsa_user_sgpr_dispatch_id 0
		.amdhsa_user_sgpr_flat_scratch_init 0
		.amdhsa_user_sgpr_private_segment_size 0
		.amdhsa_uses_dynamic_stack 0
		.amdhsa_system_sgpr_private_segment_wavefront_offset 0
		.amdhsa_system_sgpr_workgroup_id_x 1
		.amdhsa_system_sgpr_workgroup_id_y 0
		.amdhsa_system_sgpr_workgroup_id_z 0
		.amdhsa_system_sgpr_workgroup_info 0
		.amdhsa_system_vgpr_workitem_id 0
		.amdhsa_next_free_vgpr 59
		.amdhsa_next_free_sgpr 36
		.amdhsa_reserve_vcc 1
		.amdhsa_reserve_flat_scratch 0
		.amdhsa_float_round_mode_32 0
		.amdhsa_float_round_mode_16_64 0
		.amdhsa_float_denorm_mode_32 3
		.amdhsa_float_denorm_mode_16_64 3
		.amdhsa_dx10_clamp 1
		.amdhsa_ieee_mode 1
		.amdhsa_fp16_overflow 0
		.amdhsa_exception_fp_ieee_invalid_op 0
		.amdhsa_exception_fp_denorm_src 0
		.amdhsa_exception_fp_ieee_div_zero 0
		.amdhsa_exception_fp_ieee_overflow 0
		.amdhsa_exception_fp_ieee_underflow 0
		.amdhsa_exception_fp_ieee_inexact 0
		.amdhsa_exception_int_div_zero 0
	.end_amdhsa_kernel
	.section	.text._Z16sort_keys_kernelIaLj256ELj4EN10test_utils4lessELj10EEvPKT_PS2_T2_,"axG",@progbits,_Z16sort_keys_kernelIaLj256ELj4EN10test_utils4lessELj10EEvPKT_PS2_T2_,comdat
.Lfunc_end66:
	.size	_Z16sort_keys_kernelIaLj256ELj4EN10test_utils4lessELj10EEvPKT_PS2_T2_, .Lfunc_end66-_Z16sort_keys_kernelIaLj256ELj4EN10test_utils4lessELj10EEvPKT_PS2_T2_
                                        ; -- End function
	.set _Z16sort_keys_kernelIaLj256ELj4EN10test_utils4lessELj10EEvPKT_PS2_T2_.num_vgpr, 59
	.set _Z16sort_keys_kernelIaLj256ELj4EN10test_utils4lessELj10EEvPKT_PS2_T2_.num_agpr, 0
	.set _Z16sort_keys_kernelIaLj256ELj4EN10test_utils4lessELj10EEvPKT_PS2_T2_.numbered_sgpr, 36
	.set _Z16sort_keys_kernelIaLj256ELj4EN10test_utils4lessELj10EEvPKT_PS2_T2_.num_named_barrier, 0
	.set _Z16sort_keys_kernelIaLj256ELj4EN10test_utils4lessELj10EEvPKT_PS2_T2_.private_seg_size, 0
	.set _Z16sort_keys_kernelIaLj256ELj4EN10test_utils4lessELj10EEvPKT_PS2_T2_.uses_vcc, 1
	.set _Z16sort_keys_kernelIaLj256ELj4EN10test_utils4lessELj10EEvPKT_PS2_T2_.uses_flat_scratch, 0
	.set _Z16sort_keys_kernelIaLj256ELj4EN10test_utils4lessELj10EEvPKT_PS2_T2_.has_dyn_sized_stack, 0
	.set _Z16sort_keys_kernelIaLj256ELj4EN10test_utils4lessELj10EEvPKT_PS2_T2_.has_recursion, 0
	.set _Z16sort_keys_kernelIaLj256ELj4EN10test_utils4lessELj10EEvPKT_PS2_T2_.has_indirect_call, 0
	.section	.AMDGPU.csdata,"",@progbits
; Kernel info:
; codeLenInByte = 6024
; TotalNumSgprs: 40
; NumVgprs: 59
; ScratchSize: 0
; MemoryBound: 0
; FloatMode: 240
; IeeeMode: 1
; LDSByteSize: 1025 bytes/workgroup (compile time only)
; SGPRBlocks: 4
; VGPRBlocks: 14
; NumSGPRsForWavesPerEU: 40
; NumVGPRsForWavesPerEU: 59
; Occupancy: 4
; WaveLimiterHint : 1
; COMPUTE_PGM_RSRC2:SCRATCH_EN: 0
; COMPUTE_PGM_RSRC2:USER_SGPR: 6
; COMPUTE_PGM_RSRC2:TRAP_HANDLER: 0
; COMPUTE_PGM_RSRC2:TGID_X_EN: 1
; COMPUTE_PGM_RSRC2:TGID_Y_EN: 0
; COMPUTE_PGM_RSRC2:TGID_Z_EN: 0
; COMPUTE_PGM_RSRC2:TIDIG_COMP_CNT: 0
	.section	.text._Z17sort_pairs_kernelIaLj256ELj4EN10test_utils4lessELj10EEvPKT_PS2_T2_,"axG",@progbits,_Z17sort_pairs_kernelIaLj256ELj4EN10test_utils4lessELj10EEvPKT_PS2_T2_,comdat
	.protected	_Z17sort_pairs_kernelIaLj256ELj4EN10test_utils4lessELj10EEvPKT_PS2_T2_ ; -- Begin function _Z17sort_pairs_kernelIaLj256ELj4EN10test_utils4lessELj10EEvPKT_PS2_T2_
	.globl	_Z17sort_pairs_kernelIaLj256ELj4EN10test_utils4lessELj10EEvPKT_PS2_T2_
	.p2align	8
	.type	_Z17sort_pairs_kernelIaLj256ELj4EN10test_utils4lessELj10EEvPKT_PS2_T2_,@function
_Z17sort_pairs_kernelIaLj256ELj4EN10test_utils4lessELj10EEvPKT_PS2_T2_: ; @_Z17sort_pairs_kernelIaLj256ELj4EN10test_utils4lessELj10EEvPKT_PS2_T2_
; %bb.0:
	s_load_dwordx4 s[36:39], s[4:5], 0x0
	s_lshl_b32 s33, s6, 10
	v_lshlrev_b32_e32 v1, 2, v0
	v_and_b32_e32 v2, 0x3f8, v1
	v_and_b32_e32 v5, 0x3f0, v1
	s_waitcnt lgkmcnt(0)
	s_add_u32 s0, s36, s33
	s_addc_u32 s1, s37, 0
	global_load_ubyte v53, v0, s[0:1]
	global_load_ubyte v54, v0, s[0:1] offset:256
	global_load_ubyte v55, v0, s[0:1] offset:512
	;; [unrolled: 1-line block ×3, first 2 shown]
	v_and_b32_e32 v8, 0x3e0, v1
	v_and_b32_e32 v11, 0x3c0, v1
	v_and_b32_e32 v14, 0x380, v1
	v_and_b32_e32 v17, 0x300, v1
	v_and_b32_e32 v20, 0x200, v1
	v_or_b32_e32 v3, 4, v2
	v_add_u32_e32 v4, 8, v2
	v_or_b32_e32 v6, 8, v5
	v_add_u32_e32 v7, 16, v5
	;; [unrolled: 2-line block ×7, first 2 shown]
	v_and_b32_e32 v25, 4, v1
	v_sub_u32_e32 v23, v4, v3
	v_and_b32_e32 v28, 12, v1
	v_sub_u32_e32 v26, v7, v6
	;; [unrolled: 2-line block ×7, first 2 shown]
	v_sub_u32_e32 v24, v25, v23
	v_sub_u32_e32 v27, v28, v26
	;; [unrolled: 1-line block ×7, first 2 shown]
	v_cmp_ge_i32_e32 vcc, v25, v23
	v_cmp_ge_i32_e64 s[0:1], v28, v26
	v_cmp_ge_i32_e64 s[2:3], v31, v29
	;; [unrolled: 1-line block ×6, first 2 shown]
	v_cndmask_b32_e32 v23, 0, v24, vcc
	v_sub_u32_e32 v24, v3, v2
	v_cndmask_b32_e64 v26, 0, v27, s[0:1]
	v_sub_u32_e32 v27, v6, v5
	v_cndmask_b32_e64 v29, 0, v30, s[2:3]
	;; [unrolled: 2-line block ×6, first 2 shown]
	v_sub_u32_e32 v42, v21, v20
	v_mov_b32_e32 v44, 0x200
	v_min_i32_e32 v24, v25, v24
	v_min_i32_e32 v27, v28, v27
	v_min_i32_e32 v30, v31, v30
	v_min_i32_e32 v33, v34, v33
	v_min_i32_e32 v36, v37, v36
	v_min_i32_e32 v39, v40, v39
	v_min_i32_e32 v42, v43, v42
	v_sub_u32_e64 v45, v1, v44 clamp
	v_min_i32_e32 v46, 0x200, v1
	s_mov_b32 s36, 0
	v_cmp_lt_i32_e32 vcc, v23, v24
	v_add_u32_e32 v25, v3, v25
	v_cmp_lt_i32_e64 s[0:1], v26, v27
	v_add_u32_e32 v28, v6, v28
	v_cmp_lt_i32_e64 s[2:3], v29, v30
	v_add_u32_e32 v31, v9, v31
	v_cmp_lt_i32_e64 s[4:5], v32, v33
	v_add_u32_e32 v34, v12, v34
	v_cmp_lt_i32_e64 s[6:7], v35, v36
	v_add_u32_e32 v37, v15, v37
	v_cmp_lt_i32_e64 s[8:9], v38, v39
	v_add_u32_e32 v40, v18, v40
	v_cmp_lt_i32_e64 s[10:11], v41, v42
	v_add_u32_e32 v43, v21, v43
	v_cmp_lt_i32_e64 s[12:13], v45, v46
	s_mov_b32 s37, 0xc0c0004
	s_mov_b32 s40, 0xc0c0001
	;; [unrolled: 1-line block ×3, first 2 shown]
	s_movk_i32 s42, 0xff00
	s_mov_b32 s43, 0xffff0000
	s_mov_b32 s44, 0x7050604
	s_movk_i32 s45, 0x400
	s_waitcnt vmcnt(3)
	v_add_u16_e32 v48, 1, v53
	s_waitcnt vmcnt(2)
	v_add_u16_e32 v49, 1, v54
	;; [unrolled: 2-line block ×4, first 2 shown]
	v_add_u32_e32 v47, 0x200, v1
	s_branch .LBB67_2
.LBB67_1:                               ;   in Loop: Header=BB67_2 Depth=1
	s_or_b64 exec, exec, s[20:21]
	v_cmp_ge_i32_e64 s[20:21], v64, v44
	s_waitcnt lgkmcnt(0)
	v_cmp_lt_i16_sdwa s[22:23], sext(v67), sext(v65) src0_sel:BYTE_0 src1_sel:BYTE_0
	v_cndmask_b32_e64 v53, v53, v57, s[14:15]
	v_cndmask_b32_e64 v55, v52, v55, s[14:15]
	v_cmp_gt_i32_e64 s[14:15], s45, v62
	s_or_b64 s[20:21], s[20:21], s[22:23]
	s_and_b64 s[14:15], s[14:15], s[20:21]
	v_cndmask_b32_e64 v57, v61, v60, s[16:17]
	v_cndmask_b32_e64 v60, v64, v62, s[14:15]
	s_barrier
	ds_write_b8 v1, v48
	ds_write_b8 v1, v50 offset:1
	ds_write_b8 v1, v51 offset:2
	;; [unrolled: 1-line block ×3, first 2 shown]
	s_waitcnt lgkmcnt(0)
	s_barrier
	ds_read_u8 v48, v55
	ds_read_u8 v50, v63
	;; [unrolled: 1-line block ×4, first 2 shown]
	s_add_i32 s36, s36, 1
	v_cndmask_b32_e64 v52, v65, v67, s[14:15]
	v_cndmask_b32_e64 v54, v54, v56, s[16:17]
	s_cmp_eq_u32 s36, 10
	v_cndmask_b32_e64 v55, v58, v59, s[18:19]
	s_cbranch_scc1 .LBB67_130
.LBB67_2:                               ; =>This Loop Header: Depth=1
                                        ;     Child Loop BB67_4 Depth 2
                                        ;     Child Loop BB67_20 Depth 2
	;; [unrolled: 1-line block ×8, first 2 shown]
	v_perm_b32 v52, v55, v52, s37
	v_lshlrev_b32_e32 v52, 16, v52
	v_perm_b32 v55, v54, v53, s37
	v_perm_b32 v56, v53, v54, s37
	v_or_b32_e32 v55, v55, v52
	v_or_b32_e32 v52, v56, v52
	v_cmp_lt_i16_sdwa s[14:15], sext(v54), sext(v53) src0_sel:BYTE_0 src1_sel:BYTE_0
	v_cndmask_b32_e64 v52, v52, v55, s[14:15]
	v_lshrrev_b32_e32 v53, 16, v52
	v_perm_b32 v54, 0, v53, s40
	v_lshrrev_b32_e32 v55, 24, v52
	v_lshlrev_b32_e32 v54, 16, v54
	v_and_or_b32 v54, v52, s41, v54
	v_cmp_lt_i16_sdwa s[16:17], sext(v55), sext(v53) src0_sel:BYTE_0 src1_sel:BYTE_0
	v_cndmask_b32_e64 v52, v52, v54, s[16:17]
	v_min_i16_sdwa v53, sext(v55), sext(v53) dst_sel:DWORD dst_unused:UNUSED_PAD src0_sel:BYTE_0 src1_sel:BYTE_0
	v_and_b32_sdwa v54, v52, s42 dst_sel:DWORD dst_unused:UNUSED_PAD src0_sel:WORD_1 src1_sel:DWORD
	v_lshlrev_b16_e32 v56, 8, v53
	v_or_b32_sdwa v54, v52, v54 dst_sel:WORD_1 dst_unused:UNUSED_PAD src0_sel:BYTE_1 src1_sel:DWORD
	v_lshrrev_b32_e32 v55, 8, v52
	v_or_b32_sdwa v56, v52, v56 dst_sel:DWORD dst_unused:UNUSED_PAD src0_sel:BYTE_0 src1_sel:DWORD
	v_or_b32_sdwa v54, v56, v54 dst_sel:DWORD dst_unused:UNUSED_PAD src0_sel:WORD_0 src1_sel:DWORD
	v_cmp_lt_i16_sdwa s[18:19], v53, sext(v55) src0_sel:DWORD src1_sel:BYTE_0
	v_cndmask_b32_e64 v52, v52, v54, s[18:19]
	v_lshlrev_b16_e32 v54, 8, v52
	v_min_i16_sdwa v53, v53, sext(v55) dst_sel:DWORD dst_unused:UNUSED_PAD src0_sel:DWORD src1_sel:BYTE_0
	v_or_b32_sdwa v54, v53, v54 dst_sel:DWORD dst_unused:UNUSED_PAD src0_sel:BYTE_0 src1_sel:DWORD
	v_and_b32_e32 v54, 0xffff, v54
	v_and_or_b32 v54, v52, s43, v54
	v_cmp_lt_i16_sdwa s[20:21], v53, sext(v52) src0_sel:DWORD src1_sel:BYTE_0
	v_cndmask_b32_e64 v52, v52, v54, s[20:21]
	v_lshrrev_b32_e32 v53, 16, v52
	v_perm_b32 v54, 0, v53, s40
	v_lshrrev_b32_e32 v55, 24, v52
	v_lshlrev_b32_e32 v54, 16, v54
	v_and_or_b32 v54, v52, s41, v54
	v_cmp_lt_i16_sdwa s[22:23], sext(v55), sext(v53) src0_sel:BYTE_0 src1_sel:BYTE_0
	v_cndmask_b32_e64 v52, v52, v54, s[22:23]
	v_min_i16_sdwa v53, sext(v55), sext(v53) dst_sel:DWORD dst_unused:UNUSED_PAD src0_sel:BYTE_0 src1_sel:BYTE_0
	v_and_b32_sdwa v54, v52, s42 dst_sel:DWORD dst_unused:UNUSED_PAD src0_sel:WORD_1 src1_sel:DWORD
	v_lshlrev_b16_e32 v56, 8, v53
	v_or_b32_sdwa v54, v52, v54 dst_sel:WORD_1 dst_unused:UNUSED_PAD src0_sel:BYTE_1 src1_sel:DWORD
	v_lshrrev_b32_e32 v55, 8, v52
	v_or_b32_sdwa v56, v52, v56 dst_sel:DWORD dst_unused:UNUSED_PAD src0_sel:BYTE_0 src1_sel:DWORD
	v_or_b32_sdwa v54, v56, v54 dst_sel:DWORD dst_unused:UNUSED_PAD src0_sel:WORD_0 src1_sel:DWORD
	v_cmp_lt_i16_sdwa s[24:25], v53, sext(v55) src0_sel:DWORD src1_sel:BYTE_0
	v_cndmask_b32_e64 v52, v52, v54, s[24:25]
	v_mov_b32_e32 v53, v23
	s_waitcnt lgkmcnt(0)
	s_barrier
	ds_write_b32 v1, v52
	s_waitcnt lgkmcnt(0)
	s_barrier
	s_and_saveexec_b64 s[28:29], vcc
	s_cbranch_execz .LBB67_6
; %bb.3:                                ;   in Loop: Header=BB67_2 Depth=1
	s_mov_b64 s[30:31], 0
	v_mov_b32_e32 v53, v23
	v_mov_b32_e32 v52, v24
.LBB67_4:                               ;   Parent Loop BB67_2 Depth=1
                                        ; =>  This Inner Loop Header: Depth=2
	v_sub_u32_e32 v54, v52, v53
	v_lshrrev_b32_e32 v54, 1, v54
	v_add_u32_e32 v54, v54, v53
	v_add_u32_e32 v55, v2, v54
	v_xad_u32 v56, v54, -1, v25
	ds_read_i8 v55, v55
	ds_read_i8 v56, v56
	v_add_u32_e32 v57, 1, v54
	s_waitcnt lgkmcnt(0)
	v_cmp_lt_i16_e64 s[26:27], v56, v55
	v_cndmask_b32_e64 v52, v52, v54, s[26:27]
	v_cndmask_b32_e64 v53, v57, v53, s[26:27]
	v_cmp_ge_i32_e64 s[26:27], v53, v52
	s_or_b64 s[30:31], s[26:27], s[30:31]
	s_andn2_b64 exec, exec, s[30:31]
	s_cbranch_execnz .LBB67_4
; %bb.5:                                ;   in Loop: Header=BB67_2 Depth=1
	s_or_b64 exec, exec, s[30:31]
.LBB67_6:                               ;   in Loop: Header=BB67_2 Depth=1
	s_or_b64 exec, exec, s[28:29]
	v_add_u32_e32 v52, v53, v2
	v_sub_u32_e32 v53, v25, v53
	ds_read_u8 v54, v52
	ds_read_u8 v55, v53
	v_cmp_le_i32_e64 s[28:29], v3, v52
	v_cmp_gt_i32_e64 s[26:27], v4, v53
                                        ; implicit-def: $vgpr56
	s_waitcnt lgkmcnt(1)
	v_bfe_i32 v54, v54, 0, 8
	s_waitcnt lgkmcnt(0)
	v_bfe_i32 v55, v55, 0, 8
	v_cmp_lt_i16_e64 s[30:31], v55, v54
	s_or_b64 s[28:29], s[28:29], s[30:31]
	s_and_b64 s[26:27], s[26:27], s[28:29]
	s_xor_b64 s[28:29], s[26:27], -1
	s_and_saveexec_b64 s[30:31], s[28:29]
	s_xor_b64 s[28:29], exec, s[30:31]
; %bb.7:                                ;   in Loop: Header=BB67_2 Depth=1
	ds_read_u8 v56, v52 offset:1
; %bb.8:                                ;   in Loop: Header=BB67_2 Depth=1
	s_or_saveexec_b64 s[28:29], s[28:29]
	v_mov_b32_e32 v57, v55
	s_xor_b64 exec, exec, s[28:29]
	s_cbranch_execz .LBB67_10
; %bb.9:                                ;   in Loop: Header=BB67_2 Depth=1
	ds_read_u8 v57, v53 offset:1
	s_waitcnt lgkmcnt(1)
	v_mov_b32_e32 v56, v54
.LBB67_10:                              ;   in Loop: Header=BB67_2 Depth=1
	s_or_b64 exec, exec, s[28:29]
	v_add_u32_e32 v59, 1, v52
	v_add_u32_e32 v58, 1, v53
	v_cndmask_b32_e64 v59, v59, v52, s[26:27]
	v_cndmask_b32_e64 v58, v53, v58, s[26:27]
	v_cmp_ge_i32_e64 s[30:31], v59, v3
	s_waitcnt lgkmcnt(0)
	v_cmp_lt_i16_sdwa s[34:35], sext(v57), sext(v56) src0_sel:BYTE_0 src1_sel:BYTE_0
	v_cmp_lt_i32_e64 s[28:29], v58, v4
	s_or_b64 s[30:31], s[30:31], s[34:35]
	s_and_b64 s[28:29], s[28:29], s[30:31]
	s_xor_b64 s[30:31], s[28:29], -1
                                        ; implicit-def: $vgpr60
	s_and_saveexec_b64 s[34:35], s[30:31]
	s_xor_b64 s[30:31], exec, s[34:35]
; %bb.11:                               ;   in Loop: Header=BB67_2 Depth=1
	ds_read_u8 v60, v59 offset:1
; %bb.12:                               ;   in Loop: Header=BB67_2 Depth=1
	s_or_saveexec_b64 s[30:31], s[30:31]
	v_mov_b32_e32 v62, v57
	s_xor_b64 exec, exec, s[30:31]
	s_cbranch_execz .LBB67_14
; %bb.13:                               ;   in Loop: Header=BB67_2 Depth=1
	ds_read_u8 v62, v58 offset:1
	s_waitcnt lgkmcnt(1)
	v_mov_b32_e32 v60, v56
.LBB67_14:                              ;   in Loop: Header=BB67_2 Depth=1
	s_or_b64 exec, exec, s[30:31]
	v_add_u32_e32 v63, 1, v59
	v_add_u32_e32 v61, 1, v58
	v_cndmask_b32_e64 v65, v63, v59, s[28:29]
	v_cndmask_b32_e64 v64, v58, v61, s[28:29]
	v_cmp_ge_i32_e64 s[34:35], v65, v3
	s_waitcnt lgkmcnt(0)
	v_cmp_lt_i16_sdwa s[46:47], sext(v62), sext(v60) src0_sel:BYTE_0 src1_sel:BYTE_0
	v_cmp_lt_i32_e64 s[30:31], v64, v4
	s_or_b64 s[34:35], s[34:35], s[46:47]
	s_and_b64 s[30:31], s[30:31], s[34:35]
	s_xor_b64 s[34:35], s[30:31], -1
                                        ; implicit-def: $vgpr61
	s_and_saveexec_b64 s[46:47], s[34:35]
	s_xor_b64 s[34:35], exec, s[46:47]
; %bb.15:                               ;   in Loop: Header=BB67_2 Depth=1
	ds_read_u8 v61, v65 offset:1
; %bb.16:                               ;   in Loop: Header=BB67_2 Depth=1
	s_or_saveexec_b64 s[34:35], s[34:35]
	v_mov_b32_e32 v63, v62
	s_xor_b64 exec, exec, s[34:35]
	s_cbranch_execz .LBB67_18
; %bb.17:                               ;   in Loop: Header=BB67_2 Depth=1
	ds_read_u8 v63, v64 offset:1
	s_waitcnt lgkmcnt(1)
	v_mov_b32_e32 v61, v60
.LBB67_18:                              ;   in Loop: Header=BB67_2 Depth=1
	s_or_b64 exec, exec, s[34:35]
	v_perm_b32 v50, v50, v51, s37
	v_perm_b32 v51, v49, v48, s37
	v_perm_b32 v48, v48, v49, s37
	v_cndmask_b32_e64 v48, v48, v51, s[14:15]
	v_perm_b32 v49, 0, v50, s40
	v_lshl_or_b32 v48, v50, 16, v48
	v_lshlrev_b32_e32 v49, 16, v49
	v_and_or_b32 v49, v48, s41, v49
	v_cndmask_b32_e64 v48, v48, v49, s[16:17]
	v_perm_b32 v49, v48, v48, s44
	v_cndmask_b32_e64 v48, v48, v49, s[18:19]
	v_perm_b32 v49, 0, v48, s40
	v_and_or_b32 v49, v48, s43, v49
	v_cndmask_b32_e64 v48, v48, v49, s[20:21]
	v_lshrrev_b32_e32 v49, 16, v48
	v_add_u32_e32 v66, 1, v65
	v_perm_b32 v49, 0, v49, s40
	v_cndmask_b32_e64 v60, v60, v62, s[30:31]
	v_add_u32_e32 v62, 1, v64
	v_cndmask_b32_e64 v66, v66, v65, s[30:31]
	v_lshlrev_b32_e32 v49, 16, v49
	v_cndmask_b32_e64 v62, v64, v62, s[30:31]
	v_and_or_b32 v49, v48, s41, v49
	v_cmp_ge_i32_e64 s[16:17], v66, v3
	s_waitcnt lgkmcnt(0)
	v_cmp_lt_i16_sdwa s[18:19], sext(v63), sext(v61) src0_sel:BYTE_0 src1_sel:BYTE_0
	v_cndmask_b32_e64 v48, v48, v49, s[22:23]
	v_cmp_lt_i32_e64 s[14:15], v62, v4
	s_or_b64 s[16:17], s[16:17], s[18:19]
	v_perm_b32 v49, v48, v48, s44
	s_and_b64 s[14:15], s[14:15], s[16:17]
	v_cndmask_b32_e64 v52, v52, v53, s[26:27]
	v_cndmask_b32_e64 v48, v48, v49, s[24:25]
	;; [unrolled: 1-line block ×6, first 2 shown]
	s_barrier
	ds_write_b32 v1, v48
	s_waitcnt lgkmcnt(0)
	s_barrier
	ds_read_u8 v48, v52
	ds_read_u8 v49, v49
	;; [unrolled: 1-line block ×4, first 2 shown]
	v_cndmask_b32_e64 v54, v54, v55, s[26:27]
	v_cndmask_b32_e64 v53, v61, v63, s[14:15]
	s_waitcnt lgkmcnt(0)
	s_barrier
	ds_write_b8 v1, v54
	ds_write_b8 v1, v56 offset:1
	ds_write_b8 v1, v60 offset:2
	;; [unrolled: 1-line block ×3, first 2 shown]
	v_mov_b32_e32 v53, v26
	s_waitcnt lgkmcnt(0)
	s_barrier
	s_and_saveexec_b64 s[16:17], s[0:1]
	s_cbranch_execz .LBB67_22
; %bb.19:                               ;   in Loop: Header=BB67_2 Depth=1
	s_mov_b64 s[18:19], 0
	v_mov_b32_e32 v53, v26
	v_mov_b32_e32 v52, v27
.LBB67_20:                              ;   Parent Loop BB67_2 Depth=1
                                        ; =>  This Inner Loop Header: Depth=2
	v_sub_u32_e32 v54, v52, v53
	v_lshrrev_b32_e32 v54, 1, v54
	v_add_u32_e32 v54, v54, v53
	v_add_u32_e32 v55, v5, v54
	v_xad_u32 v56, v54, -1, v28
	ds_read_i8 v55, v55
	ds_read_i8 v56, v56
	v_add_u32_e32 v57, 1, v54
	s_waitcnt lgkmcnt(0)
	v_cmp_lt_i16_e64 s[14:15], v56, v55
	v_cndmask_b32_e64 v52, v52, v54, s[14:15]
	v_cndmask_b32_e64 v53, v57, v53, s[14:15]
	v_cmp_ge_i32_e64 s[14:15], v53, v52
	s_or_b64 s[18:19], s[14:15], s[18:19]
	s_andn2_b64 exec, exec, s[18:19]
	s_cbranch_execnz .LBB67_20
; %bb.21:                               ;   in Loop: Header=BB67_2 Depth=1
	s_or_b64 exec, exec, s[18:19]
.LBB67_22:                              ;   in Loop: Header=BB67_2 Depth=1
	s_or_b64 exec, exec, s[16:17]
	v_add_u32_e32 v52, v53, v5
	v_sub_u32_e32 v53, v28, v53
	ds_read_u8 v54, v52
	ds_read_u8 v55, v53
	v_cmp_le_i32_e64 s[16:17], v6, v52
	v_cmp_gt_i32_e64 s[14:15], v7, v53
                                        ; implicit-def: $vgpr56
	s_waitcnt lgkmcnt(1)
	v_bfe_i32 v54, v54, 0, 8
	s_waitcnt lgkmcnt(0)
	v_bfe_i32 v55, v55, 0, 8
	v_cmp_lt_i16_e64 s[18:19], v55, v54
	s_or_b64 s[16:17], s[16:17], s[18:19]
	s_and_b64 s[14:15], s[14:15], s[16:17]
	s_xor_b64 s[16:17], s[14:15], -1
	s_and_saveexec_b64 s[18:19], s[16:17]
	s_xor_b64 s[16:17], exec, s[18:19]
; %bb.23:                               ;   in Loop: Header=BB67_2 Depth=1
	ds_read_u8 v56, v52 offset:1
; %bb.24:                               ;   in Loop: Header=BB67_2 Depth=1
	s_or_saveexec_b64 s[16:17], s[16:17]
	v_mov_b32_e32 v57, v55
	s_xor_b64 exec, exec, s[16:17]
	s_cbranch_execz .LBB67_26
; %bb.25:                               ;   in Loop: Header=BB67_2 Depth=1
	ds_read_u8 v57, v53 offset:1
	s_waitcnt lgkmcnt(1)
	v_mov_b32_e32 v56, v54
.LBB67_26:                              ;   in Loop: Header=BB67_2 Depth=1
	s_or_b64 exec, exec, s[16:17]
	v_add_u32_e32 v59, 1, v52
	v_add_u32_e32 v58, 1, v53
	v_cndmask_b32_e64 v59, v59, v52, s[14:15]
	v_cndmask_b32_e64 v58, v53, v58, s[14:15]
	v_cmp_ge_i32_e64 s[18:19], v59, v6
	s_waitcnt lgkmcnt(0)
	v_cmp_lt_i16_sdwa s[20:21], sext(v57), sext(v56) src0_sel:BYTE_0 src1_sel:BYTE_0
	v_cmp_lt_i32_e64 s[16:17], v58, v7
	s_or_b64 s[18:19], s[18:19], s[20:21]
	s_and_b64 s[16:17], s[16:17], s[18:19]
	s_xor_b64 s[18:19], s[16:17], -1
                                        ; implicit-def: $vgpr60
	s_and_saveexec_b64 s[20:21], s[18:19]
	s_xor_b64 s[18:19], exec, s[20:21]
; %bb.27:                               ;   in Loop: Header=BB67_2 Depth=1
	ds_read_u8 v60, v59 offset:1
; %bb.28:                               ;   in Loop: Header=BB67_2 Depth=1
	s_or_saveexec_b64 s[18:19], s[18:19]
	v_mov_b32_e32 v61, v57
	s_xor_b64 exec, exec, s[18:19]
	s_cbranch_execz .LBB67_30
; %bb.29:                               ;   in Loop: Header=BB67_2 Depth=1
	ds_read_u8 v61, v58 offset:1
	s_waitcnt lgkmcnt(1)
	v_mov_b32_e32 v60, v56
.LBB67_30:                              ;   in Loop: Header=BB67_2 Depth=1
	s_or_b64 exec, exec, s[18:19]
	v_add_u32_e32 v63, 1, v59
	v_add_u32_e32 v62, 1, v58
	v_cndmask_b32_e64 v63, v63, v59, s[16:17]
	v_cndmask_b32_e64 v62, v58, v62, s[16:17]
	v_cmp_ge_i32_e64 s[20:21], v63, v6
	s_waitcnt lgkmcnt(0)
	v_cmp_lt_i16_sdwa s[22:23], sext(v61), sext(v60) src0_sel:BYTE_0 src1_sel:BYTE_0
	v_cmp_lt_i32_e64 s[18:19], v62, v7
	s_or_b64 s[20:21], s[20:21], s[22:23]
	s_and_b64 s[18:19], s[18:19], s[20:21]
	s_xor_b64 s[20:21], s[18:19], -1
                                        ; implicit-def: $vgpr64
	s_and_saveexec_b64 s[22:23], s[20:21]
	s_xor_b64 s[20:21], exec, s[22:23]
; %bb.31:                               ;   in Loop: Header=BB67_2 Depth=1
	ds_read_u8 v64, v63 offset:1
; %bb.32:                               ;   in Loop: Header=BB67_2 Depth=1
	s_or_saveexec_b64 s[20:21], s[20:21]
	v_mov_b32_e32 v65, v61
	s_xor_b64 exec, exec, s[20:21]
	s_cbranch_execz .LBB67_34
; %bb.33:                               ;   in Loop: Header=BB67_2 Depth=1
	ds_read_u8 v65, v62 offset:1
	s_waitcnt lgkmcnt(1)
	v_mov_b32_e32 v64, v60
.LBB67_34:                              ;   in Loop: Header=BB67_2 Depth=1
	s_or_b64 exec, exec, s[20:21]
	v_add_u32_e32 v66, 1, v63
	v_cndmask_b32_e64 v60, v60, v61, s[18:19]
	v_add_u32_e32 v61, 1, v62
	v_cndmask_b32_e64 v66, v66, v63, s[18:19]
	v_cndmask_b32_e64 v61, v62, v61, s[18:19]
	;; [unrolled: 1-line block ×5, first 2 shown]
	v_cmp_ge_i32_e64 s[16:17], v66, v6
	s_waitcnt lgkmcnt(0)
	v_cmp_lt_i16_sdwa s[18:19], sext(v65), sext(v64) src0_sel:BYTE_0 src1_sel:BYTE_0
	v_cndmask_b32_e64 v54, v54, v55, s[14:15]
	v_cndmask_b32_e64 v52, v52, v53, s[14:15]
	v_cmp_lt_i32_e64 s[14:15], v61, v7
	s_or_b64 s[16:17], s[16:17], s[18:19]
	s_and_b64 s[14:15], s[14:15], s[16:17]
	v_cndmask_b32_e64 v55, v66, v61, s[14:15]
	s_barrier
	ds_write_b8 v1, v48
	ds_write_b8 v1, v50 offset:1
	ds_write_b8 v1, v51 offset:2
	;; [unrolled: 1-line block ×3, first 2 shown]
	s_waitcnt lgkmcnt(0)
	s_barrier
	ds_read_u8 v48, v52
	ds_read_u8 v49, v55
	;; [unrolled: 1-line block ×4, first 2 shown]
	v_cndmask_b32_e64 v53, v64, v65, s[14:15]
	s_waitcnt lgkmcnt(0)
	s_barrier
	ds_write_b8 v1, v54
	ds_write_b8 v1, v56 offset:1
	ds_write_b8 v1, v60 offset:2
	;; [unrolled: 1-line block ×3, first 2 shown]
	v_mov_b32_e32 v53, v29
	s_waitcnt lgkmcnt(0)
	s_barrier
	s_and_saveexec_b64 s[16:17], s[2:3]
	s_cbranch_execz .LBB67_38
; %bb.35:                               ;   in Loop: Header=BB67_2 Depth=1
	s_mov_b64 s[18:19], 0
	v_mov_b32_e32 v53, v29
	v_mov_b32_e32 v52, v30
.LBB67_36:                              ;   Parent Loop BB67_2 Depth=1
                                        ; =>  This Inner Loop Header: Depth=2
	v_sub_u32_e32 v54, v52, v53
	v_lshrrev_b32_e32 v54, 1, v54
	v_add_u32_e32 v54, v54, v53
	v_add_u32_e32 v55, v8, v54
	v_xad_u32 v56, v54, -1, v31
	ds_read_i8 v55, v55
	ds_read_i8 v56, v56
	v_add_u32_e32 v57, 1, v54
	s_waitcnt lgkmcnt(0)
	v_cmp_lt_i16_e64 s[14:15], v56, v55
	v_cndmask_b32_e64 v52, v52, v54, s[14:15]
	v_cndmask_b32_e64 v53, v57, v53, s[14:15]
	v_cmp_ge_i32_e64 s[14:15], v53, v52
	s_or_b64 s[18:19], s[14:15], s[18:19]
	s_andn2_b64 exec, exec, s[18:19]
	s_cbranch_execnz .LBB67_36
; %bb.37:                               ;   in Loop: Header=BB67_2 Depth=1
	s_or_b64 exec, exec, s[18:19]
.LBB67_38:                              ;   in Loop: Header=BB67_2 Depth=1
	s_or_b64 exec, exec, s[16:17]
	v_add_u32_e32 v52, v53, v8
	v_sub_u32_e32 v53, v31, v53
	ds_read_u8 v54, v52
	ds_read_u8 v55, v53
	v_cmp_le_i32_e64 s[16:17], v9, v52
	v_cmp_gt_i32_e64 s[14:15], v10, v53
                                        ; implicit-def: $vgpr56
	s_waitcnt lgkmcnt(1)
	v_bfe_i32 v54, v54, 0, 8
	s_waitcnt lgkmcnt(0)
	v_bfe_i32 v55, v55, 0, 8
	v_cmp_lt_i16_e64 s[18:19], v55, v54
	s_or_b64 s[16:17], s[16:17], s[18:19]
	s_and_b64 s[14:15], s[14:15], s[16:17]
	s_xor_b64 s[16:17], s[14:15], -1
	s_and_saveexec_b64 s[18:19], s[16:17]
	s_xor_b64 s[16:17], exec, s[18:19]
; %bb.39:                               ;   in Loop: Header=BB67_2 Depth=1
	ds_read_u8 v56, v52 offset:1
; %bb.40:                               ;   in Loop: Header=BB67_2 Depth=1
	s_or_saveexec_b64 s[16:17], s[16:17]
	v_mov_b32_e32 v57, v55
	s_xor_b64 exec, exec, s[16:17]
	s_cbranch_execz .LBB67_42
; %bb.41:                               ;   in Loop: Header=BB67_2 Depth=1
	ds_read_u8 v57, v53 offset:1
	s_waitcnt lgkmcnt(1)
	v_mov_b32_e32 v56, v54
.LBB67_42:                              ;   in Loop: Header=BB67_2 Depth=1
	s_or_b64 exec, exec, s[16:17]
	v_add_u32_e32 v59, 1, v52
	v_add_u32_e32 v58, 1, v53
	v_cndmask_b32_e64 v59, v59, v52, s[14:15]
	v_cndmask_b32_e64 v58, v53, v58, s[14:15]
	v_cmp_ge_i32_e64 s[18:19], v59, v9
	s_waitcnt lgkmcnt(0)
	v_cmp_lt_i16_sdwa s[20:21], sext(v57), sext(v56) src0_sel:BYTE_0 src1_sel:BYTE_0
	v_cmp_lt_i32_e64 s[16:17], v58, v10
	s_or_b64 s[18:19], s[18:19], s[20:21]
	s_and_b64 s[16:17], s[16:17], s[18:19]
	s_xor_b64 s[18:19], s[16:17], -1
                                        ; implicit-def: $vgpr60
	s_and_saveexec_b64 s[20:21], s[18:19]
	s_xor_b64 s[18:19], exec, s[20:21]
; %bb.43:                               ;   in Loop: Header=BB67_2 Depth=1
	ds_read_u8 v60, v59 offset:1
; %bb.44:                               ;   in Loop: Header=BB67_2 Depth=1
	s_or_saveexec_b64 s[18:19], s[18:19]
	v_mov_b32_e32 v61, v57
	s_xor_b64 exec, exec, s[18:19]
	s_cbranch_execz .LBB67_46
; %bb.45:                               ;   in Loop: Header=BB67_2 Depth=1
	ds_read_u8 v61, v58 offset:1
	s_waitcnt lgkmcnt(1)
	v_mov_b32_e32 v60, v56
.LBB67_46:                              ;   in Loop: Header=BB67_2 Depth=1
	s_or_b64 exec, exec, s[18:19]
	v_add_u32_e32 v63, 1, v59
	v_add_u32_e32 v62, 1, v58
	v_cndmask_b32_e64 v63, v63, v59, s[16:17]
	v_cndmask_b32_e64 v62, v58, v62, s[16:17]
	v_cmp_ge_i32_e64 s[20:21], v63, v9
	s_waitcnt lgkmcnt(0)
	v_cmp_lt_i16_sdwa s[22:23], sext(v61), sext(v60) src0_sel:BYTE_0 src1_sel:BYTE_0
	v_cmp_lt_i32_e64 s[18:19], v62, v10
	s_or_b64 s[20:21], s[20:21], s[22:23]
	s_and_b64 s[18:19], s[18:19], s[20:21]
	s_xor_b64 s[20:21], s[18:19], -1
                                        ; implicit-def: $vgpr64
	s_and_saveexec_b64 s[22:23], s[20:21]
	s_xor_b64 s[20:21], exec, s[22:23]
; %bb.47:                               ;   in Loop: Header=BB67_2 Depth=1
	ds_read_u8 v64, v63 offset:1
; %bb.48:                               ;   in Loop: Header=BB67_2 Depth=1
	s_or_saveexec_b64 s[20:21], s[20:21]
	v_mov_b32_e32 v65, v61
	s_xor_b64 exec, exec, s[20:21]
	s_cbranch_execz .LBB67_50
; %bb.49:                               ;   in Loop: Header=BB67_2 Depth=1
	ds_read_u8 v65, v62 offset:1
	s_waitcnt lgkmcnt(1)
	v_mov_b32_e32 v64, v60
.LBB67_50:                              ;   in Loop: Header=BB67_2 Depth=1
	s_or_b64 exec, exec, s[20:21]
	v_add_u32_e32 v66, 1, v63
	v_cndmask_b32_e64 v60, v60, v61, s[18:19]
	v_add_u32_e32 v61, 1, v62
	v_cndmask_b32_e64 v66, v66, v63, s[18:19]
	v_cndmask_b32_e64 v61, v62, v61, s[18:19]
	;; [unrolled: 1-line block ×5, first 2 shown]
	v_cmp_ge_i32_e64 s[16:17], v66, v9
	s_waitcnt lgkmcnt(0)
	v_cmp_lt_i16_sdwa s[18:19], sext(v65), sext(v64) src0_sel:BYTE_0 src1_sel:BYTE_0
	v_cndmask_b32_e64 v54, v54, v55, s[14:15]
	v_cndmask_b32_e64 v52, v52, v53, s[14:15]
	v_cmp_lt_i32_e64 s[14:15], v61, v10
	s_or_b64 s[16:17], s[16:17], s[18:19]
	s_and_b64 s[14:15], s[14:15], s[16:17]
	v_cndmask_b32_e64 v55, v66, v61, s[14:15]
	s_barrier
	ds_write_b8 v1, v48
	ds_write_b8 v1, v50 offset:1
	ds_write_b8 v1, v51 offset:2
	;; [unrolled: 1-line block ×3, first 2 shown]
	s_waitcnt lgkmcnt(0)
	s_barrier
	ds_read_u8 v48, v52
	ds_read_u8 v49, v55
	ds_read_u8 v50, v57
	ds_read_u8 v51, v62
	v_cndmask_b32_e64 v53, v64, v65, s[14:15]
	s_waitcnt lgkmcnt(0)
	s_barrier
	ds_write_b8 v1, v54
	ds_write_b8 v1, v56 offset:1
	ds_write_b8 v1, v60 offset:2
	;; [unrolled: 1-line block ×3, first 2 shown]
	v_mov_b32_e32 v53, v32
	s_waitcnt lgkmcnt(0)
	s_barrier
	s_and_saveexec_b64 s[16:17], s[4:5]
	s_cbranch_execz .LBB67_54
; %bb.51:                               ;   in Loop: Header=BB67_2 Depth=1
	s_mov_b64 s[18:19], 0
	v_mov_b32_e32 v53, v32
	v_mov_b32_e32 v52, v33
.LBB67_52:                              ;   Parent Loop BB67_2 Depth=1
                                        ; =>  This Inner Loop Header: Depth=2
	v_sub_u32_e32 v54, v52, v53
	v_lshrrev_b32_e32 v54, 1, v54
	v_add_u32_e32 v54, v54, v53
	v_add_u32_e32 v55, v11, v54
	v_xad_u32 v56, v54, -1, v34
	ds_read_i8 v55, v55
	ds_read_i8 v56, v56
	v_add_u32_e32 v57, 1, v54
	s_waitcnt lgkmcnt(0)
	v_cmp_lt_i16_e64 s[14:15], v56, v55
	v_cndmask_b32_e64 v52, v52, v54, s[14:15]
	v_cndmask_b32_e64 v53, v57, v53, s[14:15]
	v_cmp_ge_i32_e64 s[14:15], v53, v52
	s_or_b64 s[18:19], s[14:15], s[18:19]
	s_andn2_b64 exec, exec, s[18:19]
	s_cbranch_execnz .LBB67_52
; %bb.53:                               ;   in Loop: Header=BB67_2 Depth=1
	s_or_b64 exec, exec, s[18:19]
.LBB67_54:                              ;   in Loop: Header=BB67_2 Depth=1
	s_or_b64 exec, exec, s[16:17]
	v_add_u32_e32 v52, v53, v11
	v_sub_u32_e32 v53, v34, v53
	ds_read_u8 v54, v52
	ds_read_u8 v55, v53
	v_cmp_le_i32_e64 s[16:17], v12, v52
	v_cmp_gt_i32_e64 s[14:15], v13, v53
                                        ; implicit-def: $vgpr56
	s_waitcnt lgkmcnt(1)
	v_bfe_i32 v54, v54, 0, 8
	s_waitcnt lgkmcnt(0)
	v_bfe_i32 v55, v55, 0, 8
	v_cmp_lt_i16_e64 s[18:19], v55, v54
	s_or_b64 s[16:17], s[16:17], s[18:19]
	s_and_b64 s[14:15], s[14:15], s[16:17]
	s_xor_b64 s[16:17], s[14:15], -1
	s_and_saveexec_b64 s[18:19], s[16:17]
	s_xor_b64 s[16:17], exec, s[18:19]
; %bb.55:                               ;   in Loop: Header=BB67_2 Depth=1
	ds_read_u8 v56, v52 offset:1
; %bb.56:                               ;   in Loop: Header=BB67_2 Depth=1
	s_or_saveexec_b64 s[16:17], s[16:17]
	v_mov_b32_e32 v57, v55
	s_xor_b64 exec, exec, s[16:17]
	s_cbranch_execz .LBB67_58
; %bb.57:                               ;   in Loop: Header=BB67_2 Depth=1
	ds_read_u8 v57, v53 offset:1
	s_waitcnt lgkmcnt(1)
	v_mov_b32_e32 v56, v54
.LBB67_58:                              ;   in Loop: Header=BB67_2 Depth=1
	s_or_b64 exec, exec, s[16:17]
	v_add_u32_e32 v59, 1, v52
	v_add_u32_e32 v58, 1, v53
	v_cndmask_b32_e64 v59, v59, v52, s[14:15]
	v_cndmask_b32_e64 v58, v53, v58, s[14:15]
	v_cmp_ge_i32_e64 s[18:19], v59, v12
	s_waitcnt lgkmcnt(0)
	v_cmp_lt_i16_sdwa s[20:21], sext(v57), sext(v56) src0_sel:BYTE_0 src1_sel:BYTE_0
	v_cmp_lt_i32_e64 s[16:17], v58, v13
	s_or_b64 s[18:19], s[18:19], s[20:21]
	s_and_b64 s[16:17], s[16:17], s[18:19]
	s_xor_b64 s[18:19], s[16:17], -1
                                        ; implicit-def: $vgpr60
	s_and_saveexec_b64 s[20:21], s[18:19]
	s_xor_b64 s[18:19], exec, s[20:21]
; %bb.59:                               ;   in Loop: Header=BB67_2 Depth=1
	ds_read_u8 v60, v59 offset:1
; %bb.60:                               ;   in Loop: Header=BB67_2 Depth=1
	s_or_saveexec_b64 s[18:19], s[18:19]
	v_mov_b32_e32 v61, v57
	s_xor_b64 exec, exec, s[18:19]
	s_cbranch_execz .LBB67_62
; %bb.61:                               ;   in Loop: Header=BB67_2 Depth=1
	ds_read_u8 v61, v58 offset:1
	s_waitcnt lgkmcnt(1)
	v_mov_b32_e32 v60, v56
.LBB67_62:                              ;   in Loop: Header=BB67_2 Depth=1
	s_or_b64 exec, exec, s[18:19]
	v_add_u32_e32 v63, 1, v59
	v_add_u32_e32 v62, 1, v58
	v_cndmask_b32_e64 v63, v63, v59, s[16:17]
	v_cndmask_b32_e64 v62, v58, v62, s[16:17]
	v_cmp_ge_i32_e64 s[20:21], v63, v12
	s_waitcnt lgkmcnt(0)
	v_cmp_lt_i16_sdwa s[22:23], sext(v61), sext(v60) src0_sel:BYTE_0 src1_sel:BYTE_0
	v_cmp_lt_i32_e64 s[18:19], v62, v13
	s_or_b64 s[20:21], s[20:21], s[22:23]
	s_and_b64 s[18:19], s[18:19], s[20:21]
	s_xor_b64 s[20:21], s[18:19], -1
                                        ; implicit-def: $vgpr64
	s_and_saveexec_b64 s[22:23], s[20:21]
	s_xor_b64 s[20:21], exec, s[22:23]
; %bb.63:                               ;   in Loop: Header=BB67_2 Depth=1
	ds_read_u8 v64, v63 offset:1
; %bb.64:                               ;   in Loop: Header=BB67_2 Depth=1
	s_or_saveexec_b64 s[20:21], s[20:21]
	v_mov_b32_e32 v65, v61
	s_xor_b64 exec, exec, s[20:21]
	s_cbranch_execz .LBB67_66
; %bb.65:                               ;   in Loop: Header=BB67_2 Depth=1
	ds_read_u8 v65, v62 offset:1
	s_waitcnt lgkmcnt(1)
	v_mov_b32_e32 v64, v60
.LBB67_66:                              ;   in Loop: Header=BB67_2 Depth=1
	s_or_b64 exec, exec, s[20:21]
	v_add_u32_e32 v66, 1, v63
	v_cndmask_b32_e64 v60, v60, v61, s[18:19]
	v_add_u32_e32 v61, 1, v62
	v_cndmask_b32_e64 v66, v66, v63, s[18:19]
	v_cndmask_b32_e64 v61, v62, v61, s[18:19]
	;; [unrolled: 1-line block ×5, first 2 shown]
	v_cmp_ge_i32_e64 s[16:17], v66, v12
	s_waitcnt lgkmcnt(0)
	v_cmp_lt_i16_sdwa s[18:19], sext(v65), sext(v64) src0_sel:BYTE_0 src1_sel:BYTE_0
	v_cndmask_b32_e64 v54, v54, v55, s[14:15]
	v_cndmask_b32_e64 v52, v52, v53, s[14:15]
	v_cmp_lt_i32_e64 s[14:15], v61, v13
	s_or_b64 s[16:17], s[16:17], s[18:19]
	s_and_b64 s[14:15], s[14:15], s[16:17]
	v_cndmask_b32_e64 v55, v66, v61, s[14:15]
	s_barrier
	ds_write_b8 v1, v48
	ds_write_b8 v1, v50 offset:1
	ds_write_b8 v1, v51 offset:2
	;; [unrolled: 1-line block ×3, first 2 shown]
	s_waitcnt lgkmcnt(0)
	s_barrier
	ds_read_u8 v48, v52
	ds_read_u8 v49, v55
	ds_read_u8 v50, v57
	ds_read_u8 v51, v62
	v_cndmask_b32_e64 v53, v64, v65, s[14:15]
	s_waitcnt lgkmcnt(0)
	s_barrier
	ds_write_b8 v1, v54
	ds_write_b8 v1, v56 offset:1
	ds_write_b8 v1, v60 offset:2
	;; [unrolled: 1-line block ×3, first 2 shown]
	v_mov_b32_e32 v53, v35
	s_waitcnt lgkmcnt(0)
	s_barrier
	s_and_saveexec_b64 s[16:17], s[6:7]
	s_cbranch_execz .LBB67_70
; %bb.67:                               ;   in Loop: Header=BB67_2 Depth=1
	s_mov_b64 s[18:19], 0
	v_mov_b32_e32 v53, v35
	v_mov_b32_e32 v52, v36
.LBB67_68:                              ;   Parent Loop BB67_2 Depth=1
                                        ; =>  This Inner Loop Header: Depth=2
	v_sub_u32_e32 v54, v52, v53
	v_lshrrev_b32_e32 v54, 1, v54
	v_add_u32_e32 v54, v54, v53
	v_add_u32_e32 v55, v14, v54
	v_xad_u32 v56, v54, -1, v37
	ds_read_i8 v55, v55
	ds_read_i8 v56, v56
	v_add_u32_e32 v57, 1, v54
	s_waitcnt lgkmcnt(0)
	v_cmp_lt_i16_e64 s[14:15], v56, v55
	v_cndmask_b32_e64 v52, v52, v54, s[14:15]
	v_cndmask_b32_e64 v53, v57, v53, s[14:15]
	v_cmp_ge_i32_e64 s[14:15], v53, v52
	s_or_b64 s[18:19], s[14:15], s[18:19]
	s_andn2_b64 exec, exec, s[18:19]
	s_cbranch_execnz .LBB67_68
; %bb.69:                               ;   in Loop: Header=BB67_2 Depth=1
	s_or_b64 exec, exec, s[18:19]
.LBB67_70:                              ;   in Loop: Header=BB67_2 Depth=1
	s_or_b64 exec, exec, s[16:17]
	v_add_u32_e32 v52, v53, v14
	v_sub_u32_e32 v53, v37, v53
	ds_read_u8 v54, v52
	ds_read_u8 v55, v53
	v_cmp_le_i32_e64 s[16:17], v15, v52
	v_cmp_gt_i32_e64 s[14:15], v16, v53
                                        ; implicit-def: $vgpr56
	s_waitcnt lgkmcnt(1)
	v_bfe_i32 v54, v54, 0, 8
	s_waitcnt lgkmcnt(0)
	v_bfe_i32 v55, v55, 0, 8
	v_cmp_lt_i16_e64 s[18:19], v55, v54
	s_or_b64 s[16:17], s[16:17], s[18:19]
	s_and_b64 s[14:15], s[14:15], s[16:17]
	s_xor_b64 s[16:17], s[14:15], -1
	s_and_saveexec_b64 s[18:19], s[16:17]
	s_xor_b64 s[16:17], exec, s[18:19]
; %bb.71:                               ;   in Loop: Header=BB67_2 Depth=1
	ds_read_u8 v56, v52 offset:1
; %bb.72:                               ;   in Loop: Header=BB67_2 Depth=1
	s_or_saveexec_b64 s[16:17], s[16:17]
	v_mov_b32_e32 v57, v55
	s_xor_b64 exec, exec, s[16:17]
	s_cbranch_execz .LBB67_74
; %bb.73:                               ;   in Loop: Header=BB67_2 Depth=1
	ds_read_u8 v57, v53 offset:1
	s_waitcnt lgkmcnt(1)
	v_mov_b32_e32 v56, v54
.LBB67_74:                              ;   in Loop: Header=BB67_2 Depth=1
	s_or_b64 exec, exec, s[16:17]
	v_add_u32_e32 v59, 1, v52
	v_add_u32_e32 v58, 1, v53
	v_cndmask_b32_e64 v59, v59, v52, s[14:15]
	v_cndmask_b32_e64 v58, v53, v58, s[14:15]
	v_cmp_ge_i32_e64 s[18:19], v59, v15
	s_waitcnt lgkmcnt(0)
	v_cmp_lt_i16_sdwa s[20:21], sext(v57), sext(v56) src0_sel:BYTE_0 src1_sel:BYTE_0
	v_cmp_lt_i32_e64 s[16:17], v58, v16
	s_or_b64 s[18:19], s[18:19], s[20:21]
	s_and_b64 s[16:17], s[16:17], s[18:19]
	s_xor_b64 s[18:19], s[16:17], -1
                                        ; implicit-def: $vgpr60
	s_and_saveexec_b64 s[20:21], s[18:19]
	s_xor_b64 s[18:19], exec, s[20:21]
; %bb.75:                               ;   in Loop: Header=BB67_2 Depth=1
	ds_read_u8 v60, v59 offset:1
; %bb.76:                               ;   in Loop: Header=BB67_2 Depth=1
	s_or_saveexec_b64 s[18:19], s[18:19]
	v_mov_b32_e32 v61, v57
	s_xor_b64 exec, exec, s[18:19]
	s_cbranch_execz .LBB67_78
; %bb.77:                               ;   in Loop: Header=BB67_2 Depth=1
	ds_read_u8 v61, v58 offset:1
	s_waitcnt lgkmcnt(1)
	v_mov_b32_e32 v60, v56
.LBB67_78:                              ;   in Loop: Header=BB67_2 Depth=1
	s_or_b64 exec, exec, s[18:19]
	v_add_u32_e32 v63, 1, v59
	v_add_u32_e32 v62, 1, v58
	v_cndmask_b32_e64 v63, v63, v59, s[16:17]
	v_cndmask_b32_e64 v62, v58, v62, s[16:17]
	v_cmp_ge_i32_e64 s[20:21], v63, v15
	s_waitcnt lgkmcnt(0)
	v_cmp_lt_i16_sdwa s[22:23], sext(v61), sext(v60) src0_sel:BYTE_0 src1_sel:BYTE_0
	v_cmp_lt_i32_e64 s[18:19], v62, v16
	s_or_b64 s[20:21], s[20:21], s[22:23]
	s_and_b64 s[18:19], s[18:19], s[20:21]
	s_xor_b64 s[20:21], s[18:19], -1
                                        ; implicit-def: $vgpr64
	s_and_saveexec_b64 s[22:23], s[20:21]
	s_xor_b64 s[20:21], exec, s[22:23]
; %bb.79:                               ;   in Loop: Header=BB67_2 Depth=1
	ds_read_u8 v64, v63 offset:1
; %bb.80:                               ;   in Loop: Header=BB67_2 Depth=1
	s_or_saveexec_b64 s[20:21], s[20:21]
	v_mov_b32_e32 v65, v61
	s_xor_b64 exec, exec, s[20:21]
	s_cbranch_execz .LBB67_82
; %bb.81:                               ;   in Loop: Header=BB67_2 Depth=1
	ds_read_u8 v65, v62 offset:1
	s_waitcnt lgkmcnt(1)
	v_mov_b32_e32 v64, v60
.LBB67_82:                              ;   in Loop: Header=BB67_2 Depth=1
	s_or_b64 exec, exec, s[20:21]
	v_add_u32_e32 v66, 1, v63
	v_cndmask_b32_e64 v60, v60, v61, s[18:19]
	v_add_u32_e32 v61, 1, v62
	v_cndmask_b32_e64 v66, v66, v63, s[18:19]
	v_cndmask_b32_e64 v61, v62, v61, s[18:19]
	;; [unrolled: 1-line block ×5, first 2 shown]
	v_cmp_ge_i32_e64 s[16:17], v66, v15
	s_waitcnt lgkmcnt(0)
	v_cmp_lt_i16_sdwa s[18:19], sext(v65), sext(v64) src0_sel:BYTE_0 src1_sel:BYTE_0
	v_cndmask_b32_e64 v54, v54, v55, s[14:15]
	v_cndmask_b32_e64 v52, v52, v53, s[14:15]
	v_cmp_lt_i32_e64 s[14:15], v61, v16
	s_or_b64 s[16:17], s[16:17], s[18:19]
	s_and_b64 s[14:15], s[14:15], s[16:17]
	v_cndmask_b32_e64 v55, v66, v61, s[14:15]
	s_barrier
	ds_write_b8 v1, v48
	ds_write_b8 v1, v50 offset:1
	ds_write_b8 v1, v51 offset:2
	;; [unrolled: 1-line block ×3, first 2 shown]
	s_waitcnt lgkmcnt(0)
	s_barrier
	ds_read_u8 v48, v52
	ds_read_u8 v49, v55
	ds_read_u8 v50, v57
	ds_read_u8 v51, v62
	v_cndmask_b32_e64 v53, v64, v65, s[14:15]
	s_waitcnt lgkmcnt(0)
	s_barrier
	ds_write_b8 v1, v54
	ds_write_b8 v1, v56 offset:1
	ds_write_b8 v1, v60 offset:2
	;; [unrolled: 1-line block ×3, first 2 shown]
	v_mov_b32_e32 v53, v38
	s_waitcnt lgkmcnt(0)
	s_barrier
	s_and_saveexec_b64 s[16:17], s[8:9]
	s_cbranch_execz .LBB67_86
; %bb.83:                               ;   in Loop: Header=BB67_2 Depth=1
	s_mov_b64 s[18:19], 0
	v_mov_b32_e32 v53, v38
	v_mov_b32_e32 v52, v39
.LBB67_84:                              ;   Parent Loop BB67_2 Depth=1
                                        ; =>  This Inner Loop Header: Depth=2
	v_sub_u32_e32 v54, v52, v53
	v_lshrrev_b32_e32 v54, 1, v54
	v_add_u32_e32 v54, v54, v53
	v_add_u32_e32 v55, v17, v54
	v_xad_u32 v56, v54, -1, v40
	ds_read_i8 v55, v55
	ds_read_i8 v56, v56
	v_add_u32_e32 v57, 1, v54
	s_waitcnt lgkmcnt(0)
	v_cmp_lt_i16_e64 s[14:15], v56, v55
	v_cndmask_b32_e64 v52, v52, v54, s[14:15]
	v_cndmask_b32_e64 v53, v57, v53, s[14:15]
	v_cmp_ge_i32_e64 s[14:15], v53, v52
	s_or_b64 s[18:19], s[14:15], s[18:19]
	s_andn2_b64 exec, exec, s[18:19]
	s_cbranch_execnz .LBB67_84
; %bb.85:                               ;   in Loop: Header=BB67_2 Depth=1
	s_or_b64 exec, exec, s[18:19]
.LBB67_86:                              ;   in Loop: Header=BB67_2 Depth=1
	s_or_b64 exec, exec, s[16:17]
	v_add_u32_e32 v52, v53, v17
	v_sub_u32_e32 v53, v40, v53
	ds_read_u8 v54, v52
	ds_read_u8 v55, v53
	v_cmp_le_i32_e64 s[16:17], v18, v52
	v_cmp_gt_i32_e64 s[14:15], v19, v53
                                        ; implicit-def: $vgpr56
	s_waitcnt lgkmcnt(1)
	v_bfe_i32 v54, v54, 0, 8
	s_waitcnt lgkmcnt(0)
	v_bfe_i32 v55, v55, 0, 8
	v_cmp_lt_i16_e64 s[18:19], v55, v54
	s_or_b64 s[16:17], s[16:17], s[18:19]
	s_and_b64 s[14:15], s[14:15], s[16:17]
	s_xor_b64 s[16:17], s[14:15], -1
	s_and_saveexec_b64 s[18:19], s[16:17]
	s_xor_b64 s[16:17], exec, s[18:19]
; %bb.87:                               ;   in Loop: Header=BB67_2 Depth=1
	ds_read_u8 v56, v52 offset:1
; %bb.88:                               ;   in Loop: Header=BB67_2 Depth=1
	s_or_saveexec_b64 s[16:17], s[16:17]
	v_mov_b32_e32 v57, v55
	s_xor_b64 exec, exec, s[16:17]
	s_cbranch_execz .LBB67_90
; %bb.89:                               ;   in Loop: Header=BB67_2 Depth=1
	ds_read_u8 v57, v53 offset:1
	s_waitcnt lgkmcnt(1)
	v_mov_b32_e32 v56, v54
.LBB67_90:                              ;   in Loop: Header=BB67_2 Depth=1
	s_or_b64 exec, exec, s[16:17]
	v_add_u32_e32 v59, 1, v52
	v_add_u32_e32 v58, 1, v53
	v_cndmask_b32_e64 v59, v59, v52, s[14:15]
	v_cndmask_b32_e64 v58, v53, v58, s[14:15]
	v_cmp_ge_i32_e64 s[18:19], v59, v18
	s_waitcnt lgkmcnt(0)
	v_cmp_lt_i16_sdwa s[20:21], sext(v57), sext(v56) src0_sel:BYTE_0 src1_sel:BYTE_0
	v_cmp_lt_i32_e64 s[16:17], v58, v19
	s_or_b64 s[18:19], s[18:19], s[20:21]
	s_and_b64 s[16:17], s[16:17], s[18:19]
	s_xor_b64 s[18:19], s[16:17], -1
                                        ; implicit-def: $vgpr60
	s_and_saveexec_b64 s[20:21], s[18:19]
	s_xor_b64 s[18:19], exec, s[20:21]
; %bb.91:                               ;   in Loop: Header=BB67_2 Depth=1
	ds_read_u8 v60, v59 offset:1
; %bb.92:                               ;   in Loop: Header=BB67_2 Depth=1
	s_or_saveexec_b64 s[18:19], s[18:19]
	v_mov_b32_e32 v61, v57
	s_xor_b64 exec, exec, s[18:19]
	s_cbranch_execz .LBB67_94
; %bb.93:                               ;   in Loop: Header=BB67_2 Depth=1
	ds_read_u8 v61, v58 offset:1
	s_waitcnt lgkmcnt(1)
	v_mov_b32_e32 v60, v56
.LBB67_94:                              ;   in Loop: Header=BB67_2 Depth=1
	s_or_b64 exec, exec, s[18:19]
	v_add_u32_e32 v63, 1, v59
	v_add_u32_e32 v62, 1, v58
	v_cndmask_b32_e64 v63, v63, v59, s[16:17]
	v_cndmask_b32_e64 v62, v58, v62, s[16:17]
	v_cmp_ge_i32_e64 s[20:21], v63, v18
	s_waitcnt lgkmcnt(0)
	v_cmp_lt_i16_sdwa s[22:23], sext(v61), sext(v60) src0_sel:BYTE_0 src1_sel:BYTE_0
	v_cmp_lt_i32_e64 s[18:19], v62, v19
	s_or_b64 s[20:21], s[20:21], s[22:23]
	s_and_b64 s[18:19], s[18:19], s[20:21]
	s_xor_b64 s[20:21], s[18:19], -1
                                        ; implicit-def: $vgpr64
	s_and_saveexec_b64 s[22:23], s[20:21]
	s_xor_b64 s[20:21], exec, s[22:23]
; %bb.95:                               ;   in Loop: Header=BB67_2 Depth=1
	ds_read_u8 v64, v63 offset:1
; %bb.96:                               ;   in Loop: Header=BB67_2 Depth=1
	s_or_saveexec_b64 s[20:21], s[20:21]
	v_mov_b32_e32 v65, v61
	s_xor_b64 exec, exec, s[20:21]
	s_cbranch_execz .LBB67_98
; %bb.97:                               ;   in Loop: Header=BB67_2 Depth=1
	ds_read_u8 v65, v62 offset:1
	s_waitcnt lgkmcnt(1)
	v_mov_b32_e32 v64, v60
.LBB67_98:                              ;   in Loop: Header=BB67_2 Depth=1
	s_or_b64 exec, exec, s[20:21]
	v_add_u32_e32 v66, 1, v63
	v_cndmask_b32_e64 v60, v60, v61, s[18:19]
	v_add_u32_e32 v61, 1, v62
	v_cndmask_b32_e64 v66, v66, v63, s[18:19]
	v_cndmask_b32_e64 v61, v62, v61, s[18:19]
	v_cndmask_b32_e64 v62, v63, v62, s[18:19]
	v_cndmask_b32_e64 v56, v56, v57, s[16:17]
	v_cndmask_b32_e64 v57, v59, v58, s[16:17]
	v_cmp_ge_i32_e64 s[16:17], v66, v18
	s_waitcnt lgkmcnt(0)
	v_cmp_lt_i16_sdwa s[18:19], sext(v65), sext(v64) src0_sel:BYTE_0 src1_sel:BYTE_0
	v_cndmask_b32_e64 v54, v54, v55, s[14:15]
	v_cndmask_b32_e64 v52, v52, v53, s[14:15]
	v_cmp_lt_i32_e64 s[14:15], v61, v19
	s_or_b64 s[16:17], s[16:17], s[18:19]
	s_and_b64 s[14:15], s[14:15], s[16:17]
	v_cndmask_b32_e64 v55, v66, v61, s[14:15]
	s_barrier
	ds_write_b8 v1, v48
	ds_write_b8 v1, v50 offset:1
	ds_write_b8 v1, v51 offset:2
	ds_write_b8 v1, v49 offset:3
	s_waitcnt lgkmcnt(0)
	s_barrier
	ds_read_u8 v48, v52
	ds_read_u8 v49, v55
	;; [unrolled: 1-line block ×4, first 2 shown]
	v_cndmask_b32_e64 v53, v64, v65, s[14:15]
	s_waitcnt lgkmcnt(0)
	s_barrier
	ds_write_b8 v1, v54
	ds_write_b8 v1, v56 offset:1
	ds_write_b8 v1, v60 offset:2
	;; [unrolled: 1-line block ×3, first 2 shown]
	v_mov_b32_e32 v53, v41
	s_waitcnt lgkmcnt(0)
	s_barrier
	s_and_saveexec_b64 s[16:17], s[10:11]
	s_cbranch_execz .LBB67_102
; %bb.99:                               ;   in Loop: Header=BB67_2 Depth=1
	s_mov_b64 s[18:19], 0
	v_mov_b32_e32 v53, v41
	v_mov_b32_e32 v52, v42
.LBB67_100:                             ;   Parent Loop BB67_2 Depth=1
                                        ; =>  This Inner Loop Header: Depth=2
	v_sub_u32_e32 v54, v52, v53
	v_lshrrev_b32_e32 v54, 1, v54
	v_add_u32_e32 v54, v54, v53
	v_add_u32_e32 v55, v20, v54
	v_xad_u32 v56, v54, -1, v43
	ds_read_i8 v55, v55
	ds_read_i8 v56, v56
	v_add_u32_e32 v57, 1, v54
	s_waitcnt lgkmcnt(0)
	v_cmp_lt_i16_e64 s[14:15], v56, v55
	v_cndmask_b32_e64 v52, v52, v54, s[14:15]
	v_cndmask_b32_e64 v53, v57, v53, s[14:15]
	v_cmp_ge_i32_e64 s[14:15], v53, v52
	s_or_b64 s[18:19], s[14:15], s[18:19]
	s_andn2_b64 exec, exec, s[18:19]
	s_cbranch_execnz .LBB67_100
; %bb.101:                              ;   in Loop: Header=BB67_2 Depth=1
	s_or_b64 exec, exec, s[18:19]
.LBB67_102:                             ;   in Loop: Header=BB67_2 Depth=1
	s_or_b64 exec, exec, s[16:17]
	v_add_u32_e32 v52, v53, v20
	v_sub_u32_e32 v53, v43, v53
	ds_read_u8 v54, v52
	ds_read_u8 v55, v53
	v_cmp_le_i32_e64 s[16:17], v21, v52
	v_cmp_gt_i32_e64 s[14:15], v22, v53
                                        ; implicit-def: $vgpr56
	s_waitcnt lgkmcnt(1)
	v_bfe_i32 v54, v54, 0, 8
	s_waitcnt lgkmcnt(0)
	v_bfe_i32 v55, v55, 0, 8
	v_cmp_lt_i16_e64 s[18:19], v55, v54
	s_or_b64 s[16:17], s[16:17], s[18:19]
	s_and_b64 s[14:15], s[14:15], s[16:17]
	s_xor_b64 s[16:17], s[14:15], -1
	s_and_saveexec_b64 s[18:19], s[16:17]
	s_xor_b64 s[16:17], exec, s[18:19]
; %bb.103:                              ;   in Loop: Header=BB67_2 Depth=1
	ds_read_u8 v56, v52 offset:1
; %bb.104:                              ;   in Loop: Header=BB67_2 Depth=1
	s_or_saveexec_b64 s[16:17], s[16:17]
	v_mov_b32_e32 v57, v55
	s_xor_b64 exec, exec, s[16:17]
	s_cbranch_execz .LBB67_106
; %bb.105:                              ;   in Loop: Header=BB67_2 Depth=1
	ds_read_u8 v57, v53 offset:1
	s_waitcnt lgkmcnt(1)
	v_mov_b32_e32 v56, v54
.LBB67_106:                             ;   in Loop: Header=BB67_2 Depth=1
	s_or_b64 exec, exec, s[16:17]
	v_add_u32_e32 v59, 1, v52
	v_add_u32_e32 v58, 1, v53
	v_cndmask_b32_e64 v59, v59, v52, s[14:15]
	v_cndmask_b32_e64 v58, v53, v58, s[14:15]
	v_cmp_ge_i32_e64 s[18:19], v59, v21
	s_waitcnt lgkmcnt(0)
	v_cmp_lt_i16_sdwa s[20:21], sext(v57), sext(v56) src0_sel:BYTE_0 src1_sel:BYTE_0
	v_cmp_lt_i32_e64 s[16:17], v58, v22
	s_or_b64 s[18:19], s[18:19], s[20:21]
	s_and_b64 s[16:17], s[16:17], s[18:19]
	s_xor_b64 s[18:19], s[16:17], -1
                                        ; implicit-def: $vgpr60
	s_and_saveexec_b64 s[20:21], s[18:19]
	s_xor_b64 s[18:19], exec, s[20:21]
; %bb.107:                              ;   in Loop: Header=BB67_2 Depth=1
	ds_read_u8 v60, v59 offset:1
; %bb.108:                              ;   in Loop: Header=BB67_2 Depth=1
	s_or_saveexec_b64 s[18:19], s[18:19]
	v_mov_b32_e32 v61, v57
	s_xor_b64 exec, exec, s[18:19]
	s_cbranch_execz .LBB67_110
; %bb.109:                              ;   in Loop: Header=BB67_2 Depth=1
	ds_read_u8 v61, v58 offset:1
	s_waitcnt lgkmcnt(1)
	v_mov_b32_e32 v60, v56
.LBB67_110:                             ;   in Loop: Header=BB67_2 Depth=1
	s_or_b64 exec, exec, s[18:19]
	v_add_u32_e32 v63, 1, v59
	v_add_u32_e32 v62, 1, v58
	v_cndmask_b32_e64 v63, v63, v59, s[16:17]
	v_cndmask_b32_e64 v62, v58, v62, s[16:17]
	v_cmp_ge_i32_e64 s[20:21], v63, v21
	s_waitcnt lgkmcnt(0)
	v_cmp_lt_i16_sdwa s[22:23], sext(v61), sext(v60) src0_sel:BYTE_0 src1_sel:BYTE_0
	v_cmp_lt_i32_e64 s[18:19], v62, v22
	s_or_b64 s[20:21], s[20:21], s[22:23]
	s_and_b64 s[18:19], s[18:19], s[20:21]
	s_xor_b64 s[20:21], s[18:19], -1
                                        ; implicit-def: $vgpr64
	s_and_saveexec_b64 s[22:23], s[20:21]
	s_xor_b64 s[20:21], exec, s[22:23]
; %bb.111:                              ;   in Loop: Header=BB67_2 Depth=1
	ds_read_u8 v64, v63 offset:1
; %bb.112:                              ;   in Loop: Header=BB67_2 Depth=1
	s_or_saveexec_b64 s[20:21], s[20:21]
	v_mov_b32_e32 v65, v61
	s_xor_b64 exec, exec, s[20:21]
	s_cbranch_execz .LBB67_114
; %bb.113:                              ;   in Loop: Header=BB67_2 Depth=1
	ds_read_u8 v65, v62 offset:1
	s_waitcnt lgkmcnt(1)
	v_mov_b32_e32 v64, v60
.LBB67_114:                             ;   in Loop: Header=BB67_2 Depth=1
	s_or_b64 exec, exec, s[20:21]
	v_add_u32_e32 v66, 1, v63
	v_cndmask_b32_e64 v60, v60, v61, s[18:19]
	v_add_u32_e32 v61, 1, v62
	v_cndmask_b32_e64 v66, v66, v63, s[18:19]
	v_cndmask_b32_e64 v61, v62, v61, s[18:19]
	;; [unrolled: 1-line block ×5, first 2 shown]
	v_cmp_ge_i32_e64 s[16:17], v66, v21
	s_waitcnt lgkmcnt(0)
	v_cmp_lt_i16_sdwa s[18:19], sext(v65), sext(v64) src0_sel:BYTE_0 src1_sel:BYTE_0
	v_cndmask_b32_e64 v54, v54, v55, s[14:15]
	v_cndmask_b32_e64 v52, v52, v53, s[14:15]
	v_cmp_lt_i32_e64 s[14:15], v61, v22
	s_or_b64 s[16:17], s[16:17], s[18:19]
	s_and_b64 s[14:15], s[14:15], s[16:17]
	v_cndmask_b32_e64 v55, v66, v61, s[14:15]
	s_barrier
	ds_write_b8 v1, v48
	ds_write_b8 v1, v50 offset:1
	ds_write_b8 v1, v51 offset:2
	;; [unrolled: 1-line block ×3, first 2 shown]
	s_waitcnt lgkmcnt(0)
	s_barrier
	ds_read_u8 v48, v52
	ds_read_u8 v49, v55
	;; [unrolled: 1-line block ×4, first 2 shown]
	v_mov_b32_e32 v52, v45
	v_cndmask_b32_e64 v53, v64, v65, s[14:15]
	s_waitcnt lgkmcnt(0)
	s_barrier
	ds_write_b8 v1, v54
	ds_write_b8 v1, v56 offset:1
	ds_write_b8 v1, v60 offset:2
	;; [unrolled: 1-line block ×3, first 2 shown]
	s_waitcnt lgkmcnt(0)
	s_barrier
	s_and_saveexec_b64 s[16:17], s[12:13]
	s_cbranch_execz .LBB67_118
; %bb.115:                              ;   in Loop: Header=BB67_2 Depth=1
	s_mov_b64 s[18:19], 0
	v_mov_b32_e32 v52, v45
	v_mov_b32_e32 v53, v46
.LBB67_116:                             ;   Parent Loop BB67_2 Depth=1
                                        ; =>  This Inner Loop Header: Depth=2
	v_sub_u32_e32 v54, v53, v52
	v_lshrrev_b32_e32 v54, 1, v54
	v_add_u32_e32 v54, v54, v52
	v_xad_u32 v55, v54, -1, v47
	ds_read_i8 v56, v54
	ds_read_i8 v55, v55
	v_add_u32_e32 v57, 1, v54
	s_waitcnt lgkmcnt(0)
	v_cmp_lt_i16_e64 s[14:15], v55, v56
	v_cndmask_b32_e64 v53, v53, v54, s[14:15]
	v_cndmask_b32_e64 v52, v57, v52, s[14:15]
	v_cmp_ge_i32_e64 s[14:15], v52, v53
	s_or_b64 s[18:19], s[14:15], s[18:19]
	s_andn2_b64 exec, exec, s[18:19]
	s_cbranch_execnz .LBB67_116
; %bb.117:                              ;   in Loop: Header=BB67_2 Depth=1
	s_or_b64 exec, exec, s[18:19]
.LBB67_118:                             ;   in Loop: Header=BB67_2 Depth=1
	s_or_b64 exec, exec, s[16:17]
	v_sub_u32_e32 v55, v47, v52
	ds_read_u8 v53, v52
	ds_read_u8 v54, v55
	v_cmp_le_i32_e64 s[16:17], v44, v52
	v_cmp_gt_i32_e64 s[14:15], s45, v55
	s_waitcnt lgkmcnt(1)
	v_bfe_i32 v53, v53, 0, 8
	s_waitcnt lgkmcnt(0)
	v_bfe_i32 v57, v54, 0, 8
	v_cmp_lt_i16_e64 s[18:19], v57, v53
	s_or_b64 s[16:17], s[16:17], s[18:19]
	s_and_b64 s[14:15], s[14:15], s[16:17]
	s_xor_b64 s[16:17], s[14:15], -1
                                        ; implicit-def: $vgpr54
	s_and_saveexec_b64 s[18:19], s[16:17]
	s_xor_b64 s[16:17], exec, s[18:19]
; %bb.119:                              ;   in Loop: Header=BB67_2 Depth=1
	ds_read_u8 v54, v52 offset:1
; %bb.120:                              ;   in Loop: Header=BB67_2 Depth=1
	s_or_saveexec_b64 s[16:17], s[16:17]
	v_mov_b32_e32 v56, v57
	s_xor_b64 exec, exec, s[16:17]
	s_cbranch_execz .LBB67_122
; %bb.121:                              ;   in Loop: Header=BB67_2 Depth=1
	ds_read_u8 v56, v55 offset:1
	s_waitcnt lgkmcnt(1)
	v_mov_b32_e32 v54, v53
.LBB67_122:                             ;   in Loop: Header=BB67_2 Depth=1
	s_or_b64 exec, exec, s[16:17]
	v_add_u32_e32 v59, 1, v52
	v_add_u32_e32 v58, 1, v55
	v_cndmask_b32_e64 v61, v59, v52, s[14:15]
	v_cndmask_b32_e64 v60, v55, v58, s[14:15]
	v_cmp_ge_i32_e64 s[18:19], v61, v44
	s_waitcnt lgkmcnt(0)
	v_cmp_lt_i16_sdwa s[20:21], sext(v56), sext(v54) src0_sel:BYTE_0 src1_sel:BYTE_0
	v_cmp_gt_i32_e64 s[16:17], s45, v60
	s_or_b64 s[18:19], s[18:19], s[20:21]
	s_and_b64 s[16:17], s[16:17], s[18:19]
	s_xor_b64 s[18:19], s[16:17], -1
                                        ; implicit-def: $vgpr58
	s_and_saveexec_b64 s[20:21], s[18:19]
	s_xor_b64 s[18:19], exec, s[20:21]
; %bb.123:                              ;   in Loop: Header=BB67_2 Depth=1
	ds_read_u8 v58, v61 offset:1
; %bb.124:                              ;   in Loop: Header=BB67_2 Depth=1
	s_or_saveexec_b64 s[18:19], s[18:19]
	v_mov_b32_e32 v59, v56
	s_xor_b64 exec, exec, s[18:19]
	s_cbranch_execz .LBB67_126
; %bb.125:                              ;   in Loop: Header=BB67_2 Depth=1
	ds_read_u8 v59, v60 offset:1
	s_waitcnt lgkmcnt(1)
	v_mov_b32_e32 v58, v54
.LBB67_126:                             ;   in Loop: Header=BB67_2 Depth=1
	s_or_b64 exec, exec, s[18:19]
	v_add_u32_e32 v63, 1, v61
	v_add_u32_e32 v62, 1, v60
	v_cndmask_b32_e64 v66, v63, v61, s[16:17]
	v_cndmask_b32_e64 v62, v60, v62, s[16:17]
	v_cmp_ge_i32_e64 s[20:21], v66, v44
	s_waitcnt lgkmcnt(0)
	v_cmp_lt_i16_sdwa s[22:23], sext(v59), sext(v58) src0_sel:BYTE_0 src1_sel:BYTE_0
	v_cmp_gt_i32_e64 s[18:19], s45, v62
	s_or_b64 s[20:21], s[20:21], s[22:23]
	s_and_b64 s[18:19], s[18:19], s[20:21]
	s_xor_b64 s[20:21], s[18:19], -1
                                        ; implicit-def: $vgpr65
                                        ; implicit-def: $vgpr64
	s_and_saveexec_b64 s[22:23], s[20:21]
	s_xor_b64 s[20:21], exec, s[22:23]
; %bb.127:                              ;   in Loop: Header=BB67_2 Depth=1
	ds_read_u8 v65, v66 offset:1
	v_add_u32_e32 v64, 1, v66
; %bb.128:                              ;   in Loop: Header=BB67_2 Depth=1
	s_or_saveexec_b64 s[20:21], s[20:21]
	v_mov_b32_e32 v63, v66
	v_mov_b32_e32 v67, v59
	s_xor_b64 exec, exec, s[20:21]
	s_cbranch_execz .LBB67_1
; %bb.129:                              ;   in Loop: Header=BB67_2 Depth=1
	ds_read_u8 v67, v62 offset:1
	s_waitcnt lgkmcnt(1)
	v_add_u32_e32 v65, 1, v62
	v_mov_b32_e32 v63, v62
	v_mov_b32_e32 v64, v66
	;; [unrolled: 1-line block ×4, first 2 shown]
	s_branch .LBB67_1
.LBB67_130:
	s_add_u32 s0, s38, s33
	s_addc_u32 s1, s39, 0
	v_mov_b32_e32 v1, s1
	v_add_co_u32_e32 v0, vcc, s0, v0
	s_waitcnt lgkmcnt(3)
	v_add_u16_e32 v2, v53, v48
	v_addc_co_u32_e32 v1, vcc, 0, v1, vcc
	s_waitcnt lgkmcnt(0)
	v_add_u16_e32 v3, v54, v49
	v_add_u16_e32 v4, v55, v50
	;; [unrolled: 1-line block ×3, first 2 shown]
	global_store_byte v[0:1], v2, off
	global_store_byte v[0:1], v3, off offset:256
	global_store_byte v[0:1], v4, off offset:512
	;; [unrolled: 1-line block ×3, first 2 shown]
	s_endpgm
	.section	.rodata,"a",@progbits
	.p2align	6, 0x0
	.amdhsa_kernel _Z17sort_pairs_kernelIaLj256ELj4EN10test_utils4lessELj10EEvPKT_PS2_T2_
		.amdhsa_group_segment_fixed_size 1025
		.amdhsa_private_segment_fixed_size 0
		.amdhsa_kernarg_size 20
		.amdhsa_user_sgpr_count 6
		.amdhsa_user_sgpr_private_segment_buffer 1
		.amdhsa_user_sgpr_dispatch_ptr 0
		.amdhsa_user_sgpr_queue_ptr 0
		.amdhsa_user_sgpr_kernarg_segment_ptr 1
		.amdhsa_user_sgpr_dispatch_id 0
		.amdhsa_user_sgpr_flat_scratch_init 0
		.amdhsa_user_sgpr_private_segment_size 0
		.amdhsa_uses_dynamic_stack 0
		.amdhsa_system_sgpr_private_segment_wavefront_offset 0
		.amdhsa_system_sgpr_workgroup_id_x 1
		.amdhsa_system_sgpr_workgroup_id_y 0
		.amdhsa_system_sgpr_workgroup_id_z 0
		.amdhsa_system_sgpr_workgroup_info 0
		.amdhsa_system_vgpr_workitem_id 0
		.amdhsa_next_free_vgpr 68
		.amdhsa_next_free_sgpr 48
		.amdhsa_reserve_vcc 1
		.amdhsa_reserve_flat_scratch 0
		.amdhsa_float_round_mode_32 0
		.amdhsa_float_round_mode_16_64 0
		.amdhsa_float_denorm_mode_32 3
		.amdhsa_float_denorm_mode_16_64 3
		.amdhsa_dx10_clamp 1
		.amdhsa_ieee_mode 1
		.amdhsa_fp16_overflow 0
		.amdhsa_exception_fp_ieee_invalid_op 0
		.amdhsa_exception_fp_denorm_src 0
		.amdhsa_exception_fp_ieee_div_zero 0
		.amdhsa_exception_fp_ieee_overflow 0
		.amdhsa_exception_fp_ieee_underflow 0
		.amdhsa_exception_fp_ieee_inexact 0
		.amdhsa_exception_int_div_zero 0
	.end_amdhsa_kernel
	.section	.text._Z17sort_pairs_kernelIaLj256ELj4EN10test_utils4lessELj10EEvPKT_PS2_T2_,"axG",@progbits,_Z17sort_pairs_kernelIaLj256ELj4EN10test_utils4lessELj10EEvPKT_PS2_T2_,comdat
.Lfunc_end67:
	.size	_Z17sort_pairs_kernelIaLj256ELj4EN10test_utils4lessELj10EEvPKT_PS2_T2_, .Lfunc_end67-_Z17sort_pairs_kernelIaLj256ELj4EN10test_utils4lessELj10EEvPKT_PS2_T2_
                                        ; -- End function
	.set _Z17sort_pairs_kernelIaLj256ELj4EN10test_utils4lessELj10EEvPKT_PS2_T2_.num_vgpr, 68
	.set _Z17sort_pairs_kernelIaLj256ELj4EN10test_utils4lessELj10EEvPKT_PS2_T2_.num_agpr, 0
	.set _Z17sort_pairs_kernelIaLj256ELj4EN10test_utils4lessELj10EEvPKT_PS2_T2_.numbered_sgpr, 48
	.set _Z17sort_pairs_kernelIaLj256ELj4EN10test_utils4lessELj10EEvPKT_PS2_T2_.num_named_barrier, 0
	.set _Z17sort_pairs_kernelIaLj256ELj4EN10test_utils4lessELj10EEvPKT_PS2_T2_.private_seg_size, 0
	.set _Z17sort_pairs_kernelIaLj256ELj4EN10test_utils4lessELj10EEvPKT_PS2_T2_.uses_vcc, 1
	.set _Z17sort_pairs_kernelIaLj256ELj4EN10test_utils4lessELj10EEvPKT_PS2_T2_.uses_flat_scratch, 0
	.set _Z17sort_pairs_kernelIaLj256ELj4EN10test_utils4lessELj10EEvPKT_PS2_T2_.has_dyn_sized_stack, 0
	.set _Z17sort_pairs_kernelIaLj256ELj4EN10test_utils4lessELj10EEvPKT_PS2_T2_.has_recursion, 0
	.set _Z17sort_pairs_kernelIaLj256ELj4EN10test_utils4lessELj10EEvPKT_PS2_T2_.has_indirect_call, 0
	.section	.AMDGPU.csdata,"",@progbits
; Kernel info:
; codeLenInByte = 7084
; TotalNumSgprs: 52
; NumVgprs: 68
; ScratchSize: 0
; MemoryBound: 0
; FloatMode: 240
; IeeeMode: 1
; LDSByteSize: 1025 bytes/workgroup (compile time only)
; SGPRBlocks: 6
; VGPRBlocks: 16
; NumSGPRsForWavesPerEU: 52
; NumVGPRsForWavesPerEU: 68
; Occupancy: 3
; WaveLimiterHint : 1
; COMPUTE_PGM_RSRC2:SCRATCH_EN: 0
; COMPUTE_PGM_RSRC2:USER_SGPR: 6
; COMPUTE_PGM_RSRC2:TRAP_HANDLER: 0
; COMPUTE_PGM_RSRC2:TGID_X_EN: 1
; COMPUTE_PGM_RSRC2:TGID_Y_EN: 0
; COMPUTE_PGM_RSRC2:TGID_Z_EN: 0
; COMPUTE_PGM_RSRC2:TIDIG_COMP_CNT: 0
	.section	.text._Z16sort_keys_kernelIaLj256ELj8EN10test_utils4lessELj10EEvPKT_PS2_T2_,"axG",@progbits,_Z16sort_keys_kernelIaLj256ELj8EN10test_utils4lessELj10EEvPKT_PS2_T2_,comdat
	.protected	_Z16sort_keys_kernelIaLj256ELj8EN10test_utils4lessELj10EEvPKT_PS2_T2_ ; -- Begin function _Z16sort_keys_kernelIaLj256ELj8EN10test_utils4lessELj10EEvPKT_PS2_T2_
	.globl	_Z16sort_keys_kernelIaLj256ELj8EN10test_utils4lessELj10EEvPKT_PS2_T2_
	.p2align	8
	.type	_Z16sort_keys_kernelIaLj256ELj8EN10test_utils4lessELj10EEvPKT_PS2_T2_,@function
_Z16sort_keys_kernelIaLj256ELj8EN10test_utils4lessELj10EEvPKT_PS2_T2_: ; @_Z16sort_keys_kernelIaLj256ELj8EN10test_utils4lessELj10EEvPKT_PS2_T2_
; %bb.0:
	s_load_dwordx4 s[28:31], s[4:5], 0x0
	s_lshl_b32 s33, s6, 11
	v_lshlrev_b32_e32 v1, 3, v0
	v_and_b32_e32 v2, 0x7f0, v1
	v_and_b32_e32 v3, 0x7e0, v1
	s_waitcnt lgkmcnt(0)
	s_add_u32 s0, s28, s33
	s_addc_u32 s1, s29, 0
	global_load_ubyte v35, v0, s[0:1] offset:256
	global_load_ubyte v36, v0, s[0:1] offset:512
	global_load_ubyte v37, v0, s[0:1] offset:1792
	global_load_ubyte v38, v0, s[0:1] offset:1280
	global_load_ubyte v39, v0, s[0:1] offset:768
	global_load_ubyte v40, v0, s[0:1]
	global_load_ubyte v41, v0, s[0:1] offset:1024
	global_load_ubyte v42, v0, s[0:1] offset:1536
	v_or_b32_e32 v9, 8, v2
	v_add_u32_e32 v10, 16, v2
	v_and_b32_e32 v31, 8, v1
	v_and_b32_e32 v4, 0x7c0, v1
	v_or_b32_e32 v11, 16, v3
	v_add_u32_e32 v12, 32, v3
	v_sub_u32_e32 v46, v10, v9
	v_and_b32_e32 v32, 24, v1
	v_and_b32_e32 v5, 0x780, v1
	v_or_b32_e32 v13, 32, v4
	v_add_u32_e32 v14, 64, v4
	v_sub_u32_e32 v47, v12, v11
	v_sub_u32_e32 v27, v9, v2
	;; [unrolled: 1-line block ×3, first 2 shown]
	v_cmp_ge_i32_e32 vcc, v31, v46
	v_and_b32_e32 v33, 56, v1
	v_and_b32_e32 v6, 0x700, v1
	v_or_b32_e32 v15, 64, v5
	v_add_u32_e32 v16, 0x80, v5
	v_sub_u32_e32 v48, v14, v13
	v_add_u32_e32 v23, v9, v31
	v_sub_u32_e32 v28, v11, v3
	v_sub_u32_e32 v54, v32, v47
	v_min_i32_e32 v27, v31, v27
	v_cndmask_b32_e32 v31, 0, v53, vcc
	v_cmp_ge_i32_e32 vcc, v32, v47
	v_and_b32_e32 v34, 0x78, v1
	v_and_b32_e32 v7, 0x600, v1
	v_or_b32_e32 v17, 0x80, v6
	v_add_u32_e32 v18, 0x100, v6
	v_sub_u32_e32 v49, v16, v15
	v_add_u32_e32 v24, v11, v32
	v_sub_u32_e32 v29, v13, v4
	v_sub_u32_e32 v55, v33, v48
	v_min_i32_e32 v28, v32, v28
	v_cndmask_b32_e32 v32, 0, v54, vcc
	v_cmp_ge_i32_e32 vcc, v33, v48
	s_mov_b32 s8, 0xc0c0004
	v_and_b32_e32 v43, 0xf8, v1
	v_and_b32_e32 v8, 0x400, v1
	v_or_b32_e32 v19, 0x100, v7
	v_add_u32_e32 v20, 0x200, v7
	v_sub_u32_e32 v50, v18, v17
	v_add_u32_e32 v25, v13, v33
	v_sub_u32_e32 v30, v15, v5
	v_sub_u32_e32 v56, v34, v49
	v_min_i32_e32 v29, v33, v29
	v_cndmask_b32_e32 v33, 0, v55, vcc
	v_cmp_ge_i32_e32 vcc, v34, v49
	v_and_b32_e32 v44, 0x1f8, v1
	v_or_b32_e32 v21, 0x200, v8
	v_add_u32_e32 v22, 0x400, v8
	v_sub_u32_e32 v51, v20, v19
	v_add_u32_e32 v26, v15, v34
	v_sub_u32_e32 v57, v43, v50
	v_min_i32_e32 v30, v34, v30
	v_cndmask_b32_e32 v34, 0, v56, vcc
	v_cmp_ge_i32_e32 vcc, v43, v50
	v_and_b32_e32 v45, 0x3f8, v1
	v_sub_u32_e32 v52, v22, v21
	v_sub_u32_e32 v58, v44, v51
	;; [unrolled: 1-line block ×3, first 2 shown]
	v_min_i32_e32 v46, 0x400, v1
	s_mov_b32 s34, 0
	v_cmp_lt_i32_e64 s[0:1], v31, v27
	v_cmp_lt_i32_e64 s[2:3], v32, v28
	;; [unrolled: 1-line block ×4, first 2 shown]
	s_mov_b32 s35, 0x7060405
	s_mov_b32 s36, 0xc0c0001
	;; [unrolled: 1-line block ×4, first 2 shown]
	s_movk_i32 s39, 0xff
	s_mov_b32 s40, 0xc0c0304
	s_mov_b32 s41, 0x3020104
	s_movk_i32 s42, 0xff00
	s_waitcnt vmcnt(3)
	v_perm_b32 v36, v36, v39, s8
	s_waitcnt vmcnt(2)
	v_perm_b32 v35, v40, v35, s8
	;; [unrolled: 2-line block ×4, first 2 shown]
	v_lshl_or_b32 v49, v36, 16, v35
	v_cndmask_b32_e32 v35, 0, v57, vcc
	v_cmp_ge_i32_e32 vcc, v44, v51
	v_sub_u32_e32 v39, v19, v7
	v_lshl_or_b32 v48, v37, 16, v38
	v_sub_u32_e32 v36, v17, v6
	v_cndmask_b32_e32 v38, 0, v58, vcc
	v_min_i32_e32 v39, v44, v39
	v_add_u32_e32 v40, v19, v44
	v_cmp_ge_i32_e32 vcc, v45, v52
	v_sub_u32_e32 v42, v21, v8
	v_mov_b32_e32 v44, 0x400
	v_min_i32_e32 v36, v43, v36
	v_add_u32_e32 v37, v17, v43
	v_cndmask_b32_e32 v41, 0, v59, vcc
	v_min_i32_e32 v42, v45, v42
	v_add_u32_e32 v43, v21, v45
	v_sub_u32_e64 v45, v1, v44 clamp
	v_cmp_lt_i32_e64 s[8:9], v35, v36
	v_cmp_lt_i32_e64 s[10:11], v38, v39
	;; [unrolled: 1-line block ×4, first 2 shown]
	s_mov_b32 s43, 0xffff0000
	s_movk_i32 s44, 0x800
	v_add_u32_e32 v47, 0x400, v1
	s_branch .LBB68_2
.LBB68_1:                               ;   in Loop: Header=BB68_2 Depth=1
	s_or_b64 exec, exec, s[28:29]
	v_cndmask_b32_e64 v50, v50, v51, s[16:17]
	v_cndmask_b32_e64 v51, v52, v53, s[18:19]
	v_cmp_ge_i32_e64 s[16:17], v64, v44
	s_waitcnt lgkmcnt(0)
	v_cmp_lt_i16_sdwa s[18:19], sext(v66), sext(v63) src0_sel:BYTE_0 src1_sel:BYTE_0
	v_cndmask_b32_e32 v65, v48, v49, vcc
	v_cndmask_b32_e64 v52, v54, v55, s[20:21]
	v_cmp_gt_i32_e32 vcc, s44, v62
	s_or_b64 s[16:17], s[16:17], s[18:19]
	s_and_b64 vcc, vcc, s[16:17]
	v_lshlrev_b16_e32 v48, 8, v50
	v_lshlrev_b16_e32 v49, 8, v52
	v_cndmask_b32_e64 v53, v56, v57, s[22:23]
	v_cndmask_b32_e64 v54, v58, v59, s[24:25]
	v_cndmask_b32_e32 v56, v63, v66, vcc
	v_or_b32_sdwa v48, v65, v48 dst_sel:DWORD dst_unused:UNUSED_PAD src0_sel:BYTE_0 src1_sel:DWORD
	v_or_b32_sdwa v49, v51, v49 dst_sel:WORD_1 dst_unused:UNUSED_PAD src0_sel:BYTE_0 src1_sel:DWORD
	v_cndmask_b32_e64 v55, v60, v61, s[26:27]
	v_or_b32_sdwa v49, v48, v49 dst_sel:DWORD dst_unused:UNUSED_PAD src0_sel:WORD_0 src1_sel:DWORD
	v_lshlrev_b16_e32 v48, 8, v54
	v_lshlrev_b16_e32 v57, 8, v56
	s_add_i32 s34, s34, 1
	v_or_b32_sdwa v48, v53, v48 dst_sel:DWORD dst_unused:UNUSED_PAD src0_sel:BYTE_0 src1_sel:DWORD
	v_or_b32_sdwa v57, v55, v57 dst_sel:WORD_1 dst_unused:UNUSED_PAD src0_sel:BYTE_0 src1_sel:DWORD
	s_cmp_eq_u32 s34, 10
	v_or_b32_sdwa v48, v48, v57 dst_sel:DWORD dst_unused:UNUSED_PAD src0_sel:WORD_0 src1_sel:DWORD
	s_cbranch_scc1 .LBB68_258
.LBB68_2:                               ; =>This Loop Header: Depth=1
                                        ;     Child Loop BB68_4 Depth 2
                                        ;     Child Loop BB68_36 Depth 2
	;; [unrolled: 1-line block ×8, first 2 shown]
	v_lshrrev_b32_e32 v51, 8, v49
	v_perm_b32 v50, v49, v49, s35
	v_cmp_lt_i16_sdwa vcc, sext(v51), sext(v49) src0_sel:BYTE_0 src1_sel:BYTE_0
	v_cndmask_b32_e32 v50, v49, v50, vcc
	v_lshrrev_b32_e32 v52, 16, v50
	v_perm_b32 v53, 0, v52, s36
	v_min_i16_sdwa v54, sext(v51), sext(v49) dst_sel:DWORD dst_unused:UNUSED_PAD src0_sel:BYTE_0 src1_sel:BYTE_0
	v_max_i16_sdwa v49, sext(v51), sext(v49) dst_sel:DWORD dst_unused:UNUSED_PAD src0_sel:BYTE_0 src1_sel:BYTE_0
	v_lshrrev_b32_e32 v51, 24, v50
	v_lshlrev_b32_e32 v53, 16, v53
	v_and_or_b32 v53, v50, s37, v53
	v_cmp_lt_i16_sdwa vcc, sext(v51), sext(v52) src0_sel:BYTE_0 src1_sel:BYTE_0
	v_max_i16_sdwa v55, sext(v51), sext(v52) dst_sel:DWORD dst_unused:UNUSED_PAD src0_sel:BYTE_0 src1_sel:BYTE_0
	v_min_i16_sdwa v51, sext(v51), sext(v52) dst_sel:DWORD dst_unused:UNUSED_PAD src0_sel:BYTE_0 src1_sel:BYTE_0
	v_lshrrev_b32_e32 v52, 8, v48
	v_cndmask_b32_e32 v50, v50, v53, vcc
	v_perm_b32 v53, v48, v48, s35
	v_cmp_lt_i16_sdwa vcc, sext(v52), sext(v48) src0_sel:BYTE_0 src1_sel:BYTE_0
	v_cndmask_b32_e32 v53, v48, v53, vcc
	v_max_i16_sdwa v56, sext(v52), sext(v48) dst_sel:DWORD dst_unused:UNUSED_PAD src0_sel:BYTE_0 src1_sel:BYTE_0
	v_min_i16_sdwa v48, sext(v52), sext(v48) dst_sel:DWORD dst_unused:UNUSED_PAD src0_sel:BYTE_0 src1_sel:BYTE_0
	v_lshrrev_b32_e32 v52, 24, v53
	v_lshrrev_b32_e32 v57, 16, v53
	v_perm_b32 v58, v53, v53, s38
	v_cmp_lt_i16_sdwa vcc, sext(v52), sext(v57) src0_sel:BYTE_0 src1_sel:BYTE_0
	v_cndmask_b32_e32 v53, v53, v58, vcc
	v_max_i16_sdwa v58, sext(v52), sext(v57) dst_sel:DWORD dst_unused:UNUSED_PAD src0_sel:BYTE_0 src1_sel:BYTE_0
	v_min_i16_sdwa v52, sext(v52), sext(v57) dst_sel:DWORD dst_unused:UNUSED_PAD src0_sel:BYTE_0 src1_sel:BYTE_0
	v_lshlrev_b16_e32 v57, 8, v51
	v_or_b32_sdwa v57, v50, v57 dst_sel:DWORD dst_unused:UNUSED_PAD src0_sel:BYTE_0 src1_sel:DWORD
	v_and_b32_e32 v57, 0xffff, v57
	v_perm_b32 v59, v49, v50, s40
	v_lshl_or_b32 v57, v59, 16, v57
	v_cmp_lt_i16_e32 vcc, v51, v49
	v_cndmask_b32_e32 v50, v50, v57, vcc
	v_and_b32_sdwa v57, v50, s39 dst_sel:DWORD dst_unused:UNUSED_PAD src0_sel:WORD_1 src1_sel:DWORD
	v_lshlrev_b16_e32 v61, 8, v48
	v_perm_b32 v59, v55, v53, s41
	v_or_b32_sdwa v57, v57, v61 dst_sel:WORD_1 dst_unused:UNUSED_PAD src0_sel:DWORD src1_sel:DWORD
	v_cmp_lt_i16_e32 vcc, v48, v55
	v_and_or_b32 v57, v50, s37, v57
	v_cndmask_b32_e32 v53, v53, v59, vcc
	v_cndmask_b32_e32 v50, v50, v57, vcc
	v_and_b32_sdwa v57, v53, s42 dst_sel:DWORD dst_unused:UNUSED_PAD src0_sel:WORD_1 src1_sel:DWORD
	v_max_i16_e32 v59, v48, v55
	v_min_i16_e32 v48, v48, v55
	v_lshlrev_b16_e32 v55, 8, v52
	v_or_b32_sdwa v57, v56, v57 dst_sel:WORD_1 dst_unused:UNUSED_PAD src0_sel:BYTE_0 src1_sel:DWORD
	v_or_b32_sdwa v55, v53, v55 dst_sel:DWORD dst_unused:UNUSED_PAD src0_sel:BYTE_0 src1_sel:DWORD
	v_max_i16_e32 v60, v51, v49
	v_min_i16_e32 v49, v51, v49
	v_or_b32_sdwa v55, v55, v57 dst_sel:DWORD dst_unused:UNUSED_PAD src0_sel:WORD_0 src1_sel:DWORD
	v_lshlrev_b16_e32 v57, 8, v54
	v_or_b32_sdwa v57, v49, v57 dst_sel:DWORD dst_unused:UNUSED_PAD src0_sel:BYTE_0 src1_sel:DWORD
	v_cmp_lt_i16_e32 vcc, v52, v56
	v_and_b32_e32 v57, 0xffff, v57
	v_cndmask_b32_e32 v53, v53, v55, vcc
	v_cmp_lt_i16_e32 vcc, v51, v54
	v_and_or_b32 v57, v50, s43, v57
	v_cndmask_b32_e32 v51, v54, v49, vcc
	v_cndmask_b32_e32 v49, v49, v54, vcc
	v_lshlrev_b16_e32 v54, 8, v60
	v_cndmask_b32_e32 v50, v50, v57, vcc
	v_or_b32_sdwa v54, v48, v54 dst_sel:WORD_1 dst_unused:UNUSED_PAD src0_sel:BYTE_0 src1_sel:DWORD
	v_and_or_b32 v54, v50, s37, v54
	v_cmp_lt_i16_e32 vcc, v48, v60
	v_max_i16_e32 v55, v52, v56
	v_min_i16_e32 v52, v52, v56
	v_cndmask_b32_e32 v50, v50, v54, vcc
	v_lshlrev_b16_e32 v54, 8, v59
	v_or_b32_sdwa v54, v52, v54 dst_sel:DWORD dst_unused:UNUSED_PAD src0_sel:BYTE_0 src1_sel:DWORD
	v_and_b32_e32 v54, 0xffff, v54
	v_and_or_b32 v54, v53, s43, v54
	v_cmp_lt_i16_e32 vcc, v52, v59
	v_max_i16_e32 v57, v48, v60
	v_min_i16_e32 v48, v48, v60
	v_cndmask_b32_e32 v53, v53, v54, vcc
	v_max_i16_e32 v54, v52, v59
	v_min_i16_e32 v52, v52, v59
	v_lshlrev_b16_e32 v59, 8, v55
	v_cmp_gt_i16_e32 vcc, v56, v58
	v_or_b32_sdwa v59, v58, v59 dst_sel:WORD_1 dst_unused:UNUSED_PAD src0_sel:BYTE_0 src1_sel:DWORD
	v_cndmask_b32_e32 v56, v58, v55, vcc
	v_cndmask_b32_e32 v55, v55, v58, vcc
	v_lshlrev_b16_e32 v58, 8, v48
	v_and_or_b32 v59, v53, s37, v59
	v_or_b32_sdwa v58, v50, v58 dst_sel:DWORD dst_unused:UNUSED_PAD src0_sel:BYTE_0 src1_sel:DWORD
	v_cndmask_b32_e32 v53, v53, v59, vcc
	v_and_b32_e32 v58, 0xffff, v58
	v_perm_b32 v59, v49, v50, s40
	v_lshl_or_b32 v58, v59, 16, v58
	v_cmp_lt_i16_e32 vcc, v48, v49
	v_cndmask_b32_e32 v50, v50, v58, vcc
	v_and_b32_sdwa v58, v50, s39 dst_sel:DWORD dst_unused:UNUSED_PAD src0_sel:WORD_1 src1_sel:DWORD
	v_max_i16_e32 v60, v48, v49
	v_min_i16_e32 v48, v48, v49
	v_lshlrev_b16_e32 v49, 8, v52
	v_or_b32_sdwa v49, v58, v49 dst_sel:WORD_1 dst_unused:UNUSED_PAD src0_sel:DWORD src1_sel:DWORD
	v_perm_b32 v59, v57, v53, s41
	v_and_or_b32 v49, v50, s37, v49
	v_cmp_lt_i16_e32 vcc, v52, v57
	v_cndmask_b32_e32 v49, v50, v49, vcc
	v_cndmask_b32_e32 v50, v53, v59, vcc
	v_and_b32_sdwa v53, v50, s42 dst_sel:DWORD dst_unused:UNUSED_PAD src0_sel:WORD_1 src1_sel:DWORD
	v_max_i16_e32 v58, v52, v57
	v_min_i16_e32 v52, v52, v57
	v_lshlrev_b16_e32 v57, 8, v55
	v_or_b32_sdwa v53, v54, v53 dst_sel:WORD_1 dst_unused:UNUSED_PAD src0_sel:BYTE_0 src1_sel:DWORD
	v_or_b32_sdwa v57, v50, v57 dst_sel:DWORD dst_unused:UNUSED_PAD src0_sel:BYTE_0 src1_sel:DWORD
	v_or_b32_sdwa v53, v57, v53 dst_sel:DWORD dst_unused:UNUSED_PAD src0_sel:WORD_0 src1_sel:DWORD
	v_lshlrev_b16_e32 v57, 8, v51
	v_or_b32_sdwa v57, v48, v57 dst_sel:DWORD dst_unused:UNUSED_PAD src0_sel:BYTE_0 src1_sel:DWORD
	v_and_b32_e32 v57, 0xffff, v57
	v_cmp_lt_i16_e32 vcc, v55, v54
	v_and_or_b32 v57, v49, s43, v57
	v_cndmask_b32_e32 v50, v50, v53, vcc
	v_max_i16_e32 v53, v55, v54
	v_min_i16_e32 v54, v55, v54
	v_cmp_lt_i16_e32 vcc, v48, v51
	v_min_i16_e32 v55, v48, v51
	v_max_i16_e32 v48, v48, v51
	v_lshlrev_b16_e32 v51, 8, v60
	v_cndmask_b32_e32 v49, v49, v57, vcc
	v_or_b32_sdwa v51, v52, v51 dst_sel:WORD_1 dst_unused:UNUSED_PAD src0_sel:BYTE_0 src1_sel:DWORD
	v_and_or_b32 v51, v49, s37, v51
	v_cmp_lt_i16_e32 vcc, v52, v60
	v_cndmask_b32_e32 v49, v49, v51, vcc
	v_lshlrev_b16_e32 v51, 8, v58
	v_or_b32_sdwa v51, v54, v51 dst_sel:DWORD dst_unused:UNUSED_PAD src0_sel:BYTE_0 src1_sel:DWORD
	v_and_b32_e32 v51, 0xffff, v51
	v_and_or_b32 v51, v50, s43, v51
	v_cmp_lt_i16_e32 vcc, v54, v58
	v_cndmask_b32_e32 v50, v50, v51, vcc
	v_max_i16_e32 v51, v54, v58
	v_min_i16_e32 v54, v54, v58
	v_lshlrev_b16_e32 v58, 8, v53
	v_or_b32_sdwa v58, v56, v58 dst_sel:WORD_1 dst_unused:UNUSED_PAD src0_sel:BYTE_0 src1_sel:DWORD
	v_max_i16_e32 v57, v52, v60
	v_min_i16_e32 v52, v52, v60
	v_and_or_b32 v58, v50, s37, v58
	v_cmp_lt_i16_e32 vcc, v56, v53
	v_cndmask_b32_e32 v50, v50, v58, vcc
	v_max_i16_e32 v58, v56, v53
	v_min_i16_e32 v53, v56, v53
	v_lshlrev_b16_e32 v56, 8, v52
	v_or_b32_sdwa v56, v49, v56 dst_sel:DWORD dst_unused:UNUSED_PAD src0_sel:BYTE_0 src1_sel:DWORD
	v_and_b32_e32 v56, 0xffff, v56
	v_perm_b32 v59, v48, v49, s40
	v_lshl_or_b32 v56, v59, 16, v56
	v_cmp_lt_i16_e32 vcc, v52, v48
	v_cndmask_b32_e32 v49, v49, v56, vcc
	v_and_b32_sdwa v56, v49, s39 dst_sel:DWORD dst_unused:UNUSED_PAD src0_sel:WORD_1 src1_sel:DWORD
	v_lshlrev_b16_e32 v61, 8, v54
	v_perm_b32 v59, v57, v50, s41
	v_or_b32_sdwa v56, v56, v61 dst_sel:WORD_1 dst_unused:UNUSED_PAD src0_sel:DWORD src1_sel:DWORD
	v_cmp_lt_i16_e32 vcc, v54, v57
	v_and_or_b32 v56, v49, s37, v56
	v_cndmask_b32_e32 v50, v50, v59, vcc
	v_cndmask_b32_e32 v49, v49, v56, vcc
	v_and_b32_sdwa v56, v50, s42 dst_sel:DWORD dst_unused:UNUSED_PAD src0_sel:WORD_1 src1_sel:DWORD
	v_max_i16_e32 v59, v54, v57
	v_min_i16_e32 v54, v54, v57
	v_lshlrev_b16_e32 v57, 8, v53
	v_or_b32_sdwa v56, v51, v56 dst_sel:WORD_1 dst_unused:UNUSED_PAD src0_sel:BYTE_0 src1_sel:DWORD
	v_or_b32_sdwa v57, v50, v57 dst_sel:DWORD dst_unused:UNUSED_PAD src0_sel:BYTE_0 src1_sel:DWORD
	v_max_i16_e32 v60, v52, v48
	v_min_i16_e32 v48, v52, v48
	v_or_b32_sdwa v56, v57, v56 dst_sel:DWORD dst_unused:UNUSED_PAD src0_sel:WORD_0 src1_sel:DWORD
	v_lshlrev_b16_e32 v57, 8, v55
	v_or_b32_sdwa v57, v48, v57 dst_sel:DWORD dst_unused:UNUSED_PAD src0_sel:BYTE_0 src1_sel:DWORD
	v_and_b32_e32 v57, 0xffff, v57
	v_cmp_lt_i16_e32 vcc, v53, v51
	v_and_or_b32 v57, v49, s43, v57
	v_cndmask_b32_e32 v50, v50, v56, vcc
	v_cmp_lt_i16_e32 vcc, v52, v55
	v_lshlrev_b16_e32 v52, 8, v60
	v_cndmask_b32_e32 v49, v49, v57, vcc
	v_or_b32_sdwa v52, v54, v52 dst_sel:WORD_1 dst_unused:UNUSED_PAD src0_sel:BYTE_0 src1_sel:DWORD
	v_cndmask_b32_e32 v48, v48, v55, vcc
	v_and_or_b32 v52, v49, s37, v52
	v_cmp_lt_i16_e32 vcc, v54, v60
	v_max_i16_e32 v56, v53, v51
	v_min_i16_e32 v53, v53, v51
	v_cndmask_b32_e32 v49, v49, v52, vcc
	v_lshlrev_b16_e32 v52, 8, v59
	v_or_b32_sdwa v52, v53, v52 dst_sel:DWORD dst_unused:UNUSED_PAD src0_sel:BYTE_0 src1_sel:DWORD
	v_and_b32_e32 v52, 0xffff, v52
	v_and_or_b32 v52, v50, s43, v52
	v_cmp_lt_i16_e32 vcc, v53, v59
	v_max_i16_e32 v55, v54, v60
	v_min_i16_e32 v54, v54, v60
	v_cndmask_b32_e32 v50, v50, v52, vcc
	v_lshlrev_b16_e32 v57, 8, v56
	v_cmp_gt_i16_e32 vcc, v51, v58
	v_or_b32_sdwa v57, v58, v57 dst_sel:WORD_1 dst_unused:UNUSED_PAD src0_sel:BYTE_0 src1_sel:DWORD
	v_cndmask_b32_e32 v51, v56, v58, vcc
	v_lshlrev_b16_e32 v56, 8, v54
	v_and_or_b32 v57, v50, s37, v57
	v_or_b32_sdwa v56, v49, v56 dst_sel:DWORD dst_unused:UNUSED_PAD src0_sel:BYTE_0 src1_sel:DWORD
	v_cndmask_b32_e32 v50, v50, v57, vcc
	v_and_b32_e32 v56, 0xffff, v56
	v_perm_b32 v57, v48, v49, s40
	v_lshl_or_b32 v56, v57, 16, v56
	v_cmp_lt_i16_e32 vcc, v54, v48
	v_max_i16_e32 v52, v53, v59
	v_min_i16_e32 v53, v53, v59
	v_cndmask_b32_e32 v48, v49, v56, vcc
	v_and_b32_sdwa v49, v48, s39 dst_sel:DWORD dst_unused:UNUSED_PAD src0_sel:WORD_1 src1_sel:DWORD
	v_lshlrev_b16_e32 v56, 8, v53
	v_or_b32_sdwa v49, v49, v56 dst_sel:WORD_1 dst_unused:UNUSED_PAD src0_sel:DWORD src1_sel:DWORD
	v_perm_b32 v54, v55, v50, s41
	v_and_or_b32 v49, v48, s37, v49
	v_cmp_lt_i16_e32 vcc, v53, v55
	v_cndmask_b32_e32 v48, v48, v49, vcc
	v_cndmask_b32_e32 v49, v50, v54, vcc
	v_and_b32_sdwa v50, v49, s42 dst_sel:DWORD dst_unused:UNUSED_PAD src0_sel:WORD_1 src1_sel:DWORD
	v_lshlrev_b16_e32 v53, 8, v51
	v_or_b32_sdwa v50, v52, v50 dst_sel:WORD_1 dst_unused:UNUSED_PAD src0_sel:BYTE_0 src1_sel:DWORD
	v_or_b32_sdwa v53, v49, v53 dst_sel:DWORD dst_unused:UNUSED_PAD src0_sel:BYTE_0 src1_sel:DWORD
	v_or_b32_sdwa v50, v53, v50 dst_sel:DWORD dst_unused:UNUSED_PAD src0_sel:WORD_0 src1_sel:DWORD
	v_cmp_lt_i16_e32 vcc, v51, v52
	v_cndmask_b32_e32 v49, v49, v50, vcc
	s_barrier
	ds_write_b64 v1, v[48:49]
	v_mov_b32_e32 v48, v31
	s_waitcnt lgkmcnt(0)
	s_barrier
	s_and_saveexec_b64 s[16:17], s[0:1]
	s_cbranch_execz .LBB68_6
; %bb.3:                                ;   in Loop: Header=BB68_2 Depth=1
	s_mov_b64 s[18:19], 0
	v_mov_b32_e32 v48, v31
	v_mov_b32_e32 v49, v27
.LBB68_4:                               ;   Parent Loop BB68_2 Depth=1
                                        ; =>  This Inner Loop Header: Depth=2
	v_sub_u32_e32 v50, v49, v48
	v_lshrrev_b32_e32 v50, 1, v50
	v_add_u32_e32 v50, v50, v48
	v_add_u32_e32 v51, v2, v50
	v_xad_u32 v52, v50, -1, v23
	ds_read_i8 v51, v51
	ds_read_i8 v52, v52
	v_add_u32_e32 v53, 1, v50
	s_waitcnt lgkmcnt(0)
	v_cmp_lt_i16_e32 vcc, v52, v51
	v_cndmask_b32_e32 v49, v49, v50, vcc
	v_cndmask_b32_e32 v48, v53, v48, vcc
	v_cmp_ge_i32_e32 vcc, v48, v49
	s_or_b64 s[18:19], vcc, s[18:19]
	s_andn2_b64 exec, exec, s[18:19]
	s_cbranch_execnz .LBB68_4
; %bb.5:                                ;   in Loop: Header=BB68_2 Depth=1
	s_or_b64 exec, exec, s[18:19]
.LBB68_6:                               ;   in Loop: Header=BB68_2 Depth=1
	s_or_b64 exec, exec, s[16:17]
	v_add_u32_e32 v52, v48, v2
	v_sub_u32_e32 v53, v23, v48
	ds_read_u8 v48, v52
	ds_read_u8 v49, v53
	v_cmp_le_i32_e64 s[16:17], v9, v52
	v_cmp_gt_i32_e32 vcc, v10, v53
                                        ; implicit-def: $vgpr50
	s_waitcnt lgkmcnt(1)
	v_bfe_i32 v48, v48, 0, 8
	s_waitcnt lgkmcnt(0)
	v_bfe_i32 v49, v49, 0, 8
	v_cmp_lt_i16_e64 s[18:19], v49, v48
	s_or_b64 s[16:17], s[16:17], s[18:19]
	s_and_b64 s[16:17], vcc, s[16:17]
	s_xor_b64 s[18:19], s[16:17], -1
	s_and_saveexec_b64 s[20:21], s[18:19]
	s_xor_b64 s[18:19], exec, s[20:21]
; %bb.7:                                ;   in Loop: Header=BB68_2 Depth=1
	ds_read_u8 v50, v52 offset:1
; %bb.8:                                ;   in Loop: Header=BB68_2 Depth=1
	s_or_saveexec_b64 s[18:19], s[18:19]
	v_mov_b32_e32 v51, v49
	s_xor_b64 exec, exec, s[18:19]
	s_cbranch_execz .LBB68_10
; %bb.9:                                ;   in Loop: Header=BB68_2 Depth=1
	ds_read_u8 v51, v53 offset:1
	s_waitcnt lgkmcnt(1)
	v_mov_b32_e32 v50, v48
.LBB68_10:                              ;   in Loop: Header=BB68_2 Depth=1
	s_or_b64 exec, exec, s[18:19]
	v_add_u32_e32 v55, 1, v52
	v_add_u32_e32 v54, 1, v53
	v_cndmask_b32_e64 v55, v55, v52, s[16:17]
	v_cndmask_b32_e64 v54, v53, v54, s[16:17]
	v_cmp_ge_i32_e64 s[18:19], v55, v9
	s_waitcnt lgkmcnt(0)
	v_cmp_lt_i16_sdwa s[20:21], sext(v51), sext(v50) src0_sel:BYTE_0 src1_sel:BYTE_0
	v_cmp_lt_i32_e32 vcc, v54, v10
	s_or_b64 s[18:19], s[18:19], s[20:21]
	s_and_b64 s[18:19], vcc, s[18:19]
	s_xor_b64 s[20:21], s[18:19], -1
                                        ; implicit-def: $vgpr52
	s_and_saveexec_b64 s[22:23], s[20:21]
	s_xor_b64 s[20:21], exec, s[22:23]
; %bb.11:                               ;   in Loop: Header=BB68_2 Depth=1
	ds_read_u8 v52, v55 offset:1
; %bb.12:                               ;   in Loop: Header=BB68_2 Depth=1
	s_or_saveexec_b64 s[20:21], s[20:21]
	v_mov_b32_e32 v53, v51
	s_xor_b64 exec, exec, s[20:21]
	s_cbranch_execz .LBB68_14
; %bb.13:                               ;   in Loop: Header=BB68_2 Depth=1
	ds_read_u8 v53, v54 offset:1
	s_waitcnt lgkmcnt(1)
	v_mov_b32_e32 v52, v50
.LBB68_14:                              ;   in Loop: Header=BB68_2 Depth=1
	s_or_b64 exec, exec, s[20:21]
	v_add_u32_e32 v57, 1, v55
	v_add_u32_e32 v56, 1, v54
	v_cndmask_b32_e64 v57, v57, v55, s[18:19]
	v_cndmask_b32_e64 v56, v54, v56, s[18:19]
	v_cmp_ge_i32_e64 s[20:21], v57, v9
	s_waitcnt lgkmcnt(0)
	v_cmp_lt_i16_sdwa s[22:23], sext(v53), sext(v52) src0_sel:BYTE_0 src1_sel:BYTE_0
	v_cmp_lt_i32_e32 vcc, v56, v10
	s_or_b64 s[20:21], s[20:21], s[22:23]
	s_and_b64 s[20:21], vcc, s[20:21]
	s_xor_b64 s[22:23], s[20:21], -1
                                        ; implicit-def: $vgpr54
	s_and_saveexec_b64 s[24:25], s[22:23]
	s_xor_b64 s[22:23], exec, s[24:25]
; %bb.15:                               ;   in Loop: Header=BB68_2 Depth=1
	ds_read_u8 v54, v57 offset:1
; %bb.16:                               ;   in Loop: Header=BB68_2 Depth=1
	s_or_saveexec_b64 s[22:23], s[22:23]
	v_mov_b32_e32 v55, v53
	s_xor_b64 exec, exec, s[22:23]
	s_cbranch_execz .LBB68_18
; %bb.17:                               ;   in Loop: Header=BB68_2 Depth=1
	ds_read_u8 v55, v56 offset:1
	s_waitcnt lgkmcnt(1)
	v_mov_b32_e32 v54, v52
.LBB68_18:                              ;   in Loop: Header=BB68_2 Depth=1
	s_or_b64 exec, exec, s[22:23]
	v_add_u32_e32 v59, 1, v57
	v_add_u32_e32 v58, 1, v56
	v_cndmask_b32_e64 v59, v59, v57, s[20:21]
	v_cndmask_b32_e64 v58, v56, v58, s[20:21]
	v_cmp_ge_i32_e64 s[22:23], v59, v9
	s_waitcnt lgkmcnt(0)
	v_cmp_lt_i16_sdwa s[24:25], sext(v55), sext(v54) src0_sel:BYTE_0 src1_sel:BYTE_0
	v_cmp_lt_i32_e32 vcc, v58, v10
	s_or_b64 s[22:23], s[22:23], s[24:25]
	s_and_b64 s[22:23], vcc, s[22:23]
	s_xor_b64 s[24:25], s[22:23], -1
                                        ; implicit-def: $vgpr56
	s_and_saveexec_b64 s[26:27], s[24:25]
	s_xor_b64 s[24:25], exec, s[26:27]
; %bb.19:                               ;   in Loop: Header=BB68_2 Depth=1
	ds_read_u8 v56, v59 offset:1
; %bb.20:                               ;   in Loop: Header=BB68_2 Depth=1
	s_or_saveexec_b64 s[24:25], s[24:25]
	v_mov_b32_e32 v57, v55
	s_xor_b64 exec, exec, s[24:25]
	s_cbranch_execz .LBB68_22
; %bb.21:                               ;   in Loop: Header=BB68_2 Depth=1
	ds_read_u8 v57, v58 offset:1
	s_waitcnt lgkmcnt(1)
	v_mov_b32_e32 v56, v54
.LBB68_22:                              ;   in Loop: Header=BB68_2 Depth=1
	s_or_b64 exec, exec, s[24:25]
	v_add_u32_e32 v61, 1, v59
	v_add_u32_e32 v60, 1, v58
	v_cndmask_b32_e64 v61, v61, v59, s[22:23]
	v_cndmask_b32_e64 v60, v58, v60, s[22:23]
	v_cmp_ge_i32_e64 s[24:25], v61, v9
	s_waitcnt lgkmcnt(0)
	v_cmp_lt_i16_sdwa s[26:27], sext(v57), sext(v56) src0_sel:BYTE_0 src1_sel:BYTE_0
	v_cmp_lt_i32_e32 vcc, v60, v10
	s_or_b64 s[24:25], s[24:25], s[26:27]
	s_and_b64 s[24:25], vcc, s[24:25]
	s_xor_b64 s[26:27], s[24:25], -1
                                        ; implicit-def: $vgpr58
	s_and_saveexec_b64 s[28:29], s[26:27]
	s_xor_b64 s[26:27], exec, s[28:29]
; %bb.23:                               ;   in Loop: Header=BB68_2 Depth=1
	ds_read_u8 v58, v61 offset:1
; %bb.24:                               ;   in Loop: Header=BB68_2 Depth=1
	s_or_saveexec_b64 s[26:27], s[26:27]
	v_mov_b32_e32 v59, v57
	s_xor_b64 exec, exec, s[26:27]
	s_cbranch_execz .LBB68_26
; %bb.25:                               ;   in Loop: Header=BB68_2 Depth=1
	ds_read_u8 v59, v60 offset:1
	s_waitcnt lgkmcnt(1)
	v_mov_b32_e32 v58, v56
.LBB68_26:                              ;   in Loop: Header=BB68_2 Depth=1
	s_or_b64 exec, exec, s[26:27]
	v_add_u32_e32 v63, 1, v61
	v_add_u32_e32 v62, 1, v60
	v_cndmask_b32_e64 v64, v63, v61, s[24:25]
	v_cndmask_b32_e64 v62, v60, v62, s[24:25]
	v_cmp_ge_i32_e64 s[26:27], v64, v9
	s_waitcnt lgkmcnt(0)
	v_cmp_lt_i16_sdwa s[28:29], sext(v59), sext(v58) src0_sel:BYTE_0 src1_sel:BYTE_0
	v_cmp_lt_i32_e32 vcc, v62, v10
	s_or_b64 s[26:27], s[26:27], s[28:29]
	s_and_b64 vcc, vcc, s[26:27]
	s_xor_b64 s[26:27], vcc, -1
                                        ; implicit-def: $vgpr60
	s_and_saveexec_b64 s[28:29], s[26:27]
	s_xor_b64 s[26:27], exec, s[28:29]
; %bb.27:                               ;   in Loop: Header=BB68_2 Depth=1
	ds_read_u8 v60, v64 offset:1
; %bb.28:                               ;   in Loop: Header=BB68_2 Depth=1
	s_or_saveexec_b64 s[26:27], s[26:27]
	v_mov_b32_e32 v61, v59
	s_xor_b64 exec, exec, s[26:27]
	s_cbranch_execz .LBB68_30
; %bb.29:                               ;   in Loop: Header=BB68_2 Depth=1
	ds_read_u8 v61, v62 offset:1
	s_waitcnt lgkmcnt(1)
	v_mov_b32_e32 v60, v58
.LBB68_30:                              ;   in Loop: Header=BB68_2 Depth=1
	s_or_b64 exec, exec, s[26:27]
	v_add_u32_e32 v65, 1, v64
	v_add_u32_e32 v63, 1, v62
	v_cndmask_b32_e32 v64, v65, v64, vcc
	v_cndmask_b32_e32 v63, v62, v63, vcc
	v_cmp_ge_i32_e64 s[28:29], v64, v9
	s_waitcnt lgkmcnt(0)
	v_cmp_lt_i16_sdwa s[46:47], sext(v61), sext(v60) src0_sel:BYTE_0 src1_sel:BYTE_0
	v_cmp_lt_i32_e64 s[26:27], v63, v10
	s_or_b64 s[28:29], s[28:29], s[46:47]
	s_and_b64 s[26:27], s[26:27], s[28:29]
	s_xor_b64 s[28:29], s[26:27], -1
                                        ; implicit-def: $vgpr62
	s_and_saveexec_b64 s[46:47], s[28:29]
	s_xor_b64 s[28:29], exec, s[46:47]
; %bb.31:                               ;   in Loop: Header=BB68_2 Depth=1
	ds_read_u8 v62, v64 offset:1
; %bb.32:                               ;   in Loop: Header=BB68_2 Depth=1
	s_or_saveexec_b64 s[28:29], s[28:29]
	v_mov_b32_e32 v65, v61
	s_xor_b64 exec, exec, s[28:29]
	s_cbranch_execz .LBB68_34
; %bb.33:                               ;   in Loop: Header=BB68_2 Depth=1
	ds_read_u8 v65, v63 offset:1
	s_waitcnt lgkmcnt(1)
	v_mov_b32_e32 v62, v60
.LBB68_34:                              ;   in Loop: Header=BB68_2 Depth=1
	s_or_b64 exec, exec, s[28:29]
	v_cndmask_b32_e64 v60, v60, v61, s[26:27]
	v_add_u32_e32 v61, 1, v63
	v_add_u32_e32 v66, 1, v64
	v_cndmask_b32_e64 v61, v63, v61, s[26:27]
	v_cndmask_b32_e64 v63, v66, v64, s[26:27]
	v_cndmask_b32_sdwa v58, v58, v59, vcc dst_sel:BYTE_1 dst_unused:UNUSED_PAD src0_sel:DWORD src1_sel:DWORD
	s_mov_b64 vcc, s[22:23]
	v_cndmask_b32_e64 v50, v50, v51, s[18:19]
	v_cndmask_b32_e64 v48, v48, v49, s[16:17]
	v_cmp_ge_i32_e64 s[16:17], v63, v9
	s_waitcnt lgkmcnt(0)
	v_cmp_lt_i16_sdwa s[18:19], sext(v65), sext(v62) src0_sel:BYTE_0 src1_sel:BYTE_0
	v_cndmask_b32_sdwa v54, v54, v55, vcc dst_sel:BYTE_1 dst_unused:UNUSED_PAD src0_sel:DWORD src1_sel:DWORD
	v_cmp_lt_i32_e32 vcc, v61, v10
	s_or_b64 s[16:17], s[16:17], s[18:19]
	s_and_b64 vcc, vcc, s[16:17]
	v_cndmask_b32_e64 v52, v52, v53, s[20:21]
	v_cndmask_b32_e32 v49, v62, v65, vcc
	v_lshlrev_b16_e32 v50, 8, v50
	v_cndmask_b32_e64 v56, v56, v57, s[24:25]
	v_or_b32_sdwa v48, v48, v50 dst_sel:DWORD dst_unused:UNUSED_PAD src0_sel:BYTE_0 src1_sel:DWORD
	v_or_b32_sdwa v50, v52, v54 dst_sel:WORD_1 dst_unused:UNUSED_PAD src0_sel:BYTE_0 src1_sel:DWORD
	v_lshlrev_b16_e32 v49, 8, v49
	v_or_b32_sdwa v48, v48, v50 dst_sel:DWORD dst_unused:UNUSED_PAD src0_sel:WORD_0 src1_sel:DWORD
	v_or_b32_sdwa v50, v56, v58 dst_sel:DWORD dst_unused:UNUSED_PAD src0_sel:BYTE_0 src1_sel:DWORD
	v_or_b32_sdwa v49, v60, v49 dst_sel:WORD_1 dst_unused:UNUSED_PAD src0_sel:BYTE_0 src1_sel:DWORD
	v_or_b32_sdwa v49, v50, v49 dst_sel:DWORD dst_unused:UNUSED_PAD src0_sel:WORD_0 src1_sel:DWORD
	s_barrier
	ds_write_b64 v1, v[48:49]
	v_mov_b32_e32 v48, v32
	s_waitcnt lgkmcnt(0)
	s_barrier
	s_and_saveexec_b64 s[16:17], s[2:3]
	s_cbranch_execz .LBB68_38
; %bb.35:                               ;   in Loop: Header=BB68_2 Depth=1
	s_mov_b64 s[18:19], 0
	v_mov_b32_e32 v48, v32
	v_mov_b32_e32 v49, v28
.LBB68_36:                              ;   Parent Loop BB68_2 Depth=1
                                        ; =>  This Inner Loop Header: Depth=2
	v_sub_u32_e32 v50, v49, v48
	v_lshrrev_b32_e32 v50, 1, v50
	v_add_u32_e32 v50, v50, v48
	v_add_u32_e32 v51, v3, v50
	v_xad_u32 v52, v50, -1, v24
	ds_read_i8 v51, v51
	ds_read_i8 v52, v52
	v_add_u32_e32 v53, 1, v50
	s_waitcnt lgkmcnt(0)
	v_cmp_lt_i16_e32 vcc, v52, v51
	v_cndmask_b32_e32 v49, v49, v50, vcc
	v_cndmask_b32_e32 v48, v53, v48, vcc
	v_cmp_ge_i32_e32 vcc, v48, v49
	s_or_b64 s[18:19], vcc, s[18:19]
	s_andn2_b64 exec, exec, s[18:19]
	s_cbranch_execnz .LBB68_36
; %bb.37:                               ;   in Loop: Header=BB68_2 Depth=1
	s_or_b64 exec, exec, s[18:19]
.LBB68_38:                              ;   in Loop: Header=BB68_2 Depth=1
	s_or_b64 exec, exec, s[16:17]
	v_add_u32_e32 v52, v48, v3
	v_sub_u32_e32 v53, v24, v48
	ds_read_u8 v48, v52
	ds_read_u8 v49, v53
	v_cmp_le_i32_e64 s[16:17], v11, v52
	v_cmp_gt_i32_e32 vcc, v12, v53
                                        ; implicit-def: $vgpr50
	s_waitcnt lgkmcnt(1)
	v_bfe_i32 v48, v48, 0, 8
	s_waitcnt lgkmcnt(0)
	v_bfe_i32 v49, v49, 0, 8
	v_cmp_lt_i16_e64 s[18:19], v49, v48
	s_or_b64 s[16:17], s[16:17], s[18:19]
	s_and_b64 s[16:17], vcc, s[16:17]
	s_xor_b64 s[18:19], s[16:17], -1
	s_and_saveexec_b64 s[20:21], s[18:19]
	s_xor_b64 s[18:19], exec, s[20:21]
; %bb.39:                               ;   in Loop: Header=BB68_2 Depth=1
	ds_read_u8 v50, v52 offset:1
; %bb.40:                               ;   in Loop: Header=BB68_2 Depth=1
	s_or_saveexec_b64 s[18:19], s[18:19]
	v_mov_b32_e32 v51, v49
	s_xor_b64 exec, exec, s[18:19]
	s_cbranch_execz .LBB68_42
; %bb.41:                               ;   in Loop: Header=BB68_2 Depth=1
	ds_read_u8 v51, v53 offset:1
	s_waitcnt lgkmcnt(1)
	v_mov_b32_e32 v50, v48
.LBB68_42:                              ;   in Loop: Header=BB68_2 Depth=1
	s_or_b64 exec, exec, s[18:19]
	v_add_u32_e32 v55, 1, v52
	v_add_u32_e32 v54, 1, v53
	v_cndmask_b32_e64 v55, v55, v52, s[16:17]
	v_cndmask_b32_e64 v54, v53, v54, s[16:17]
	v_cmp_ge_i32_e64 s[18:19], v55, v11
	s_waitcnt lgkmcnt(0)
	v_cmp_lt_i16_sdwa s[20:21], sext(v51), sext(v50) src0_sel:BYTE_0 src1_sel:BYTE_0
	v_cmp_lt_i32_e32 vcc, v54, v12
	s_or_b64 s[18:19], s[18:19], s[20:21]
	s_and_b64 s[18:19], vcc, s[18:19]
	s_xor_b64 s[20:21], s[18:19], -1
                                        ; implicit-def: $vgpr52
	s_and_saveexec_b64 s[22:23], s[20:21]
	s_xor_b64 s[20:21], exec, s[22:23]
; %bb.43:                               ;   in Loop: Header=BB68_2 Depth=1
	ds_read_u8 v52, v55 offset:1
; %bb.44:                               ;   in Loop: Header=BB68_2 Depth=1
	s_or_saveexec_b64 s[20:21], s[20:21]
	v_mov_b32_e32 v53, v51
	s_xor_b64 exec, exec, s[20:21]
	s_cbranch_execz .LBB68_46
; %bb.45:                               ;   in Loop: Header=BB68_2 Depth=1
	ds_read_u8 v53, v54 offset:1
	s_waitcnt lgkmcnt(1)
	v_mov_b32_e32 v52, v50
.LBB68_46:                              ;   in Loop: Header=BB68_2 Depth=1
	s_or_b64 exec, exec, s[20:21]
	v_add_u32_e32 v57, 1, v55
	v_add_u32_e32 v56, 1, v54
	v_cndmask_b32_e64 v57, v57, v55, s[18:19]
	v_cndmask_b32_e64 v56, v54, v56, s[18:19]
	v_cmp_ge_i32_e64 s[20:21], v57, v11
	s_waitcnt lgkmcnt(0)
	v_cmp_lt_i16_sdwa s[22:23], sext(v53), sext(v52) src0_sel:BYTE_0 src1_sel:BYTE_0
	v_cmp_lt_i32_e32 vcc, v56, v12
	s_or_b64 s[20:21], s[20:21], s[22:23]
	s_and_b64 s[20:21], vcc, s[20:21]
	s_xor_b64 s[22:23], s[20:21], -1
                                        ; implicit-def: $vgpr54
	s_and_saveexec_b64 s[24:25], s[22:23]
	s_xor_b64 s[22:23], exec, s[24:25]
; %bb.47:                               ;   in Loop: Header=BB68_2 Depth=1
	ds_read_u8 v54, v57 offset:1
; %bb.48:                               ;   in Loop: Header=BB68_2 Depth=1
	s_or_saveexec_b64 s[22:23], s[22:23]
	v_mov_b32_e32 v55, v53
	s_xor_b64 exec, exec, s[22:23]
	s_cbranch_execz .LBB68_50
; %bb.49:                               ;   in Loop: Header=BB68_2 Depth=1
	ds_read_u8 v55, v56 offset:1
	s_waitcnt lgkmcnt(1)
	v_mov_b32_e32 v54, v52
.LBB68_50:                              ;   in Loop: Header=BB68_2 Depth=1
	s_or_b64 exec, exec, s[22:23]
	v_add_u32_e32 v59, 1, v57
	v_add_u32_e32 v58, 1, v56
	v_cndmask_b32_e64 v59, v59, v57, s[20:21]
	v_cndmask_b32_e64 v58, v56, v58, s[20:21]
	v_cmp_ge_i32_e64 s[22:23], v59, v11
	s_waitcnt lgkmcnt(0)
	v_cmp_lt_i16_sdwa s[24:25], sext(v55), sext(v54) src0_sel:BYTE_0 src1_sel:BYTE_0
	v_cmp_lt_i32_e32 vcc, v58, v12
	s_or_b64 s[22:23], s[22:23], s[24:25]
	s_and_b64 s[22:23], vcc, s[22:23]
	s_xor_b64 s[24:25], s[22:23], -1
                                        ; implicit-def: $vgpr56
	s_and_saveexec_b64 s[26:27], s[24:25]
	s_xor_b64 s[24:25], exec, s[26:27]
; %bb.51:                               ;   in Loop: Header=BB68_2 Depth=1
	ds_read_u8 v56, v59 offset:1
; %bb.52:                               ;   in Loop: Header=BB68_2 Depth=1
	s_or_saveexec_b64 s[24:25], s[24:25]
	v_mov_b32_e32 v57, v55
	s_xor_b64 exec, exec, s[24:25]
	s_cbranch_execz .LBB68_54
; %bb.53:                               ;   in Loop: Header=BB68_2 Depth=1
	ds_read_u8 v57, v58 offset:1
	s_waitcnt lgkmcnt(1)
	v_mov_b32_e32 v56, v54
.LBB68_54:                              ;   in Loop: Header=BB68_2 Depth=1
	s_or_b64 exec, exec, s[24:25]
	v_add_u32_e32 v61, 1, v59
	v_add_u32_e32 v60, 1, v58
	v_cndmask_b32_e64 v61, v61, v59, s[22:23]
	v_cndmask_b32_e64 v60, v58, v60, s[22:23]
	v_cmp_ge_i32_e64 s[24:25], v61, v11
	s_waitcnt lgkmcnt(0)
	v_cmp_lt_i16_sdwa s[26:27], sext(v57), sext(v56) src0_sel:BYTE_0 src1_sel:BYTE_0
	v_cmp_lt_i32_e32 vcc, v60, v12
	s_or_b64 s[24:25], s[24:25], s[26:27]
	s_and_b64 s[24:25], vcc, s[24:25]
	s_xor_b64 s[26:27], s[24:25], -1
                                        ; implicit-def: $vgpr58
	s_and_saveexec_b64 s[28:29], s[26:27]
	s_xor_b64 s[26:27], exec, s[28:29]
; %bb.55:                               ;   in Loop: Header=BB68_2 Depth=1
	ds_read_u8 v58, v61 offset:1
; %bb.56:                               ;   in Loop: Header=BB68_2 Depth=1
	s_or_saveexec_b64 s[26:27], s[26:27]
	v_mov_b32_e32 v59, v57
	s_xor_b64 exec, exec, s[26:27]
	s_cbranch_execz .LBB68_58
; %bb.57:                               ;   in Loop: Header=BB68_2 Depth=1
	ds_read_u8 v59, v60 offset:1
	s_waitcnt lgkmcnt(1)
	v_mov_b32_e32 v58, v56
.LBB68_58:                              ;   in Loop: Header=BB68_2 Depth=1
	s_or_b64 exec, exec, s[26:27]
	v_add_u32_e32 v63, 1, v61
	v_add_u32_e32 v62, 1, v60
	v_cndmask_b32_e64 v64, v63, v61, s[24:25]
	v_cndmask_b32_e64 v62, v60, v62, s[24:25]
	v_cmp_ge_i32_e64 s[26:27], v64, v11
	s_waitcnt lgkmcnt(0)
	v_cmp_lt_i16_sdwa s[28:29], sext(v59), sext(v58) src0_sel:BYTE_0 src1_sel:BYTE_0
	v_cmp_lt_i32_e32 vcc, v62, v12
	s_or_b64 s[26:27], s[26:27], s[28:29]
	s_and_b64 vcc, vcc, s[26:27]
	s_xor_b64 s[26:27], vcc, -1
                                        ; implicit-def: $vgpr60
	s_and_saveexec_b64 s[28:29], s[26:27]
	s_xor_b64 s[26:27], exec, s[28:29]
; %bb.59:                               ;   in Loop: Header=BB68_2 Depth=1
	ds_read_u8 v60, v64 offset:1
; %bb.60:                               ;   in Loop: Header=BB68_2 Depth=1
	s_or_saveexec_b64 s[26:27], s[26:27]
	v_mov_b32_e32 v61, v59
	s_xor_b64 exec, exec, s[26:27]
	s_cbranch_execz .LBB68_62
; %bb.61:                               ;   in Loop: Header=BB68_2 Depth=1
	ds_read_u8 v61, v62 offset:1
	s_waitcnt lgkmcnt(1)
	v_mov_b32_e32 v60, v58
.LBB68_62:                              ;   in Loop: Header=BB68_2 Depth=1
	s_or_b64 exec, exec, s[26:27]
	v_add_u32_e32 v65, 1, v64
	v_add_u32_e32 v63, 1, v62
	v_cndmask_b32_e32 v64, v65, v64, vcc
	v_cndmask_b32_e32 v63, v62, v63, vcc
	v_cmp_ge_i32_e64 s[28:29], v64, v11
	s_waitcnt lgkmcnt(0)
	v_cmp_lt_i16_sdwa s[46:47], sext(v61), sext(v60) src0_sel:BYTE_0 src1_sel:BYTE_0
	v_cmp_lt_i32_e64 s[26:27], v63, v12
	s_or_b64 s[28:29], s[28:29], s[46:47]
	s_and_b64 s[26:27], s[26:27], s[28:29]
	s_xor_b64 s[28:29], s[26:27], -1
                                        ; implicit-def: $vgpr62
	s_and_saveexec_b64 s[46:47], s[28:29]
	s_xor_b64 s[28:29], exec, s[46:47]
; %bb.63:                               ;   in Loop: Header=BB68_2 Depth=1
	ds_read_u8 v62, v64 offset:1
; %bb.64:                               ;   in Loop: Header=BB68_2 Depth=1
	s_or_saveexec_b64 s[28:29], s[28:29]
	v_mov_b32_e32 v65, v61
	s_xor_b64 exec, exec, s[28:29]
	s_cbranch_execz .LBB68_66
; %bb.65:                               ;   in Loop: Header=BB68_2 Depth=1
	ds_read_u8 v65, v63 offset:1
	s_waitcnt lgkmcnt(1)
	v_mov_b32_e32 v62, v60
.LBB68_66:                              ;   in Loop: Header=BB68_2 Depth=1
	s_or_b64 exec, exec, s[28:29]
	v_cndmask_b32_e64 v60, v60, v61, s[26:27]
	v_add_u32_e32 v61, 1, v63
	v_add_u32_e32 v66, 1, v64
	v_cndmask_b32_e64 v61, v63, v61, s[26:27]
	v_cndmask_b32_e64 v63, v66, v64, s[26:27]
	v_cndmask_b32_sdwa v58, v58, v59, vcc dst_sel:BYTE_1 dst_unused:UNUSED_PAD src0_sel:DWORD src1_sel:DWORD
	s_mov_b64 vcc, s[22:23]
	v_cndmask_b32_e64 v50, v50, v51, s[18:19]
	v_cndmask_b32_e64 v48, v48, v49, s[16:17]
	v_cmp_ge_i32_e64 s[16:17], v63, v11
	s_waitcnt lgkmcnt(0)
	v_cmp_lt_i16_sdwa s[18:19], sext(v65), sext(v62) src0_sel:BYTE_0 src1_sel:BYTE_0
	v_cndmask_b32_sdwa v54, v54, v55, vcc dst_sel:BYTE_1 dst_unused:UNUSED_PAD src0_sel:DWORD src1_sel:DWORD
	v_cmp_lt_i32_e32 vcc, v61, v12
	s_or_b64 s[16:17], s[16:17], s[18:19]
	s_and_b64 vcc, vcc, s[16:17]
	v_cndmask_b32_e64 v52, v52, v53, s[20:21]
	v_cndmask_b32_e32 v49, v62, v65, vcc
	v_lshlrev_b16_e32 v50, 8, v50
	v_cndmask_b32_e64 v56, v56, v57, s[24:25]
	v_or_b32_sdwa v48, v48, v50 dst_sel:DWORD dst_unused:UNUSED_PAD src0_sel:BYTE_0 src1_sel:DWORD
	v_or_b32_sdwa v50, v52, v54 dst_sel:WORD_1 dst_unused:UNUSED_PAD src0_sel:BYTE_0 src1_sel:DWORD
	v_lshlrev_b16_e32 v49, 8, v49
	v_or_b32_sdwa v48, v48, v50 dst_sel:DWORD dst_unused:UNUSED_PAD src0_sel:WORD_0 src1_sel:DWORD
	v_or_b32_sdwa v50, v56, v58 dst_sel:DWORD dst_unused:UNUSED_PAD src0_sel:BYTE_0 src1_sel:DWORD
	v_or_b32_sdwa v49, v60, v49 dst_sel:WORD_1 dst_unused:UNUSED_PAD src0_sel:BYTE_0 src1_sel:DWORD
	v_or_b32_sdwa v49, v50, v49 dst_sel:DWORD dst_unused:UNUSED_PAD src0_sel:WORD_0 src1_sel:DWORD
	s_barrier
	ds_write_b64 v1, v[48:49]
	v_mov_b32_e32 v48, v33
	s_waitcnt lgkmcnt(0)
	s_barrier
	s_and_saveexec_b64 s[16:17], s[4:5]
	s_cbranch_execz .LBB68_70
; %bb.67:                               ;   in Loop: Header=BB68_2 Depth=1
	s_mov_b64 s[18:19], 0
	v_mov_b32_e32 v48, v33
	v_mov_b32_e32 v49, v29
.LBB68_68:                              ;   Parent Loop BB68_2 Depth=1
                                        ; =>  This Inner Loop Header: Depth=2
	v_sub_u32_e32 v50, v49, v48
	v_lshrrev_b32_e32 v50, 1, v50
	v_add_u32_e32 v50, v50, v48
	v_add_u32_e32 v51, v4, v50
	v_xad_u32 v52, v50, -1, v25
	ds_read_i8 v51, v51
	ds_read_i8 v52, v52
	v_add_u32_e32 v53, 1, v50
	s_waitcnt lgkmcnt(0)
	v_cmp_lt_i16_e32 vcc, v52, v51
	v_cndmask_b32_e32 v49, v49, v50, vcc
	v_cndmask_b32_e32 v48, v53, v48, vcc
	v_cmp_ge_i32_e32 vcc, v48, v49
	s_or_b64 s[18:19], vcc, s[18:19]
	s_andn2_b64 exec, exec, s[18:19]
	s_cbranch_execnz .LBB68_68
; %bb.69:                               ;   in Loop: Header=BB68_2 Depth=1
	s_or_b64 exec, exec, s[18:19]
.LBB68_70:                              ;   in Loop: Header=BB68_2 Depth=1
	s_or_b64 exec, exec, s[16:17]
	v_add_u32_e32 v52, v48, v4
	v_sub_u32_e32 v53, v25, v48
	ds_read_u8 v48, v52
	ds_read_u8 v49, v53
	v_cmp_le_i32_e64 s[16:17], v13, v52
	v_cmp_gt_i32_e32 vcc, v14, v53
                                        ; implicit-def: $vgpr50
	s_waitcnt lgkmcnt(1)
	v_bfe_i32 v48, v48, 0, 8
	s_waitcnt lgkmcnt(0)
	v_bfe_i32 v49, v49, 0, 8
	v_cmp_lt_i16_e64 s[18:19], v49, v48
	s_or_b64 s[16:17], s[16:17], s[18:19]
	s_and_b64 s[16:17], vcc, s[16:17]
	s_xor_b64 s[18:19], s[16:17], -1
	s_and_saveexec_b64 s[20:21], s[18:19]
	s_xor_b64 s[18:19], exec, s[20:21]
; %bb.71:                               ;   in Loop: Header=BB68_2 Depth=1
	ds_read_u8 v50, v52 offset:1
; %bb.72:                               ;   in Loop: Header=BB68_2 Depth=1
	s_or_saveexec_b64 s[18:19], s[18:19]
	v_mov_b32_e32 v51, v49
	s_xor_b64 exec, exec, s[18:19]
	s_cbranch_execz .LBB68_74
; %bb.73:                               ;   in Loop: Header=BB68_2 Depth=1
	ds_read_u8 v51, v53 offset:1
	s_waitcnt lgkmcnt(1)
	v_mov_b32_e32 v50, v48
.LBB68_74:                              ;   in Loop: Header=BB68_2 Depth=1
	s_or_b64 exec, exec, s[18:19]
	v_add_u32_e32 v55, 1, v52
	v_add_u32_e32 v54, 1, v53
	v_cndmask_b32_e64 v55, v55, v52, s[16:17]
	v_cndmask_b32_e64 v54, v53, v54, s[16:17]
	v_cmp_ge_i32_e64 s[18:19], v55, v13
	s_waitcnt lgkmcnt(0)
	v_cmp_lt_i16_sdwa s[20:21], sext(v51), sext(v50) src0_sel:BYTE_0 src1_sel:BYTE_0
	v_cmp_lt_i32_e32 vcc, v54, v14
	s_or_b64 s[18:19], s[18:19], s[20:21]
	s_and_b64 s[18:19], vcc, s[18:19]
	s_xor_b64 s[20:21], s[18:19], -1
                                        ; implicit-def: $vgpr52
	s_and_saveexec_b64 s[22:23], s[20:21]
	s_xor_b64 s[20:21], exec, s[22:23]
; %bb.75:                               ;   in Loop: Header=BB68_2 Depth=1
	ds_read_u8 v52, v55 offset:1
; %bb.76:                               ;   in Loop: Header=BB68_2 Depth=1
	s_or_saveexec_b64 s[20:21], s[20:21]
	v_mov_b32_e32 v53, v51
	s_xor_b64 exec, exec, s[20:21]
	s_cbranch_execz .LBB68_78
; %bb.77:                               ;   in Loop: Header=BB68_2 Depth=1
	ds_read_u8 v53, v54 offset:1
	s_waitcnt lgkmcnt(1)
	v_mov_b32_e32 v52, v50
.LBB68_78:                              ;   in Loop: Header=BB68_2 Depth=1
	s_or_b64 exec, exec, s[20:21]
	v_add_u32_e32 v57, 1, v55
	v_add_u32_e32 v56, 1, v54
	v_cndmask_b32_e64 v57, v57, v55, s[18:19]
	v_cndmask_b32_e64 v56, v54, v56, s[18:19]
	v_cmp_ge_i32_e64 s[20:21], v57, v13
	s_waitcnt lgkmcnt(0)
	v_cmp_lt_i16_sdwa s[22:23], sext(v53), sext(v52) src0_sel:BYTE_0 src1_sel:BYTE_0
	v_cmp_lt_i32_e32 vcc, v56, v14
	s_or_b64 s[20:21], s[20:21], s[22:23]
	s_and_b64 s[20:21], vcc, s[20:21]
	s_xor_b64 s[22:23], s[20:21], -1
                                        ; implicit-def: $vgpr54
	s_and_saveexec_b64 s[24:25], s[22:23]
	s_xor_b64 s[22:23], exec, s[24:25]
; %bb.79:                               ;   in Loop: Header=BB68_2 Depth=1
	ds_read_u8 v54, v57 offset:1
; %bb.80:                               ;   in Loop: Header=BB68_2 Depth=1
	s_or_saveexec_b64 s[22:23], s[22:23]
	v_mov_b32_e32 v55, v53
	s_xor_b64 exec, exec, s[22:23]
	s_cbranch_execz .LBB68_82
; %bb.81:                               ;   in Loop: Header=BB68_2 Depth=1
	ds_read_u8 v55, v56 offset:1
	s_waitcnt lgkmcnt(1)
	v_mov_b32_e32 v54, v52
.LBB68_82:                              ;   in Loop: Header=BB68_2 Depth=1
	s_or_b64 exec, exec, s[22:23]
	v_add_u32_e32 v59, 1, v57
	v_add_u32_e32 v58, 1, v56
	v_cndmask_b32_e64 v59, v59, v57, s[20:21]
	v_cndmask_b32_e64 v58, v56, v58, s[20:21]
	v_cmp_ge_i32_e64 s[22:23], v59, v13
	s_waitcnt lgkmcnt(0)
	v_cmp_lt_i16_sdwa s[24:25], sext(v55), sext(v54) src0_sel:BYTE_0 src1_sel:BYTE_0
	v_cmp_lt_i32_e32 vcc, v58, v14
	s_or_b64 s[22:23], s[22:23], s[24:25]
	s_and_b64 s[22:23], vcc, s[22:23]
	s_xor_b64 s[24:25], s[22:23], -1
                                        ; implicit-def: $vgpr56
	s_and_saveexec_b64 s[26:27], s[24:25]
	s_xor_b64 s[24:25], exec, s[26:27]
; %bb.83:                               ;   in Loop: Header=BB68_2 Depth=1
	ds_read_u8 v56, v59 offset:1
; %bb.84:                               ;   in Loop: Header=BB68_2 Depth=1
	s_or_saveexec_b64 s[24:25], s[24:25]
	v_mov_b32_e32 v57, v55
	s_xor_b64 exec, exec, s[24:25]
	s_cbranch_execz .LBB68_86
; %bb.85:                               ;   in Loop: Header=BB68_2 Depth=1
	ds_read_u8 v57, v58 offset:1
	s_waitcnt lgkmcnt(1)
	v_mov_b32_e32 v56, v54
.LBB68_86:                              ;   in Loop: Header=BB68_2 Depth=1
	s_or_b64 exec, exec, s[24:25]
	v_add_u32_e32 v61, 1, v59
	v_add_u32_e32 v60, 1, v58
	v_cndmask_b32_e64 v61, v61, v59, s[22:23]
	v_cndmask_b32_e64 v60, v58, v60, s[22:23]
	v_cmp_ge_i32_e64 s[24:25], v61, v13
	s_waitcnt lgkmcnt(0)
	v_cmp_lt_i16_sdwa s[26:27], sext(v57), sext(v56) src0_sel:BYTE_0 src1_sel:BYTE_0
	v_cmp_lt_i32_e32 vcc, v60, v14
	s_or_b64 s[24:25], s[24:25], s[26:27]
	s_and_b64 s[24:25], vcc, s[24:25]
	s_xor_b64 s[26:27], s[24:25], -1
                                        ; implicit-def: $vgpr58
	s_and_saveexec_b64 s[28:29], s[26:27]
	s_xor_b64 s[26:27], exec, s[28:29]
; %bb.87:                               ;   in Loop: Header=BB68_2 Depth=1
	ds_read_u8 v58, v61 offset:1
; %bb.88:                               ;   in Loop: Header=BB68_2 Depth=1
	s_or_saveexec_b64 s[26:27], s[26:27]
	v_mov_b32_e32 v59, v57
	s_xor_b64 exec, exec, s[26:27]
	s_cbranch_execz .LBB68_90
; %bb.89:                               ;   in Loop: Header=BB68_2 Depth=1
	ds_read_u8 v59, v60 offset:1
	s_waitcnt lgkmcnt(1)
	v_mov_b32_e32 v58, v56
.LBB68_90:                              ;   in Loop: Header=BB68_2 Depth=1
	s_or_b64 exec, exec, s[26:27]
	v_add_u32_e32 v63, 1, v61
	v_add_u32_e32 v62, 1, v60
	v_cndmask_b32_e64 v64, v63, v61, s[24:25]
	v_cndmask_b32_e64 v62, v60, v62, s[24:25]
	v_cmp_ge_i32_e64 s[26:27], v64, v13
	s_waitcnt lgkmcnt(0)
	v_cmp_lt_i16_sdwa s[28:29], sext(v59), sext(v58) src0_sel:BYTE_0 src1_sel:BYTE_0
	v_cmp_lt_i32_e32 vcc, v62, v14
	s_or_b64 s[26:27], s[26:27], s[28:29]
	s_and_b64 vcc, vcc, s[26:27]
	s_xor_b64 s[26:27], vcc, -1
                                        ; implicit-def: $vgpr60
	s_and_saveexec_b64 s[28:29], s[26:27]
	s_xor_b64 s[26:27], exec, s[28:29]
; %bb.91:                               ;   in Loop: Header=BB68_2 Depth=1
	ds_read_u8 v60, v64 offset:1
; %bb.92:                               ;   in Loop: Header=BB68_2 Depth=1
	s_or_saveexec_b64 s[26:27], s[26:27]
	v_mov_b32_e32 v61, v59
	s_xor_b64 exec, exec, s[26:27]
	s_cbranch_execz .LBB68_94
; %bb.93:                               ;   in Loop: Header=BB68_2 Depth=1
	ds_read_u8 v61, v62 offset:1
	s_waitcnt lgkmcnt(1)
	v_mov_b32_e32 v60, v58
.LBB68_94:                              ;   in Loop: Header=BB68_2 Depth=1
	s_or_b64 exec, exec, s[26:27]
	v_add_u32_e32 v65, 1, v64
	v_add_u32_e32 v63, 1, v62
	v_cndmask_b32_e32 v64, v65, v64, vcc
	v_cndmask_b32_e32 v63, v62, v63, vcc
	v_cmp_ge_i32_e64 s[28:29], v64, v13
	s_waitcnt lgkmcnt(0)
	v_cmp_lt_i16_sdwa s[46:47], sext(v61), sext(v60) src0_sel:BYTE_0 src1_sel:BYTE_0
	v_cmp_lt_i32_e64 s[26:27], v63, v14
	s_or_b64 s[28:29], s[28:29], s[46:47]
	s_and_b64 s[26:27], s[26:27], s[28:29]
	s_xor_b64 s[28:29], s[26:27], -1
                                        ; implicit-def: $vgpr62
	s_and_saveexec_b64 s[46:47], s[28:29]
	s_xor_b64 s[28:29], exec, s[46:47]
; %bb.95:                               ;   in Loop: Header=BB68_2 Depth=1
	ds_read_u8 v62, v64 offset:1
; %bb.96:                               ;   in Loop: Header=BB68_2 Depth=1
	s_or_saveexec_b64 s[28:29], s[28:29]
	v_mov_b32_e32 v65, v61
	s_xor_b64 exec, exec, s[28:29]
	s_cbranch_execz .LBB68_98
; %bb.97:                               ;   in Loop: Header=BB68_2 Depth=1
	ds_read_u8 v65, v63 offset:1
	s_waitcnt lgkmcnt(1)
	v_mov_b32_e32 v62, v60
.LBB68_98:                              ;   in Loop: Header=BB68_2 Depth=1
	s_or_b64 exec, exec, s[28:29]
	v_cndmask_b32_e64 v60, v60, v61, s[26:27]
	v_add_u32_e32 v61, 1, v63
	v_add_u32_e32 v66, 1, v64
	v_cndmask_b32_e64 v61, v63, v61, s[26:27]
	v_cndmask_b32_e64 v63, v66, v64, s[26:27]
	v_cndmask_b32_sdwa v58, v58, v59, vcc dst_sel:BYTE_1 dst_unused:UNUSED_PAD src0_sel:DWORD src1_sel:DWORD
	s_mov_b64 vcc, s[22:23]
	v_cndmask_b32_e64 v50, v50, v51, s[18:19]
	v_cndmask_b32_e64 v48, v48, v49, s[16:17]
	v_cmp_ge_i32_e64 s[16:17], v63, v13
	s_waitcnt lgkmcnt(0)
	v_cmp_lt_i16_sdwa s[18:19], sext(v65), sext(v62) src0_sel:BYTE_0 src1_sel:BYTE_0
	v_cndmask_b32_sdwa v54, v54, v55, vcc dst_sel:BYTE_1 dst_unused:UNUSED_PAD src0_sel:DWORD src1_sel:DWORD
	v_cmp_lt_i32_e32 vcc, v61, v14
	s_or_b64 s[16:17], s[16:17], s[18:19]
	s_and_b64 vcc, vcc, s[16:17]
	v_cndmask_b32_e64 v52, v52, v53, s[20:21]
	v_cndmask_b32_e32 v49, v62, v65, vcc
	v_lshlrev_b16_e32 v50, 8, v50
	v_cndmask_b32_e64 v56, v56, v57, s[24:25]
	v_or_b32_sdwa v48, v48, v50 dst_sel:DWORD dst_unused:UNUSED_PAD src0_sel:BYTE_0 src1_sel:DWORD
	v_or_b32_sdwa v50, v52, v54 dst_sel:WORD_1 dst_unused:UNUSED_PAD src0_sel:BYTE_0 src1_sel:DWORD
	v_lshlrev_b16_e32 v49, 8, v49
	v_or_b32_sdwa v48, v48, v50 dst_sel:DWORD dst_unused:UNUSED_PAD src0_sel:WORD_0 src1_sel:DWORD
	v_or_b32_sdwa v50, v56, v58 dst_sel:DWORD dst_unused:UNUSED_PAD src0_sel:BYTE_0 src1_sel:DWORD
	v_or_b32_sdwa v49, v60, v49 dst_sel:WORD_1 dst_unused:UNUSED_PAD src0_sel:BYTE_0 src1_sel:DWORD
	v_or_b32_sdwa v49, v50, v49 dst_sel:DWORD dst_unused:UNUSED_PAD src0_sel:WORD_0 src1_sel:DWORD
	s_barrier
	ds_write_b64 v1, v[48:49]
	v_mov_b32_e32 v48, v34
	s_waitcnt lgkmcnt(0)
	s_barrier
	s_and_saveexec_b64 s[16:17], s[6:7]
	s_cbranch_execz .LBB68_102
; %bb.99:                               ;   in Loop: Header=BB68_2 Depth=1
	s_mov_b64 s[18:19], 0
	v_mov_b32_e32 v48, v34
	v_mov_b32_e32 v49, v30
.LBB68_100:                             ;   Parent Loop BB68_2 Depth=1
                                        ; =>  This Inner Loop Header: Depth=2
	v_sub_u32_e32 v50, v49, v48
	v_lshrrev_b32_e32 v50, 1, v50
	v_add_u32_e32 v50, v50, v48
	v_add_u32_e32 v51, v5, v50
	v_xad_u32 v52, v50, -1, v26
	ds_read_i8 v51, v51
	ds_read_i8 v52, v52
	v_add_u32_e32 v53, 1, v50
	s_waitcnt lgkmcnt(0)
	v_cmp_lt_i16_e32 vcc, v52, v51
	v_cndmask_b32_e32 v49, v49, v50, vcc
	v_cndmask_b32_e32 v48, v53, v48, vcc
	v_cmp_ge_i32_e32 vcc, v48, v49
	s_or_b64 s[18:19], vcc, s[18:19]
	s_andn2_b64 exec, exec, s[18:19]
	s_cbranch_execnz .LBB68_100
; %bb.101:                              ;   in Loop: Header=BB68_2 Depth=1
	s_or_b64 exec, exec, s[18:19]
.LBB68_102:                             ;   in Loop: Header=BB68_2 Depth=1
	s_or_b64 exec, exec, s[16:17]
	v_add_u32_e32 v52, v48, v5
	v_sub_u32_e32 v53, v26, v48
	ds_read_u8 v48, v52
	ds_read_u8 v49, v53
	v_cmp_le_i32_e64 s[16:17], v15, v52
	v_cmp_gt_i32_e32 vcc, v16, v53
                                        ; implicit-def: $vgpr50
	s_waitcnt lgkmcnt(1)
	v_bfe_i32 v48, v48, 0, 8
	s_waitcnt lgkmcnt(0)
	v_bfe_i32 v49, v49, 0, 8
	v_cmp_lt_i16_e64 s[18:19], v49, v48
	s_or_b64 s[16:17], s[16:17], s[18:19]
	s_and_b64 s[16:17], vcc, s[16:17]
	s_xor_b64 s[18:19], s[16:17], -1
	s_and_saveexec_b64 s[20:21], s[18:19]
	s_xor_b64 s[18:19], exec, s[20:21]
; %bb.103:                              ;   in Loop: Header=BB68_2 Depth=1
	ds_read_u8 v50, v52 offset:1
; %bb.104:                              ;   in Loop: Header=BB68_2 Depth=1
	s_or_saveexec_b64 s[18:19], s[18:19]
	v_mov_b32_e32 v51, v49
	s_xor_b64 exec, exec, s[18:19]
	s_cbranch_execz .LBB68_106
; %bb.105:                              ;   in Loop: Header=BB68_2 Depth=1
	ds_read_u8 v51, v53 offset:1
	s_waitcnt lgkmcnt(1)
	v_mov_b32_e32 v50, v48
.LBB68_106:                             ;   in Loop: Header=BB68_2 Depth=1
	s_or_b64 exec, exec, s[18:19]
	v_add_u32_e32 v55, 1, v52
	v_add_u32_e32 v54, 1, v53
	v_cndmask_b32_e64 v55, v55, v52, s[16:17]
	v_cndmask_b32_e64 v54, v53, v54, s[16:17]
	v_cmp_ge_i32_e64 s[18:19], v55, v15
	s_waitcnt lgkmcnt(0)
	v_cmp_lt_i16_sdwa s[20:21], sext(v51), sext(v50) src0_sel:BYTE_0 src1_sel:BYTE_0
	v_cmp_lt_i32_e32 vcc, v54, v16
	s_or_b64 s[18:19], s[18:19], s[20:21]
	s_and_b64 s[18:19], vcc, s[18:19]
	s_xor_b64 s[20:21], s[18:19], -1
                                        ; implicit-def: $vgpr52
	s_and_saveexec_b64 s[22:23], s[20:21]
	s_xor_b64 s[20:21], exec, s[22:23]
; %bb.107:                              ;   in Loop: Header=BB68_2 Depth=1
	ds_read_u8 v52, v55 offset:1
; %bb.108:                              ;   in Loop: Header=BB68_2 Depth=1
	s_or_saveexec_b64 s[20:21], s[20:21]
	v_mov_b32_e32 v53, v51
	s_xor_b64 exec, exec, s[20:21]
	s_cbranch_execz .LBB68_110
; %bb.109:                              ;   in Loop: Header=BB68_2 Depth=1
	ds_read_u8 v53, v54 offset:1
	s_waitcnt lgkmcnt(1)
	v_mov_b32_e32 v52, v50
.LBB68_110:                             ;   in Loop: Header=BB68_2 Depth=1
	s_or_b64 exec, exec, s[20:21]
	v_add_u32_e32 v57, 1, v55
	v_add_u32_e32 v56, 1, v54
	v_cndmask_b32_e64 v57, v57, v55, s[18:19]
	v_cndmask_b32_e64 v56, v54, v56, s[18:19]
	v_cmp_ge_i32_e64 s[20:21], v57, v15
	s_waitcnt lgkmcnt(0)
	v_cmp_lt_i16_sdwa s[22:23], sext(v53), sext(v52) src0_sel:BYTE_0 src1_sel:BYTE_0
	v_cmp_lt_i32_e32 vcc, v56, v16
	s_or_b64 s[20:21], s[20:21], s[22:23]
	s_and_b64 s[20:21], vcc, s[20:21]
	s_xor_b64 s[22:23], s[20:21], -1
                                        ; implicit-def: $vgpr54
	s_and_saveexec_b64 s[24:25], s[22:23]
	s_xor_b64 s[22:23], exec, s[24:25]
; %bb.111:                              ;   in Loop: Header=BB68_2 Depth=1
	ds_read_u8 v54, v57 offset:1
; %bb.112:                              ;   in Loop: Header=BB68_2 Depth=1
	s_or_saveexec_b64 s[22:23], s[22:23]
	v_mov_b32_e32 v55, v53
	s_xor_b64 exec, exec, s[22:23]
	s_cbranch_execz .LBB68_114
; %bb.113:                              ;   in Loop: Header=BB68_2 Depth=1
	ds_read_u8 v55, v56 offset:1
	s_waitcnt lgkmcnt(1)
	v_mov_b32_e32 v54, v52
.LBB68_114:                             ;   in Loop: Header=BB68_2 Depth=1
	s_or_b64 exec, exec, s[22:23]
	v_add_u32_e32 v59, 1, v57
	v_add_u32_e32 v58, 1, v56
	v_cndmask_b32_e64 v59, v59, v57, s[20:21]
	v_cndmask_b32_e64 v58, v56, v58, s[20:21]
	v_cmp_ge_i32_e64 s[22:23], v59, v15
	s_waitcnt lgkmcnt(0)
	v_cmp_lt_i16_sdwa s[24:25], sext(v55), sext(v54) src0_sel:BYTE_0 src1_sel:BYTE_0
	v_cmp_lt_i32_e32 vcc, v58, v16
	s_or_b64 s[22:23], s[22:23], s[24:25]
	s_and_b64 s[22:23], vcc, s[22:23]
	s_xor_b64 s[24:25], s[22:23], -1
                                        ; implicit-def: $vgpr56
	s_and_saveexec_b64 s[26:27], s[24:25]
	s_xor_b64 s[24:25], exec, s[26:27]
; %bb.115:                              ;   in Loop: Header=BB68_2 Depth=1
	ds_read_u8 v56, v59 offset:1
; %bb.116:                              ;   in Loop: Header=BB68_2 Depth=1
	s_or_saveexec_b64 s[24:25], s[24:25]
	v_mov_b32_e32 v57, v55
	s_xor_b64 exec, exec, s[24:25]
	s_cbranch_execz .LBB68_118
; %bb.117:                              ;   in Loop: Header=BB68_2 Depth=1
	ds_read_u8 v57, v58 offset:1
	s_waitcnt lgkmcnt(1)
	v_mov_b32_e32 v56, v54
.LBB68_118:                             ;   in Loop: Header=BB68_2 Depth=1
	s_or_b64 exec, exec, s[24:25]
	v_add_u32_e32 v61, 1, v59
	v_add_u32_e32 v60, 1, v58
	v_cndmask_b32_e64 v61, v61, v59, s[22:23]
	v_cndmask_b32_e64 v60, v58, v60, s[22:23]
	v_cmp_ge_i32_e64 s[24:25], v61, v15
	s_waitcnt lgkmcnt(0)
	v_cmp_lt_i16_sdwa s[26:27], sext(v57), sext(v56) src0_sel:BYTE_0 src1_sel:BYTE_0
	v_cmp_lt_i32_e32 vcc, v60, v16
	s_or_b64 s[24:25], s[24:25], s[26:27]
	s_and_b64 s[24:25], vcc, s[24:25]
	s_xor_b64 s[26:27], s[24:25], -1
                                        ; implicit-def: $vgpr58
	s_and_saveexec_b64 s[28:29], s[26:27]
	s_xor_b64 s[26:27], exec, s[28:29]
; %bb.119:                              ;   in Loop: Header=BB68_2 Depth=1
	ds_read_u8 v58, v61 offset:1
; %bb.120:                              ;   in Loop: Header=BB68_2 Depth=1
	s_or_saveexec_b64 s[26:27], s[26:27]
	v_mov_b32_e32 v59, v57
	s_xor_b64 exec, exec, s[26:27]
	s_cbranch_execz .LBB68_122
; %bb.121:                              ;   in Loop: Header=BB68_2 Depth=1
	ds_read_u8 v59, v60 offset:1
	s_waitcnt lgkmcnt(1)
	v_mov_b32_e32 v58, v56
.LBB68_122:                             ;   in Loop: Header=BB68_2 Depth=1
	s_or_b64 exec, exec, s[26:27]
	v_add_u32_e32 v63, 1, v61
	v_add_u32_e32 v62, 1, v60
	v_cndmask_b32_e64 v64, v63, v61, s[24:25]
	v_cndmask_b32_e64 v62, v60, v62, s[24:25]
	v_cmp_ge_i32_e64 s[26:27], v64, v15
	s_waitcnt lgkmcnt(0)
	v_cmp_lt_i16_sdwa s[28:29], sext(v59), sext(v58) src0_sel:BYTE_0 src1_sel:BYTE_0
	v_cmp_lt_i32_e32 vcc, v62, v16
	s_or_b64 s[26:27], s[26:27], s[28:29]
	s_and_b64 vcc, vcc, s[26:27]
	s_xor_b64 s[26:27], vcc, -1
                                        ; implicit-def: $vgpr60
	s_and_saveexec_b64 s[28:29], s[26:27]
	s_xor_b64 s[26:27], exec, s[28:29]
; %bb.123:                              ;   in Loop: Header=BB68_2 Depth=1
	ds_read_u8 v60, v64 offset:1
; %bb.124:                              ;   in Loop: Header=BB68_2 Depth=1
	s_or_saveexec_b64 s[26:27], s[26:27]
	v_mov_b32_e32 v61, v59
	s_xor_b64 exec, exec, s[26:27]
	s_cbranch_execz .LBB68_126
; %bb.125:                              ;   in Loop: Header=BB68_2 Depth=1
	ds_read_u8 v61, v62 offset:1
	s_waitcnt lgkmcnt(1)
	v_mov_b32_e32 v60, v58
.LBB68_126:                             ;   in Loop: Header=BB68_2 Depth=1
	s_or_b64 exec, exec, s[26:27]
	v_add_u32_e32 v65, 1, v64
	v_add_u32_e32 v63, 1, v62
	v_cndmask_b32_e32 v64, v65, v64, vcc
	v_cndmask_b32_e32 v63, v62, v63, vcc
	v_cmp_ge_i32_e64 s[28:29], v64, v15
	s_waitcnt lgkmcnt(0)
	v_cmp_lt_i16_sdwa s[46:47], sext(v61), sext(v60) src0_sel:BYTE_0 src1_sel:BYTE_0
	v_cmp_lt_i32_e64 s[26:27], v63, v16
	s_or_b64 s[28:29], s[28:29], s[46:47]
	s_and_b64 s[26:27], s[26:27], s[28:29]
	s_xor_b64 s[28:29], s[26:27], -1
                                        ; implicit-def: $vgpr62
	s_and_saveexec_b64 s[46:47], s[28:29]
	s_xor_b64 s[28:29], exec, s[46:47]
; %bb.127:                              ;   in Loop: Header=BB68_2 Depth=1
	ds_read_u8 v62, v64 offset:1
; %bb.128:                              ;   in Loop: Header=BB68_2 Depth=1
	s_or_saveexec_b64 s[28:29], s[28:29]
	v_mov_b32_e32 v65, v61
	s_xor_b64 exec, exec, s[28:29]
	s_cbranch_execz .LBB68_130
; %bb.129:                              ;   in Loop: Header=BB68_2 Depth=1
	ds_read_u8 v65, v63 offset:1
	s_waitcnt lgkmcnt(1)
	v_mov_b32_e32 v62, v60
.LBB68_130:                             ;   in Loop: Header=BB68_2 Depth=1
	s_or_b64 exec, exec, s[28:29]
	v_cndmask_b32_e64 v60, v60, v61, s[26:27]
	v_add_u32_e32 v61, 1, v63
	v_add_u32_e32 v66, 1, v64
	v_cndmask_b32_e64 v61, v63, v61, s[26:27]
	v_cndmask_b32_e64 v63, v66, v64, s[26:27]
	v_cndmask_b32_sdwa v58, v58, v59, vcc dst_sel:BYTE_1 dst_unused:UNUSED_PAD src0_sel:DWORD src1_sel:DWORD
	s_mov_b64 vcc, s[22:23]
	v_cndmask_b32_e64 v50, v50, v51, s[18:19]
	v_cndmask_b32_e64 v48, v48, v49, s[16:17]
	v_cmp_ge_i32_e64 s[16:17], v63, v15
	s_waitcnt lgkmcnt(0)
	v_cmp_lt_i16_sdwa s[18:19], sext(v65), sext(v62) src0_sel:BYTE_0 src1_sel:BYTE_0
	v_cndmask_b32_sdwa v54, v54, v55, vcc dst_sel:BYTE_1 dst_unused:UNUSED_PAD src0_sel:DWORD src1_sel:DWORD
	v_cmp_lt_i32_e32 vcc, v61, v16
	s_or_b64 s[16:17], s[16:17], s[18:19]
	s_and_b64 vcc, vcc, s[16:17]
	v_cndmask_b32_e64 v52, v52, v53, s[20:21]
	v_cndmask_b32_e32 v49, v62, v65, vcc
	v_lshlrev_b16_e32 v50, 8, v50
	v_cndmask_b32_e64 v56, v56, v57, s[24:25]
	v_or_b32_sdwa v48, v48, v50 dst_sel:DWORD dst_unused:UNUSED_PAD src0_sel:BYTE_0 src1_sel:DWORD
	v_or_b32_sdwa v50, v52, v54 dst_sel:WORD_1 dst_unused:UNUSED_PAD src0_sel:BYTE_0 src1_sel:DWORD
	v_lshlrev_b16_e32 v49, 8, v49
	v_or_b32_sdwa v48, v48, v50 dst_sel:DWORD dst_unused:UNUSED_PAD src0_sel:WORD_0 src1_sel:DWORD
	v_or_b32_sdwa v50, v56, v58 dst_sel:DWORD dst_unused:UNUSED_PAD src0_sel:BYTE_0 src1_sel:DWORD
	v_or_b32_sdwa v49, v60, v49 dst_sel:WORD_1 dst_unused:UNUSED_PAD src0_sel:BYTE_0 src1_sel:DWORD
	v_or_b32_sdwa v49, v50, v49 dst_sel:DWORD dst_unused:UNUSED_PAD src0_sel:WORD_0 src1_sel:DWORD
	s_barrier
	ds_write_b64 v1, v[48:49]
	v_mov_b32_e32 v48, v35
	s_waitcnt lgkmcnt(0)
	s_barrier
	s_and_saveexec_b64 s[16:17], s[8:9]
	s_cbranch_execz .LBB68_134
; %bb.131:                              ;   in Loop: Header=BB68_2 Depth=1
	s_mov_b64 s[18:19], 0
	v_mov_b32_e32 v48, v35
	v_mov_b32_e32 v49, v36
.LBB68_132:                             ;   Parent Loop BB68_2 Depth=1
                                        ; =>  This Inner Loop Header: Depth=2
	v_sub_u32_e32 v50, v49, v48
	v_lshrrev_b32_e32 v50, 1, v50
	v_add_u32_e32 v50, v50, v48
	v_add_u32_e32 v51, v6, v50
	v_xad_u32 v52, v50, -1, v37
	ds_read_i8 v51, v51
	ds_read_i8 v52, v52
	v_add_u32_e32 v53, 1, v50
	s_waitcnt lgkmcnt(0)
	v_cmp_lt_i16_e32 vcc, v52, v51
	v_cndmask_b32_e32 v49, v49, v50, vcc
	v_cndmask_b32_e32 v48, v53, v48, vcc
	v_cmp_ge_i32_e32 vcc, v48, v49
	s_or_b64 s[18:19], vcc, s[18:19]
	s_andn2_b64 exec, exec, s[18:19]
	s_cbranch_execnz .LBB68_132
; %bb.133:                              ;   in Loop: Header=BB68_2 Depth=1
	s_or_b64 exec, exec, s[18:19]
.LBB68_134:                             ;   in Loop: Header=BB68_2 Depth=1
	s_or_b64 exec, exec, s[16:17]
	v_add_u32_e32 v52, v48, v6
	v_sub_u32_e32 v53, v37, v48
	ds_read_u8 v48, v52
	ds_read_u8 v49, v53
	v_cmp_le_i32_e64 s[16:17], v17, v52
	v_cmp_gt_i32_e32 vcc, v18, v53
                                        ; implicit-def: $vgpr50
	s_waitcnt lgkmcnt(1)
	v_bfe_i32 v48, v48, 0, 8
	s_waitcnt lgkmcnt(0)
	v_bfe_i32 v49, v49, 0, 8
	v_cmp_lt_i16_e64 s[18:19], v49, v48
	s_or_b64 s[16:17], s[16:17], s[18:19]
	s_and_b64 s[16:17], vcc, s[16:17]
	s_xor_b64 s[18:19], s[16:17], -1
	s_and_saveexec_b64 s[20:21], s[18:19]
	s_xor_b64 s[18:19], exec, s[20:21]
; %bb.135:                              ;   in Loop: Header=BB68_2 Depth=1
	ds_read_u8 v50, v52 offset:1
; %bb.136:                              ;   in Loop: Header=BB68_2 Depth=1
	s_or_saveexec_b64 s[18:19], s[18:19]
	v_mov_b32_e32 v51, v49
	s_xor_b64 exec, exec, s[18:19]
	s_cbranch_execz .LBB68_138
; %bb.137:                              ;   in Loop: Header=BB68_2 Depth=1
	ds_read_u8 v51, v53 offset:1
	s_waitcnt lgkmcnt(1)
	v_mov_b32_e32 v50, v48
.LBB68_138:                             ;   in Loop: Header=BB68_2 Depth=1
	s_or_b64 exec, exec, s[18:19]
	v_add_u32_e32 v55, 1, v52
	v_add_u32_e32 v54, 1, v53
	v_cndmask_b32_e64 v55, v55, v52, s[16:17]
	v_cndmask_b32_e64 v54, v53, v54, s[16:17]
	v_cmp_ge_i32_e64 s[18:19], v55, v17
	s_waitcnt lgkmcnt(0)
	v_cmp_lt_i16_sdwa s[20:21], sext(v51), sext(v50) src0_sel:BYTE_0 src1_sel:BYTE_0
	v_cmp_lt_i32_e32 vcc, v54, v18
	s_or_b64 s[18:19], s[18:19], s[20:21]
	s_and_b64 s[18:19], vcc, s[18:19]
	s_xor_b64 s[20:21], s[18:19], -1
                                        ; implicit-def: $vgpr52
	s_and_saveexec_b64 s[22:23], s[20:21]
	s_xor_b64 s[20:21], exec, s[22:23]
; %bb.139:                              ;   in Loop: Header=BB68_2 Depth=1
	ds_read_u8 v52, v55 offset:1
; %bb.140:                              ;   in Loop: Header=BB68_2 Depth=1
	s_or_saveexec_b64 s[20:21], s[20:21]
	v_mov_b32_e32 v53, v51
	s_xor_b64 exec, exec, s[20:21]
	s_cbranch_execz .LBB68_142
; %bb.141:                              ;   in Loop: Header=BB68_2 Depth=1
	ds_read_u8 v53, v54 offset:1
	s_waitcnt lgkmcnt(1)
	v_mov_b32_e32 v52, v50
.LBB68_142:                             ;   in Loop: Header=BB68_2 Depth=1
	s_or_b64 exec, exec, s[20:21]
	v_add_u32_e32 v57, 1, v55
	v_add_u32_e32 v56, 1, v54
	v_cndmask_b32_e64 v57, v57, v55, s[18:19]
	v_cndmask_b32_e64 v56, v54, v56, s[18:19]
	v_cmp_ge_i32_e64 s[20:21], v57, v17
	s_waitcnt lgkmcnt(0)
	v_cmp_lt_i16_sdwa s[22:23], sext(v53), sext(v52) src0_sel:BYTE_0 src1_sel:BYTE_0
	v_cmp_lt_i32_e32 vcc, v56, v18
	s_or_b64 s[20:21], s[20:21], s[22:23]
	s_and_b64 s[20:21], vcc, s[20:21]
	s_xor_b64 s[22:23], s[20:21], -1
                                        ; implicit-def: $vgpr54
	s_and_saveexec_b64 s[24:25], s[22:23]
	s_xor_b64 s[22:23], exec, s[24:25]
; %bb.143:                              ;   in Loop: Header=BB68_2 Depth=1
	ds_read_u8 v54, v57 offset:1
; %bb.144:                              ;   in Loop: Header=BB68_2 Depth=1
	s_or_saveexec_b64 s[22:23], s[22:23]
	v_mov_b32_e32 v55, v53
	s_xor_b64 exec, exec, s[22:23]
	s_cbranch_execz .LBB68_146
; %bb.145:                              ;   in Loop: Header=BB68_2 Depth=1
	ds_read_u8 v55, v56 offset:1
	s_waitcnt lgkmcnt(1)
	v_mov_b32_e32 v54, v52
.LBB68_146:                             ;   in Loop: Header=BB68_2 Depth=1
	s_or_b64 exec, exec, s[22:23]
	v_add_u32_e32 v59, 1, v57
	v_add_u32_e32 v58, 1, v56
	v_cndmask_b32_e64 v59, v59, v57, s[20:21]
	v_cndmask_b32_e64 v58, v56, v58, s[20:21]
	v_cmp_ge_i32_e64 s[22:23], v59, v17
	s_waitcnt lgkmcnt(0)
	v_cmp_lt_i16_sdwa s[24:25], sext(v55), sext(v54) src0_sel:BYTE_0 src1_sel:BYTE_0
	v_cmp_lt_i32_e32 vcc, v58, v18
	s_or_b64 s[22:23], s[22:23], s[24:25]
	s_and_b64 s[22:23], vcc, s[22:23]
	s_xor_b64 s[24:25], s[22:23], -1
                                        ; implicit-def: $vgpr56
	s_and_saveexec_b64 s[26:27], s[24:25]
	s_xor_b64 s[24:25], exec, s[26:27]
; %bb.147:                              ;   in Loop: Header=BB68_2 Depth=1
	ds_read_u8 v56, v59 offset:1
; %bb.148:                              ;   in Loop: Header=BB68_2 Depth=1
	s_or_saveexec_b64 s[24:25], s[24:25]
	v_mov_b32_e32 v57, v55
	s_xor_b64 exec, exec, s[24:25]
	s_cbranch_execz .LBB68_150
; %bb.149:                              ;   in Loop: Header=BB68_2 Depth=1
	ds_read_u8 v57, v58 offset:1
	s_waitcnt lgkmcnt(1)
	v_mov_b32_e32 v56, v54
.LBB68_150:                             ;   in Loop: Header=BB68_2 Depth=1
	s_or_b64 exec, exec, s[24:25]
	v_add_u32_e32 v61, 1, v59
	v_add_u32_e32 v60, 1, v58
	v_cndmask_b32_e64 v61, v61, v59, s[22:23]
	v_cndmask_b32_e64 v60, v58, v60, s[22:23]
	v_cmp_ge_i32_e64 s[24:25], v61, v17
	s_waitcnt lgkmcnt(0)
	v_cmp_lt_i16_sdwa s[26:27], sext(v57), sext(v56) src0_sel:BYTE_0 src1_sel:BYTE_0
	v_cmp_lt_i32_e32 vcc, v60, v18
	s_or_b64 s[24:25], s[24:25], s[26:27]
	s_and_b64 s[24:25], vcc, s[24:25]
	s_xor_b64 s[26:27], s[24:25], -1
                                        ; implicit-def: $vgpr58
	s_and_saveexec_b64 s[28:29], s[26:27]
	s_xor_b64 s[26:27], exec, s[28:29]
; %bb.151:                              ;   in Loop: Header=BB68_2 Depth=1
	ds_read_u8 v58, v61 offset:1
; %bb.152:                              ;   in Loop: Header=BB68_2 Depth=1
	s_or_saveexec_b64 s[26:27], s[26:27]
	v_mov_b32_e32 v59, v57
	s_xor_b64 exec, exec, s[26:27]
	s_cbranch_execz .LBB68_154
; %bb.153:                              ;   in Loop: Header=BB68_2 Depth=1
	ds_read_u8 v59, v60 offset:1
	s_waitcnt lgkmcnt(1)
	v_mov_b32_e32 v58, v56
.LBB68_154:                             ;   in Loop: Header=BB68_2 Depth=1
	s_or_b64 exec, exec, s[26:27]
	v_add_u32_e32 v63, 1, v61
	v_add_u32_e32 v62, 1, v60
	v_cndmask_b32_e64 v64, v63, v61, s[24:25]
	v_cndmask_b32_e64 v62, v60, v62, s[24:25]
	v_cmp_ge_i32_e64 s[26:27], v64, v17
	s_waitcnt lgkmcnt(0)
	v_cmp_lt_i16_sdwa s[28:29], sext(v59), sext(v58) src0_sel:BYTE_0 src1_sel:BYTE_0
	v_cmp_lt_i32_e32 vcc, v62, v18
	s_or_b64 s[26:27], s[26:27], s[28:29]
	s_and_b64 vcc, vcc, s[26:27]
	s_xor_b64 s[26:27], vcc, -1
                                        ; implicit-def: $vgpr60
	s_and_saveexec_b64 s[28:29], s[26:27]
	s_xor_b64 s[26:27], exec, s[28:29]
; %bb.155:                              ;   in Loop: Header=BB68_2 Depth=1
	ds_read_u8 v60, v64 offset:1
; %bb.156:                              ;   in Loop: Header=BB68_2 Depth=1
	s_or_saveexec_b64 s[26:27], s[26:27]
	v_mov_b32_e32 v61, v59
	s_xor_b64 exec, exec, s[26:27]
	s_cbranch_execz .LBB68_158
; %bb.157:                              ;   in Loop: Header=BB68_2 Depth=1
	ds_read_u8 v61, v62 offset:1
	s_waitcnt lgkmcnt(1)
	v_mov_b32_e32 v60, v58
.LBB68_158:                             ;   in Loop: Header=BB68_2 Depth=1
	s_or_b64 exec, exec, s[26:27]
	v_add_u32_e32 v65, 1, v64
	v_add_u32_e32 v63, 1, v62
	v_cndmask_b32_e32 v64, v65, v64, vcc
	v_cndmask_b32_e32 v63, v62, v63, vcc
	v_cmp_ge_i32_e64 s[28:29], v64, v17
	s_waitcnt lgkmcnt(0)
	v_cmp_lt_i16_sdwa s[46:47], sext(v61), sext(v60) src0_sel:BYTE_0 src1_sel:BYTE_0
	v_cmp_lt_i32_e64 s[26:27], v63, v18
	s_or_b64 s[28:29], s[28:29], s[46:47]
	s_and_b64 s[26:27], s[26:27], s[28:29]
	s_xor_b64 s[28:29], s[26:27], -1
                                        ; implicit-def: $vgpr62
	s_and_saveexec_b64 s[46:47], s[28:29]
	s_xor_b64 s[28:29], exec, s[46:47]
; %bb.159:                              ;   in Loop: Header=BB68_2 Depth=1
	ds_read_u8 v62, v64 offset:1
; %bb.160:                              ;   in Loop: Header=BB68_2 Depth=1
	s_or_saveexec_b64 s[28:29], s[28:29]
	v_mov_b32_e32 v65, v61
	s_xor_b64 exec, exec, s[28:29]
	s_cbranch_execz .LBB68_162
; %bb.161:                              ;   in Loop: Header=BB68_2 Depth=1
	ds_read_u8 v65, v63 offset:1
	s_waitcnt lgkmcnt(1)
	v_mov_b32_e32 v62, v60
.LBB68_162:                             ;   in Loop: Header=BB68_2 Depth=1
	s_or_b64 exec, exec, s[28:29]
	v_cndmask_b32_e64 v60, v60, v61, s[26:27]
	v_add_u32_e32 v61, 1, v63
	v_add_u32_e32 v66, 1, v64
	v_cndmask_b32_e64 v61, v63, v61, s[26:27]
	v_cndmask_b32_e64 v63, v66, v64, s[26:27]
	v_cndmask_b32_sdwa v58, v58, v59, vcc dst_sel:BYTE_1 dst_unused:UNUSED_PAD src0_sel:DWORD src1_sel:DWORD
	s_mov_b64 vcc, s[22:23]
	v_cndmask_b32_e64 v50, v50, v51, s[18:19]
	v_cndmask_b32_e64 v48, v48, v49, s[16:17]
	v_cmp_ge_i32_e64 s[16:17], v63, v17
	s_waitcnt lgkmcnt(0)
	v_cmp_lt_i16_sdwa s[18:19], sext(v65), sext(v62) src0_sel:BYTE_0 src1_sel:BYTE_0
	v_cndmask_b32_sdwa v54, v54, v55, vcc dst_sel:BYTE_1 dst_unused:UNUSED_PAD src0_sel:DWORD src1_sel:DWORD
	v_cmp_lt_i32_e32 vcc, v61, v18
	s_or_b64 s[16:17], s[16:17], s[18:19]
	s_and_b64 vcc, vcc, s[16:17]
	v_cndmask_b32_e64 v52, v52, v53, s[20:21]
	v_cndmask_b32_e32 v49, v62, v65, vcc
	v_lshlrev_b16_e32 v50, 8, v50
	v_cndmask_b32_e64 v56, v56, v57, s[24:25]
	v_or_b32_sdwa v48, v48, v50 dst_sel:DWORD dst_unused:UNUSED_PAD src0_sel:BYTE_0 src1_sel:DWORD
	v_or_b32_sdwa v50, v52, v54 dst_sel:WORD_1 dst_unused:UNUSED_PAD src0_sel:BYTE_0 src1_sel:DWORD
	v_lshlrev_b16_e32 v49, 8, v49
	v_or_b32_sdwa v48, v48, v50 dst_sel:DWORD dst_unused:UNUSED_PAD src0_sel:WORD_0 src1_sel:DWORD
	v_or_b32_sdwa v50, v56, v58 dst_sel:DWORD dst_unused:UNUSED_PAD src0_sel:BYTE_0 src1_sel:DWORD
	v_or_b32_sdwa v49, v60, v49 dst_sel:WORD_1 dst_unused:UNUSED_PAD src0_sel:BYTE_0 src1_sel:DWORD
	v_or_b32_sdwa v49, v50, v49 dst_sel:DWORD dst_unused:UNUSED_PAD src0_sel:WORD_0 src1_sel:DWORD
	s_barrier
	ds_write_b64 v1, v[48:49]
	v_mov_b32_e32 v48, v38
	s_waitcnt lgkmcnt(0)
	s_barrier
	s_and_saveexec_b64 s[16:17], s[10:11]
	s_cbranch_execz .LBB68_166
; %bb.163:                              ;   in Loop: Header=BB68_2 Depth=1
	s_mov_b64 s[18:19], 0
	v_mov_b32_e32 v48, v38
	v_mov_b32_e32 v49, v39
.LBB68_164:                             ;   Parent Loop BB68_2 Depth=1
                                        ; =>  This Inner Loop Header: Depth=2
	v_sub_u32_e32 v50, v49, v48
	v_lshrrev_b32_e32 v50, 1, v50
	v_add_u32_e32 v50, v50, v48
	v_add_u32_e32 v51, v7, v50
	v_xad_u32 v52, v50, -1, v40
	ds_read_i8 v51, v51
	ds_read_i8 v52, v52
	v_add_u32_e32 v53, 1, v50
	s_waitcnt lgkmcnt(0)
	v_cmp_lt_i16_e32 vcc, v52, v51
	v_cndmask_b32_e32 v49, v49, v50, vcc
	v_cndmask_b32_e32 v48, v53, v48, vcc
	v_cmp_ge_i32_e32 vcc, v48, v49
	s_or_b64 s[18:19], vcc, s[18:19]
	s_andn2_b64 exec, exec, s[18:19]
	s_cbranch_execnz .LBB68_164
; %bb.165:                              ;   in Loop: Header=BB68_2 Depth=1
	s_or_b64 exec, exec, s[18:19]
.LBB68_166:                             ;   in Loop: Header=BB68_2 Depth=1
	s_or_b64 exec, exec, s[16:17]
	v_add_u32_e32 v52, v48, v7
	v_sub_u32_e32 v53, v40, v48
	ds_read_u8 v48, v52
	ds_read_u8 v49, v53
	v_cmp_le_i32_e64 s[16:17], v19, v52
	v_cmp_gt_i32_e32 vcc, v20, v53
                                        ; implicit-def: $vgpr50
	s_waitcnt lgkmcnt(1)
	v_bfe_i32 v48, v48, 0, 8
	s_waitcnt lgkmcnt(0)
	v_bfe_i32 v49, v49, 0, 8
	v_cmp_lt_i16_e64 s[18:19], v49, v48
	s_or_b64 s[16:17], s[16:17], s[18:19]
	s_and_b64 s[16:17], vcc, s[16:17]
	s_xor_b64 s[18:19], s[16:17], -1
	s_and_saveexec_b64 s[20:21], s[18:19]
	s_xor_b64 s[18:19], exec, s[20:21]
; %bb.167:                              ;   in Loop: Header=BB68_2 Depth=1
	ds_read_u8 v50, v52 offset:1
; %bb.168:                              ;   in Loop: Header=BB68_2 Depth=1
	s_or_saveexec_b64 s[18:19], s[18:19]
	v_mov_b32_e32 v51, v49
	s_xor_b64 exec, exec, s[18:19]
	s_cbranch_execz .LBB68_170
; %bb.169:                              ;   in Loop: Header=BB68_2 Depth=1
	ds_read_u8 v51, v53 offset:1
	s_waitcnt lgkmcnt(1)
	v_mov_b32_e32 v50, v48
.LBB68_170:                             ;   in Loop: Header=BB68_2 Depth=1
	s_or_b64 exec, exec, s[18:19]
	v_add_u32_e32 v55, 1, v52
	v_add_u32_e32 v54, 1, v53
	v_cndmask_b32_e64 v55, v55, v52, s[16:17]
	v_cndmask_b32_e64 v54, v53, v54, s[16:17]
	v_cmp_ge_i32_e64 s[18:19], v55, v19
	s_waitcnt lgkmcnt(0)
	v_cmp_lt_i16_sdwa s[20:21], sext(v51), sext(v50) src0_sel:BYTE_0 src1_sel:BYTE_0
	v_cmp_lt_i32_e32 vcc, v54, v20
	s_or_b64 s[18:19], s[18:19], s[20:21]
	s_and_b64 s[18:19], vcc, s[18:19]
	s_xor_b64 s[20:21], s[18:19], -1
                                        ; implicit-def: $vgpr52
	s_and_saveexec_b64 s[22:23], s[20:21]
	s_xor_b64 s[20:21], exec, s[22:23]
; %bb.171:                              ;   in Loop: Header=BB68_2 Depth=1
	ds_read_u8 v52, v55 offset:1
; %bb.172:                              ;   in Loop: Header=BB68_2 Depth=1
	s_or_saveexec_b64 s[20:21], s[20:21]
	v_mov_b32_e32 v53, v51
	s_xor_b64 exec, exec, s[20:21]
	s_cbranch_execz .LBB68_174
; %bb.173:                              ;   in Loop: Header=BB68_2 Depth=1
	ds_read_u8 v53, v54 offset:1
	s_waitcnt lgkmcnt(1)
	v_mov_b32_e32 v52, v50
.LBB68_174:                             ;   in Loop: Header=BB68_2 Depth=1
	s_or_b64 exec, exec, s[20:21]
	v_add_u32_e32 v57, 1, v55
	v_add_u32_e32 v56, 1, v54
	v_cndmask_b32_e64 v57, v57, v55, s[18:19]
	v_cndmask_b32_e64 v56, v54, v56, s[18:19]
	v_cmp_ge_i32_e64 s[20:21], v57, v19
	s_waitcnt lgkmcnt(0)
	v_cmp_lt_i16_sdwa s[22:23], sext(v53), sext(v52) src0_sel:BYTE_0 src1_sel:BYTE_0
	v_cmp_lt_i32_e32 vcc, v56, v20
	s_or_b64 s[20:21], s[20:21], s[22:23]
	s_and_b64 s[20:21], vcc, s[20:21]
	s_xor_b64 s[22:23], s[20:21], -1
                                        ; implicit-def: $vgpr54
	s_and_saveexec_b64 s[24:25], s[22:23]
	s_xor_b64 s[22:23], exec, s[24:25]
; %bb.175:                              ;   in Loop: Header=BB68_2 Depth=1
	ds_read_u8 v54, v57 offset:1
; %bb.176:                              ;   in Loop: Header=BB68_2 Depth=1
	s_or_saveexec_b64 s[22:23], s[22:23]
	v_mov_b32_e32 v55, v53
	s_xor_b64 exec, exec, s[22:23]
	s_cbranch_execz .LBB68_178
; %bb.177:                              ;   in Loop: Header=BB68_2 Depth=1
	ds_read_u8 v55, v56 offset:1
	s_waitcnt lgkmcnt(1)
	v_mov_b32_e32 v54, v52
.LBB68_178:                             ;   in Loop: Header=BB68_2 Depth=1
	s_or_b64 exec, exec, s[22:23]
	v_add_u32_e32 v59, 1, v57
	v_add_u32_e32 v58, 1, v56
	v_cndmask_b32_e64 v59, v59, v57, s[20:21]
	v_cndmask_b32_e64 v58, v56, v58, s[20:21]
	v_cmp_ge_i32_e64 s[22:23], v59, v19
	s_waitcnt lgkmcnt(0)
	v_cmp_lt_i16_sdwa s[24:25], sext(v55), sext(v54) src0_sel:BYTE_0 src1_sel:BYTE_0
	v_cmp_lt_i32_e32 vcc, v58, v20
	s_or_b64 s[22:23], s[22:23], s[24:25]
	s_and_b64 s[22:23], vcc, s[22:23]
	s_xor_b64 s[24:25], s[22:23], -1
                                        ; implicit-def: $vgpr56
	s_and_saveexec_b64 s[26:27], s[24:25]
	s_xor_b64 s[24:25], exec, s[26:27]
; %bb.179:                              ;   in Loop: Header=BB68_2 Depth=1
	ds_read_u8 v56, v59 offset:1
; %bb.180:                              ;   in Loop: Header=BB68_2 Depth=1
	s_or_saveexec_b64 s[24:25], s[24:25]
	v_mov_b32_e32 v57, v55
	s_xor_b64 exec, exec, s[24:25]
	s_cbranch_execz .LBB68_182
; %bb.181:                              ;   in Loop: Header=BB68_2 Depth=1
	ds_read_u8 v57, v58 offset:1
	s_waitcnt lgkmcnt(1)
	v_mov_b32_e32 v56, v54
.LBB68_182:                             ;   in Loop: Header=BB68_2 Depth=1
	s_or_b64 exec, exec, s[24:25]
	v_add_u32_e32 v61, 1, v59
	v_add_u32_e32 v60, 1, v58
	v_cndmask_b32_e64 v61, v61, v59, s[22:23]
	v_cndmask_b32_e64 v60, v58, v60, s[22:23]
	v_cmp_ge_i32_e64 s[24:25], v61, v19
	s_waitcnt lgkmcnt(0)
	v_cmp_lt_i16_sdwa s[26:27], sext(v57), sext(v56) src0_sel:BYTE_0 src1_sel:BYTE_0
	v_cmp_lt_i32_e32 vcc, v60, v20
	s_or_b64 s[24:25], s[24:25], s[26:27]
	s_and_b64 s[24:25], vcc, s[24:25]
	s_xor_b64 s[26:27], s[24:25], -1
                                        ; implicit-def: $vgpr58
	s_and_saveexec_b64 s[28:29], s[26:27]
	s_xor_b64 s[26:27], exec, s[28:29]
; %bb.183:                              ;   in Loop: Header=BB68_2 Depth=1
	ds_read_u8 v58, v61 offset:1
; %bb.184:                              ;   in Loop: Header=BB68_2 Depth=1
	s_or_saveexec_b64 s[26:27], s[26:27]
	v_mov_b32_e32 v59, v57
	s_xor_b64 exec, exec, s[26:27]
	s_cbranch_execz .LBB68_186
; %bb.185:                              ;   in Loop: Header=BB68_2 Depth=1
	ds_read_u8 v59, v60 offset:1
	s_waitcnt lgkmcnt(1)
	v_mov_b32_e32 v58, v56
.LBB68_186:                             ;   in Loop: Header=BB68_2 Depth=1
	s_or_b64 exec, exec, s[26:27]
	v_add_u32_e32 v63, 1, v61
	v_add_u32_e32 v62, 1, v60
	v_cndmask_b32_e64 v64, v63, v61, s[24:25]
	v_cndmask_b32_e64 v62, v60, v62, s[24:25]
	v_cmp_ge_i32_e64 s[26:27], v64, v19
	s_waitcnt lgkmcnt(0)
	v_cmp_lt_i16_sdwa s[28:29], sext(v59), sext(v58) src0_sel:BYTE_0 src1_sel:BYTE_0
	v_cmp_lt_i32_e32 vcc, v62, v20
	s_or_b64 s[26:27], s[26:27], s[28:29]
	s_and_b64 vcc, vcc, s[26:27]
	s_xor_b64 s[26:27], vcc, -1
                                        ; implicit-def: $vgpr60
	s_and_saveexec_b64 s[28:29], s[26:27]
	s_xor_b64 s[26:27], exec, s[28:29]
; %bb.187:                              ;   in Loop: Header=BB68_2 Depth=1
	ds_read_u8 v60, v64 offset:1
; %bb.188:                              ;   in Loop: Header=BB68_2 Depth=1
	s_or_saveexec_b64 s[26:27], s[26:27]
	v_mov_b32_e32 v61, v59
	s_xor_b64 exec, exec, s[26:27]
	s_cbranch_execz .LBB68_190
; %bb.189:                              ;   in Loop: Header=BB68_2 Depth=1
	ds_read_u8 v61, v62 offset:1
	s_waitcnt lgkmcnt(1)
	v_mov_b32_e32 v60, v58
.LBB68_190:                             ;   in Loop: Header=BB68_2 Depth=1
	s_or_b64 exec, exec, s[26:27]
	v_add_u32_e32 v65, 1, v64
	v_add_u32_e32 v63, 1, v62
	v_cndmask_b32_e32 v64, v65, v64, vcc
	v_cndmask_b32_e32 v63, v62, v63, vcc
	v_cmp_ge_i32_e64 s[28:29], v64, v19
	s_waitcnt lgkmcnt(0)
	v_cmp_lt_i16_sdwa s[46:47], sext(v61), sext(v60) src0_sel:BYTE_0 src1_sel:BYTE_0
	v_cmp_lt_i32_e64 s[26:27], v63, v20
	s_or_b64 s[28:29], s[28:29], s[46:47]
	s_and_b64 s[26:27], s[26:27], s[28:29]
	s_xor_b64 s[28:29], s[26:27], -1
                                        ; implicit-def: $vgpr62
	s_and_saveexec_b64 s[46:47], s[28:29]
	s_xor_b64 s[28:29], exec, s[46:47]
; %bb.191:                              ;   in Loop: Header=BB68_2 Depth=1
	ds_read_u8 v62, v64 offset:1
; %bb.192:                              ;   in Loop: Header=BB68_2 Depth=1
	s_or_saveexec_b64 s[28:29], s[28:29]
	v_mov_b32_e32 v65, v61
	s_xor_b64 exec, exec, s[28:29]
	s_cbranch_execz .LBB68_194
; %bb.193:                              ;   in Loop: Header=BB68_2 Depth=1
	ds_read_u8 v65, v63 offset:1
	s_waitcnt lgkmcnt(1)
	v_mov_b32_e32 v62, v60
.LBB68_194:                             ;   in Loop: Header=BB68_2 Depth=1
	s_or_b64 exec, exec, s[28:29]
	v_cndmask_b32_e64 v60, v60, v61, s[26:27]
	v_add_u32_e32 v61, 1, v63
	v_add_u32_e32 v66, 1, v64
	v_cndmask_b32_e64 v61, v63, v61, s[26:27]
	v_cndmask_b32_e64 v63, v66, v64, s[26:27]
	v_cndmask_b32_sdwa v58, v58, v59, vcc dst_sel:BYTE_1 dst_unused:UNUSED_PAD src0_sel:DWORD src1_sel:DWORD
	s_mov_b64 vcc, s[22:23]
	v_cndmask_b32_e64 v50, v50, v51, s[18:19]
	v_cndmask_b32_e64 v48, v48, v49, s[16:17]
	v_cmp_ge_i32_e64 s[16:17], v63, v19
	s_waitcnt lgkmcnt(0)
	v_cmp_lt_i16_sdwa s[18:19], sext(v65), sext(v62) src0_sel:BYTE_0 src1_sel:BYTE_0
	v_cndmask_b32_sdwa v54, v54, v55, vcc dst_sel:BYTE_1 dst_unused:UNUSED_PAD src0_sel:DWORD src1_sel:DWORD
	v_cmp_lt_i32_e32 vcc, v61, v20
	s_or_b64 s[16:17], s[16:17], s[18:19]
	s_and_b64 vcc, vcc, s[16:17]
	v_cndmask_b32_e64 v52, v52, v53, s[20:21]
	v_cndmask_b32_e32 v49, v62, v65, vcc
	v_lshlrev_b16_e32 v50, 8, v50
	v_cndmask_b32_e64 v56, v56, v57, s[24:25]
	v_or_b32_sdwa v48, v48, v50 dst_sel:DWORD dst_unused:UNUSED_PAD src0_sel:BYTE_0 src1_sel:DWORD
	v_or_b32_sdwa v50, v52, v54 dst_sel:WORD_1 dst_unused:UNUSED_PAD src0_sel:BYTE_0 src1_sel:DWORD
	v_lshlrev_b16_e32 v49, 8, v49
	v_or_b32_sdwa v48, v48, v50 dst_sel:DWORD dst_unused:UNUSED_PAD src0_sel:WORD_0 src1_sel:DWORD
	v_or_b32_sdwa v50, v56, v58 dst_sel:DWORD dst_unused:UNUSED_PAD src0_sel:BYTE_0 src1_sel:DWORD
	v_or_b32_sdwa v49, v60, v49 dst_sel:WORD_1 dst_unused:UNUSED_PAD src0_sel:BYTE_0 src1_sel:DWORD
	v_or_b32_sdwa v49, v50, v49 dst_sel:DWORD dst_unused:UNUSED_PAD src0_sel:WORD_0 src1_sel:DWORD
	s_barrier
	ds_write_b64 v1, v[48:49]
	v_mov_b32_e32 v48, v41
	s_waitcnt lgkmcnt(0)
	s_barrier
	s_and_saveexec_b64 s[16:17], s[12:13]
	s_cbranch_execz .LBB68_198
; %bb.195:                              ;   in Loop: Header=BB68_2 Depth=1
	s_mov_b64 s[18:19], 0
	v_mov_b32_e32 v48, v41
	v_mov_b32_e32 v49, v42
.LBB68_196:                             ;   Parent Loop BB68_2 Depth=1
                                        ; =>  This Inner Loop Header: Depth=2
	v_sub_u32_e32 v50, v49, v48
	v_lshrrev_b32_e32 v50, 1, v50
	v_add_u32_e32 v50, v50, v48
	v_add_u32_e32 v51, v8, v50
	v_xad_u32 v52, v50, -1, v43
	ds_read_i8 v51, v51
	ds_read_i8 v52, v52
	v_add_u32_e32 v53, 1, v50
	s_waitcnt lgkmcnt(0)
	v_cmp_lt_i16_e32 vcc, v52, v51
	v_cndmask_b32_e32 v49, v49, v50, vcc
	v_cndmask_b32_e32 v48, v53, v48, vcc
	v_cmp_ge_i32_e32 vcc, v48, v49
	s_or_b64 s[18:19], vcc, s[18:19]
	s_andn2_b64 exec, exec, s[18:19]
	s_cbranch_execnz .LBB68_196
; %bb.197:                              ;   in Loop: Header=BB68_2 Depth=1
	s_or_b64 exec, exec, s[18:19]
.LBB68_198:                             ;   in Loop: Header=BB68_2 Depth=1
	s_or_b64 exec, exec, s[16:17]
	v_add_u32_e32 v52, v48, v8
	v_sub_u32_e32 v53, v43, v48
	ds_read_u8 v48, v52
	ds_read_u8 v49, v53
	v_cmp_le_i32_e64 s[16:17], v21, v52
	v_cmp_gt_i32_e32 vcc, v22, v53
                                        ; implicit-def: $vgpr50
	s_waitcnt lgkmcnt(1)
	v_bfe_i32 v48, v48, 0, 8
	s_waitcnt lgkmcnt(0)
	v_bfe_i32 v49, v49, 0, 8
	v_cmp_lt_i16_e64 s[18:19], v49, v48
	s_or_b64 s[16:17], s[16:17], s[18:19]
	s_and_b64 s[16:17], vcc, s[16:17]
	s_xor_b64 s[18:19], s[16:17], -1
	s_and_saveexec_b64 s[20:21], s[18:19]
	s_xor_b64 s[18:19], exec, s[20:21]
; %bb.199:                              ;   in Loop: Header=BB68_2 Depth=1
	ds_read_u8 v50, v52 offset:1
; %bb.200:                              ;   in Loop: Header=BB68_2 Depth=1
	s_or_saveexec_b64 s[18:19], s[18:19]
	v_mov_b32_e32 v51, v49
	s_xor_b64 exec, exec, s[18:19]
	s_cbranch_execz .LBB68_202
; %bb.201:                              ;   in Loop: Header=BB68_2 Depth=1
	ds_read_u8 v51, v53 offset:1
	s_waitcnt lgkmcnt(1)
	v_mov_b32_e32 v50, v48
.LBB68_202:                             ;   in Loop: Header=BB68_2 Depth=1
	s_or_b64 exec, exec, s[18:19]
	v_add_u32_e32 v55, 1, v52
	v_add_u32_e32 v54, 1, v53
	v_cndmask_b32_e64 v55, v55, v52, s[16:17]
	v_cndmask_b32_e64 v54, v53, v54, s[16:17]
	v_cmp_ge_i32_e64 s[18:19], v55, v21
	s_waitcnt lgkmcnt(0)
	v_cmp_lt_i16_sdwa s[20:21], sext(v51), sext(v50) src0_sel:BYTE_0 src1_sel:BYTE_0
	v_cmp_lt_i32_e32 vcc, v54, v22
	s_or_b64 s[18:19], s[18:19], s[20:21]
	s_and_b64 s[18:19], vcc, s[18:19]
	s_xor_b64 s[20:21], s[18:19], -1
                                        ; implicit-def: $vgpr52
	s_and_saveexec_b64 s[22:23], s[20:21]
	s_xor_b64 s[20:21], exec, s[22:23]
; %bb.203:                              ;   in Loop: Header=BB68_2 Depth=1
	ds_read_u8 v52, v55 offset:1
; %bb.204:                              ;   in Loop: Header=BB68_2 Depth=1
	s_or_saveexec_b64 s[20:21], s[20:21]
	v_mov_b32_e32 v53, v51
	s_xor_b64 exec, exec, s[20:21]
	s_cbranch_execz .LBB68_206
; %bb.205:                              ;   in Loop: Header=BB68_2 Depth=1
	ds_read_u8 v53, v54 offset:1
	s_waitcnt lgkmcnt(1)
	v_mov_b32_e32 v52, v50
.LBB68_206:                             ;   in Loop: Header=BB68_2 Depth=1
	s_or_b64 exec, exec, s[20:21]
	v_add_u32_e32 v57, 1, v55
	v_add_u32_e32 v56, 1, v54
	v_cndmask_b32_e64 v57, v57, v55, s[18:19]
	v_cndmask_b32_e64 v56, v54, v56, s[18:19]
	v_cmp_ge_i32_e64 s[20:21], v57, v21
	s_waitcnt lgkmcnt(0)
	v_cmp_lt_i16_sdwa s[22:23], sext(v53), sext(v52) src0_sel:BYTE_0 src1_sel:BYTE_0
	v_cmp_lt_i32_e32 vcc, v56, v22
	s_or_b64 s[20:21], s[20:21], s[22:23]
	s_and_b64 s[20:21], vcc, s[20:21]
	s_xor_b64 s[22:23], s[20:21], -1
                                        ; implicit-def: $vgpr54
	s_and_saveexec_b64 s[24:25], s[22:23]
	s_xor_b64 s[22:23], exec, s[24:25]
; %bb.207:                              ;   in Loop: Header=BB68_2 Depth=1
	ds_read_u8 v54, v57 offset:1
; %bb.208:                              ;   in Loop: Header=BB68_2 Depth=1
	s_or_saveexec_b64 s[22:23], s[22:23]
	v_mov_b32_e32 v55, v53
	s_xor_b64 exec, exec, s[22:23]
	s_cbranch_execz .LBB68_210
; %bb.209:                              ;   in Loop: Header=BB68_2 Depth=1
	ds_read_u8 v55, v56 offset:1
	s_waitcnt lgkmcnt(1)
	v_mov_b32_e32 v54, v52
.LBB68_210:                             ;   in Loop: Header=BB68_2 Depth=1
	s_or_b64 exec, exec, s[22:23]
	v_add_u32_e32 v59, 1, v57
	v_add_u32_e32 v58, 1, v56
	v_cndmask_b32_e64 v59, v59, v57, s[20:21]
	v_cndmask_b32_e64 v58, v56, v58, s[20:21]
	v_cmp_ge_i32_e64 s[22:23], v59, v21
	s_waitcnt lgkmcnt(0)
	v_cmp_lt_i16_sdwa s[24:25], sext(v55), sext(v54) src0_sel:BYTE_0 src1_sel:BYTE_0
	v_cmp_lt_i32_e32 vcc, v58, v22
	s_or_b64 s[22:23], s[22:23], s[24:25]
	s_and_b64 s[22:23], vcc, s[22:23]
	s_xor_b64 s[24:25], s[22:23], -1
                                        ; implicit-def: $vgpr56
	s_and_saveexec_b64 s[26:27], s[24:25]
	s_xor_b64 s[24:25], exec, s[26:27]
; %bb.211:                              ;   in Loop: Header=BB68_2 Depth=1
	ds_read_u8 v56, v59 offset:1
; %bb.212:                              ;   in Loop: Header=BB68_2 Depth=1
	s_or_saveexec_b64 s[24:25], s[24:25]
	v_mov_b32_e32 v57, v55
	s_xor_b64 exec, exec, s[24:25]
	s_cbranch_execz .LBB68_214
; %bb.213:                              ;   in Loop: Header=BB68_2 Depth=1
	ds_read_u8 v57, v58 offset:1
	s_waitcnt lgkmcnt(1)
	v_mov_b32_e32 v56, v54
.LBB68_214:                             ;   in Loop: Header=BB68_2 Depth=1
	s_or_b64 exec, exec, s[24:25]
	v_add_u32_e32 v61, 1, v59
	v_add_u32_e32 v60, 1, v58
	v_cndmask_b32_e64 v61, v61, v59, s[22:23]
	v_cndmask_b32_e64 v60, v58, v60, s[22:23]
	v_cmp_ge_i32_e64 s[24:25], v61, v21
	s_waitcnt lgkmcnt(0)
	v_cmp_lt_i16_sdwa s[26:27], sext(v57), sext(v56) src0_sel:BYTE_0 src1_sel:BYTE_0
	v_cmp_lt_i32_e32 vcc, v60, v22
	s_or_b64 s[24:25], s[24:25], s[26:27]
	s_and_b64 s[24:25], vcc, s[24:25]
	s_xor_b64 s[26:27], s[24:25], -1
                                        ; implicit-def: $vgpr58
	s_and_saveexec_b64 s[28:29], s[26:27]
	s_xor_b64 s[26:27], exec, s[28:29]
; %bb.215:                              ;   in Loop: Header=BB68_2 Depth=1
	ds_read_u8 v58, v61 offset:1
; %bb.216:                              ;   in Loop: Header=BB68_2 Depth=1
	s_or_saveexec_b64 s[26:27], s[26:27]
	v_mov_b32_e32 v59, v57
	s_xor_b64 exec, exec, s[26:27]
	s_cbranch_execz .LBB68_218
; %bb.217:                              ;   in Loop: Header=BB68_2 Depth=1
	ds_read_u8 v59, v60 offset:1
	s_waitcnt lgkmcnt(1)
	v_mov_b32_e32 v58, v56
.LBB68_218:                             ;   in Loop: Header=BB68_2 Depth=1
	s_or_b64 exec, exec, s[26:27]
	v_add_u32_e32 v63, 1, v61
	v_add_u32_e32 v62, 1, v60
	v_cndmask_b32_e64 v64, v63, v61, s[24:25]
	v_cndmask_b32_e64 v62, v60, v62, s[24:25]
	v_cmp_ge_i32_e64 s[26:27], v64, v21
	s_waitcnt lgkmcnt(0)
	v_cmp_lt_i16_sdwa s[28:29], sext(v59), sext(v58) src0_sel:BYTE_0 src1_sel:BYTE_0
	v_cmp_lt_i32_e32 vcc, v62, v22
	s_or_b64 s[26:27], s[26:27], s[28:29]
	s_and_b64 vcc, vcc, s[26:27]
	s_xor_b64 s[26:27], vcc, -1
                                        ; implicit-def: $vgpr60
	s_and_saveexec_b64 s[28:29], s[26:27]
	s_xor_b64 s[26:27], exec, s[28:29]
; %bb.219:                              ;   in Loop: Header=BB68_2 Depth=1
	ds_read_u8 v60, v64 offset:1
; %bb.220:                              ;   in Loop: Header=BB68_2 Depth=1
	s_or_saveexec_b64 s[26:27], s[26:27]
	v_mov_b32_e32 v61, v59
	s_xor_b64 exec, exec, s[26:27]
	s_cbranch_execz .LBB68_222
; %bb.221:                              ;   in Loop: Header=BB68_2 Depth=1
	ds_read_u8 v61, v62 offset:1
	s_waitcnt lgkmcnt(1)
	v_mov_b32_e32 v60, v58
.LBB68_222:                             ;   in Loop: Header=BB68_2 Depth=1
	s_or_b64 exec, exec, s[26:27]
	v_add_u32_e32 v65, 1, v64
	v_add_u32_e32 v63, 1, v62
	v_cndmask_b32_e32 v64, v65, v64, vcc
	v_cndmask_b32_e32 v63, v62, v63, vcc
	v_cmp_ge_i32_e64 s[28:29], v64, v21
	s_waitcnt lgkmcnt(0)
	v_cmp_lt_i16_sdwa s[46:47], sext(v61), sext(v60) src0_sel:BYTE_0 src1_sel:BYTE_0
	v_cmp_lt_i32_e64 s[26:27], v63, v22
	s_or_b64 s[28:29], s[28:29], s[46:47]
	s_and_b64 s[26:27], s[26:27], s[28:29]
	s_xor_b64 s[28:29], s[26:27], -1
                                        ; implicit-def: $vgpr62
	s_and_saveexec_b64 s[46:47], s[28:29]
	s_xor_b64 s[28:29], exec, s[46:47]
; %bb.223:                              ;   in Loop: Header=BB68_2 Depth=1
	ds_read_u8 v62, v64 offset:1
; %bb.224:                              ;   in Loop: Header=BB68_2 Depth=1
	s_or_saveexec_b64 s[28:29], s[28:29]
	v_mov_b32_e32 v65, v61
	s_xor_b64 exec, exec, s[28:29]
	s_cbranch_execz .LBB68_226
; %bb.225:                              ;   in Loop: Header=BB68_2 Depth=1
	ds_read_u8 v65, v63 offset:1
	s_waitcnt lgkmcnt(1)
	v_mov_b32_e32 v62, v60
.LBB68_226:                             ;   in Loop: Header=BB68_2 Depth=1
	s_or_b64 exec, exec, s[28:29]
	v_cndmask_b32_e64 v60, v60, v61, s[26:27]
	v_add_u32_e32 v61, 1, v63
	v_add_u32_e32 v66, 1, v64
	v_cndmask_b32_e64 v61, v63, v61, s[26:27]
	v_cndmask_b32_e64 v63, v66, v64, s[26:27]
	v_cndmask_b32_sdwa v58, v58, v59, vcc dst_sel:BYTE_1 dst_unused:UNUSED_PAD src0_sel:DWORD src1_sel:DWORD
	s_mov_b64 vcc, s[22:23]
	v_cndmask_b32_e64 v50, v50, v51, s[18:19]
	v_cndmask_b32_e64 v48, v48, v49, s[16:17]
	v_cmp_ge_i32_e64 s[16:17], v63, v21
	s_waitcnt lgkmcnt(0)
	v_cmp_lt_i16_sdwa s[18:19], sext(v65), sext(v62) src0_sel:BYTE_0 src1_sel:BYTE_0
	v_cndmask_b32_sdwa v54, v54, v55, vcc dst_sel:BYTE_1 dst_unused:UNUSED_PAD src0_sel:DWORD src1_sel:DWORD
	v_cmp_lt_i32_e32 vcc, v61, v22
	s_or_b64 s[16:17], s[16:17], s[18:19]
	s_and_b64 vcc, vcc, s[16:17]
	v_cndmask_b32_e64 v52, v52, v53, s[20:21]
	v_cndmask_b32_e32 v49, v62, v65, vcc
	v_lshlrev_b16_e32 v50, 8, v50
	v_cndmask_b32_e64 v56, v56, v57, s[24:25]
	v_or_b32_sdwa v48, v48, v50 dst_sel:DWORD dst_unused:UNUSED_PAD src0_sel:BYTE_0 src1_sel:DWORD
	v_or_b32_sdwa v50, v52, v54 dst_sel:WORD_1 dst_unused:UNUSED_PAD src0_sel:BYTE_0 src1_sel:DWORD
	v_lshlrev_b16_e32 v49, 8, v49
	v_or_b32_sdwa v48, v48, v50 dst_sel:DWORD dst_unused:UNUSED_PAD src0_sel:WORD_0 src1_sel:DWORD
	v_or_b32_sdwa v50, v56, v58 dst_sel:DWORD dst_unused:UNUSED_PAD src0_sel:BYTE_0 src1_sel:DWORD
	v_or_b32_sdwa v49, v60, v49 dst_sel:WORD_1 dst_unused:UNUSED_PAD src0_sel:BYTE_0 src1_sel:DWORD
	v_or_b32_sdwa v49, v50, v49 dst_sel:DWORD dst_unused:UNUSED_PAD src0_sel:WORD_0 src1_sel:DWORD
	v_mov_b32_e32 v52, v45
	s_barrier
	ds_write_b64 v1, v[48:49]
	s_waitcnt lgkmcnt(0)
	s_barrier
	s_and_saveexec_b64 s[16:17], s[14:15]
	s_cbranch_execz .LBB68_230
; %bb.227:                              ;   in Loop: Header=BB68_2 Depth=1
	s_mov_b64 s[18:19], 0
	v_mov_b32_e32 v52, v45
	v_mov_b32_e32 v48, v46
.LBB68_228:                             ;   Parent Loop BB68_2 Depth=1
                                        ; =>  This Inner Loop Header: Depth=2
	v_sub_u32_e32 v49, v48, v52
	v_lshrrev_b32_e32 v49, 1, v49
	v_add_u32_e32 v49, v49, v52
	v_xad_u32 v50, v49, -1, v47
	ds_read_i8 v51, v49
	ds_read_i8 v50, v50
	v_add_u32_e32 v53, 1, v49
	s_waitcnt lgkmcnt(0)
	v_cmp_lt_i16_e32 vcc, v50, v51
	v_cndmask_b32_e32 v48, v48, v49, vcc
	v_cndmask_b32_e32 v52, v53, v52, vcc
	v_cmp_ge_i32_e32 vcc, v52, v48
	s_or_b64 s[18:19], vcc, s[18:19]
	s_andn2_b64 exec, exec, s[18:19]
	s_cbranch_execnz .LBB68_228
; %bb.229:                              ;   in Loop: Header=BB68_2 Depth=1
	s_or_b64 exec, exec, s[18:19]
.LBB68_230:                             ;   in Loop: Header=BB68_2 Depth=1
	s_or_b64 exec, exec, s[16:17]
	v_sub_u32_e32 v53, v47, v52
	ds_read_u8 v48, v52
	ds_read_u8 v49, v53
	v_cmp_le_i32_e64 s[16:17], v44, v52
	v_cmp_gt_i32_e32 vcc, s44, v53
                                        ; implicit-def: $vgpr50
	s_waitcnt lgkmcnt(1)
	v_bfe_i32 v48, v48, 0, 8
	s_waitcnt lgkmcnt(0)
	v_bfe_i32 v49, v49, 0, 8
	v_cmp_lt_i16_e64 s[18:19], v49, v48
	s_or_b64 s[16:17], s[16:17], s[18:19]
	s_and_b64 vcc, vcc, s[16:17]
	s_xor_b64 s[16:17], vcc, -1
	s_and_saveexec_b64 s[18:19], s[16:17]
	s_xor_b64 s[16:17], exec, s[18:19]
; %bb.231:                              ;   in Loop: Header=BB68_2 Depth=1
	ds_read_u8 v50, v52 offset:1
; %bb.232:                              ;   in Loop: Header=BB68_2 Depth=1
	s_or_saveexec_b64 s[16:17], s[16:17]
	v_mov_b32_e32 v51, v49
	s_xor_b64 exec, exec, s[16:17]
	s_cbranch_execz .LBB68_234
; %bb.233:                              ;   in Loop: Header=BB68_2 Depth=1
	ds_read_u8 v51, v53 offset:1
	s_waitcnt lgkmcnt(1)
	v_mov_b32_e32 v50, v48
.LBB68_234:                             ;   in Loop: Header=BB68_2 Depth=1
	s_or_b64 exec, exec, s[16:17]
	v_add_u32_e32 v55, 1, v52
	v_add_u32_e32 v54, 1, v53
	v_cndmask_b32_e32 v55, v55, v52, vcc
	v_cndmask_b32_e32 v54, v53, v54, vcc
	v_cmp_ge_i32_e64 s[18:19], v55, v44
	s_waitcnt lgkmcnt(0)
	v_cmp_lt_i16_sdwa s[20:21], sext(v51), sext(v50) src0_sel:BYTE_0 src1_sel:BYTE_0
	v_cmp_gt_i32_e64 s[16:17], s44, v54
	s_or_b64 s[18:19], s[18:19], s[20:21]
	s_and_b64 s[16:17], s[16:17], s[18:19]
	s_xor_b64 s[18:19], s[16:17], -1
                                        ; implicit-def: $vgpr52
	s_and_saveexec_b64 s[20:21], s[18:19]
	s_xor_b64 s[18:19], exec, s[20:21]
; %bb.235:                              ;   in Loop: Header=BB68_2 Depth=1
	ds_read_u8 v52, v55 offset:1
; %bb.236:                              ;   in Loop: Header=BB68_2 Depth=1
	s_or_saveexec_b64 s[18:19], s[18:19]
	v_mov_b32_e32 v53, v51
	s_xor_b64 exec, exec, s[18:19]
	s_cbranch_execz .LBB68_238
; %bb.237:                              ;   in Loop: Header=BB68_2 Depth=1
	ds_read_u8 v53, v54 offset:1
	s_waitcnt lgkmcnt(1)
	v_mov_b32_e32 v52, v50
.LBB68_238:                             ;   in Loop: Header=BB68_2 Depth=1
	s_or_b64 exec, exec, s[18:19]
	v_add_u32_e32 v57, 1, v55
	v_add_u32_e32 v56, 1, v54
	v_cndmask_b32_e64 v57, v57, v55, s[16:17]
	v_cndmask_b32_e64 v56, v54, v56, s[16:17]
	v_cmp_ge_i32_e64 s[20:21], v57, v44
	s_waitcnt lgkmcnt(0)
	v_cmp_lt_i16_sdwa s[22:23], sext(v53), sext(v52) src0_sel:BYTE_0 src1_sel:BYTE_0
	v_cmp_gt_i32_e64 s[18:19], s44, v56
	s_or_b64 s[20:21], s[20:21], s[22:23]
	s_and_b64 s[18:19], s[18:19], s[20:21]
	s_xor_b64 s[20:21], s[18:19], -1
                                        ; implicit-def: $vgpr54
	s_and_saveexec_b64 s[22:23], s[20:21]
	s_xor_b64 s[20:21], exec, s[22:23]
; %bb.239:                              ;   in Loop: Header=BB68_2 Depth=1
	ds_read_u8 v54, v57 offset:1
; %bb.240:                              ;   in Loop: Header=BB68_2 Depth=1
	s_or_saveexec_b64 s[20:21], s[20:21]
	v_mov_b32_e32 v55, v53
	s_xor_b64 exec, exec, s[20:21]
	s_cbranch_execz .LBB68_242
; %bb.241:                              ;   in Loop: Header=BB68_2 Depth=1
	ds_read_u8 v55, v56 offset:1
	s_waitcnt lgkmcnt(1)
	v_mov_b32_e32 v54, v52
.LBB68_242:                             ;   in Loop: Header=BB68_2 Depth=1
	s_or_b64 exec, exec, s[20:21]
	v_add_u32_e32 v59, 1, v57
	v_add_u32_e32 v58, 1, v56
	v_cndmask_b32_e64 v59, v59, v57, s[18:19]
	v_cndmask_b32_e64 v58, v56, v58, s[18:19]
	v_cmp_ge_i32_e64 s[22:23], v59, v44
	s_waitcnt lgkmcnt(0)
	v_cmp_lt_i16_sdwa s[24:25], sext(v55), sext(v54) src0_sel:BYTE_0 src1_sel:BYTE_0
	v_cmp_gt_i32_e64 s[20:21], s44, v58
	s_or_b64 s[22:23], s[22:23], s[24:25]
	s_and_b64 s[20:21], s[20:21], s[22:23]
	s_xor_b64 s[22:23], s[20:21], -1
                                        ; implicit-def: $vgpr56
	s_and_saveexec_b64 s[24:25], s[22:23]
	s_xor_b64 s[22:23], exec, s[24:25]
; %bb.243:                              ;   in Loop: Header=BB68_2 Depth=1
	ds_read_u8 v56, v59 offset:1
; %bb.244:                              ;   in Loop: Header=BB68_2 Depth=1
	s_or_saveexec_b64 s[22:23], s[22:23]
	v_mov_b32_e32 v57, v55
	s_xor_b64 exec, exec, s[22:23]
	s_cbranch_execz .LBB68_246
; %bb.245:                              ;   in Loop: Header=BB68_2 Depth=1
	ds_read_u8 v57, v58 offset:1
	s_waitcnt lgkmcnt(1)
	v_mov_b32_e32 v56, v54
.LBB68_246:                             ;   in Loop: Header=BB68_2 Depth=1
	s_or_b64 exec, exec, s[22:23]
	v_add_u32_e32 v61, 1, v59
	v_add_u32_e32 v60, 1, v58
	v_cndmask_b32_e64 v61, v61, v59, s[20:21]
	v_cndmask_b32_e64 v60, v58, v60, s[20:21]
	v_cmp_ge_i32_e64 s[24:25], v61, v44
	s_waitcnt lgkmcnt(0)
	v_cmp_lt_i16_sdwa s[26:27], sext(v57), sext(v56) src0_sel:BYTE_0 src1_sel:BYTE_0
	v_cmp_gt_i32_e64 s[22:23], s44, v60
	s_or_b64 s[24:25], s[24:25], s[26:27]
	s_and_b64 s[22:23], s[22:23], s[24:25]
	s_xor_b64 s[24:25], s[22:23], -1
                                        ; implicit-def: $vgpr58
	s_and_saveexec_b64 s[26:27], s[24:25]
	s_xor_b64 s[24:25], exec, s[26:27]
; %bb.247:                              ;   in Loop: Header=BB68_2 Depth=1
	ds_read_u8 v58, v61 offset:1
; %bb.248:                              ;   in Loop: Header=BB68_2 Depth=1
	s_or_saveexec_b64 s[24:25], s[24:25]
	v_mov_b32_e32 v59, v57
	s_xor_b64 exec, exec, s[24:25]
	s_cbranch_execz .LBB68_250
; %bb.249:                              ;   in Loop: Header=BB68_2 Depth=1
	ds_read_u8 v59, v60 offset:1
	s_waitcnt lgkmcnt(1)
	v_mov_b32_e32 v58, v56
.LBB68_250:                             ;   in Loop: Header=BB68_2 Depth=1
	s_or_b64 exec, exec, s[24:25]
	v_add_u32_e32 v63, 1, v61
	v_add_u32_e32 v62, 1, v60
	v_cndmask_b32_e64 v63, v63, v61, s[22:23]
	v_cndmask_b32_e64 v62, v60, v62, s[22:23]
	v_cmp_ge_i32_e64 s[26:27], v63, v44
	s_waitcnt lgkmcnt(0)
	v_cmp_lt_i16_sdwa s[28:29], sext(v59), sext(v58) src0_sel:BYTE_0 src1_sel:BYTE_0
	v_cmp_gt_i32_e64 s[24:25], s44, v62
	s_or_b64 s[26:27], s[26:27], s[28:29]
	s_and_b64 s[24:25], s[24:25], s[26:27]
	s_xor_b64 s[26:27], s[24:25], -1
                                        ; implicit-def: $vgpr60
	s_and_saveexec_b64 s[28:29], s[26:27]
	s_xor_b64 s[26:27], exec, s[28:29]
; %bb.251:                              ;   in Loop: Header=BB68_2 Depth=1
	ds_read_u8 v60, v63 offset:1
; %bb.252:                              ;   in Loop: Header=BB68_2 Depth=1
	s_or_saveexec_b64 s[26:27], s[26:27]
	v_mov_b32_e32 v61, v59
	s_xor_b64 exec, exec, s[26:27]
	s_cbranch_execz .LBB68_254
; %bb.253:                              ;   in Loop: Header=BB68_2 Depth=1
	ds_read_u8 v61, v62 offset:1
	s_waitcnt lgkmcnt(1)
	v_mov_b32_e32 v60, v58
.LBB68_254:                             ;   in Loop: Header=BB68_2 Depth=1
	s_or_b64 exec, exec, s[26:27]
	v_add_u32_e32 v65, 1, v63
	v_add_u32_e32 v64, 1, v62
	v_cndmask_b32_e64 v65, v65, v63, s[24:25]
	v_cndmask_b32_e64 v62, v62, v64, s[24:25]
	v_cmp_ge_i32_e64 s[28:29], v65, v44
	s_waitcnt lgkmcnt(0)
	v_cmp_lt_i16_sdwa s[46:47], sext(v61), sext(v60) src0_sel:BYTE_0 src1_sel:BYTE_0
	v_cmp_gt_i32_e64 s[26:27], s44, v62
	s_or_b64 s[28:29], s[28:29], s[46:47]
	s_and_b64 s[26:27], s[26:27], s[28:29]
	s_xor_b64 s[28:29], s[26:27], -1
                                        ; implicit-def: $vgpr63
                                        ; implicit-def: $vgpr64
	s_and_saveexec_b64 s[46:47], s[28:29]
	s_xor_b64 s[28:29], exec, s[46:47]
; %bb.255:                              ;   in Loop: Header=BB68_2 Depth=1
	ds_read_u8 v63, v65 offset:1
	v_add_u32_e32 v64, 1, v65
                                        ; implicit-def: $vgpr65
; %bb.256:                              ;   in Loop: Header=BB68_2 Depth=1
	s_or_saveexec_b64 s[28:29], s[28:29]
	v_mov_b32_e32 v66, v61
	s_xor_b64 exec, exec, s[28:29]
	s_cbranch_execz .LBB68_1
; %bb.257:                              ;   in Loop: Header=BB68_2 Depth=1
	ds_read_u8 v66, v62 offset:1
	v_add_u32_e32 v62, 1, v62
	v_mov_b32_e32 v64, v65
	s_waitcnt lgkmcnt(1)
	v_mov_b32_e32 v63, v60
	s_branch .LBB68_1
.LBB68_258:
	s_add_u32 s0, s30, s33
	s_addc_u32 s1, s31, 0
	v_mov_b32_e32 v1, s1
	v_add_co_u32_e32 v0, vcc, s0, v0
	v_addc_co_u32_e32 v1, vcc, 0, v1, vcc
	global_store_byte v[0:1], v65, off
	global_store_byte v[0:1], v50, off offset:256
	global_store_byte v[0:1], v51, off offset:512
	;; [unrolled: 1-line block ×7, first 2 shown]
	s_endpgm
	.section	.rodata,"a",@progbits
	.p2align	6, 0x0
	.amdhsa_kernel _Z16sort_keys_kernelIaLj256ELj8EN10test_utils4lessELj10EEvPKT_PS2_T2_
		.amdhsa_group_segment_fixed_size 2049
		.amdhsa_private_segment_fixed_size 0
		.amdhsa_kernarg_size 20
		.amdhsa_user_sgpr_count 6
		.amdhsa_user_sgpr_private_segment_buffer 1
		.amdhsa_user_sgpr_dispatch_ptr 0
		.amdhsa_user_sgpr_queue_ptr 0
		.amdhsa_user_sgpr_kernarg_segment_ptr 1
		.amdhsa_user_sgpr_dispatch_id 0
		.amdhsa_user_sgpr_flat_scratch_init 0
		.amdhsa_user_sgpr_private_segment_size 0
		.amdhsa_uses_dynamic_stack 0
		.amdhsa_system_sgpr_private_segment_wavefront_offset 0
		.amdhsa_system_sgpr_workgroup_id_x 1
		.amdhsa_system_sgpr_workgroup_id_y 0
		.amdhsa_system_sgpr_workgroup_id_z 0
		.amdhsa_system_sgpr_workgroup_info 0
		.amdhsa_system_vgpr_workitem_id 0
		.amdhsa_next_free_vgpr 67
		.amdhsa_next_free_sgpr 48
		.amdhsa_reserve_vcc 1
		.amdhsa_reserve_flat_scratch 0
		.amdhsa_float_round_mode_32 0
		.amdhsa_float_round_mode_16_64 0
		.amdhsa_float_denorm_mode_32 3
		.amdhsa_float_denorm_mode_16_64 3
		.amdhsa_dx10_clamp 1
		.amdhsa_ieee_mode 1
		.amdhsa_fp16_overflow 0
		.amdhsa_exception_fp_ieee_invalid_op 0
		.amdhsa_exception_fp_denorm_src 0
		.amdhsa_exception_fp_ieee_div_zero 0
		.amdhsa_exception_fp_ieee_overflow 0
		.amdhsa_exception_fp_ieee_underflow 0
		.amdhsa_exception_fp_ieee_inexact 0
		.amdhsa_exception_int_div_zero 0
	.end_amdhsa_kernel
	.section	.text._Z16sort_keys_kernelIaLj256ELj8EN10test_utils4lessELj10EEvPKT_PS2_T2_,"axG",@progbits,_Z16sort_keys_kernelIaLj256ELj8EN10test_utils4lessELj10EEvPKT_PS2_T2_,comdat
.Lfunc_end68:
	.size	_Z16sort_keys_kernelIaLj256ELj8EN10test_utils4lessELj10EEvPKT_PS2_T2_, .Lfunc_end68-_Z16sort_keys_kernelIaLj256ELj8EN10test_utils4lessELj10EEvPKT_PS2_T2_
                                        ; -- End function
	.set _Z16sort_keys_kernelIaLj256ELj8EN10test_utils4lessELj10EEvPKT_PS2_T2_.num_vgpr, 67
	.set _Z16sort_keys_kernelIaLj256ELj8EN10test_utils4lessELj10EEvPKT_PS2_T2_.num_agpr, 0
	.set _Z16sort_keys_kernelIaLj256ELj8EN10test_utils4lessELj10EEvPKT_PS2_T2_.numbered_sgpr, 48
	.set _Z16sort_keys_kernelIaLj256ELj8EN10test_utils4lessELj10EEvPKT_PS2_T2_.num_named_barrier, 0
	.set _Z16sort_keys_kernelIaLj256ELj8EN10test_utils4lessELj10EEvPKT_PS2_T2_.private_seg_size, 0
	.set _Z16sort_keys_kernelIaLj256ELj8EN10test_utils4lessELj10EEvPKT_PS2_T2_.uses_vcc, 1
	.set _Z16sort_keys_kernelIaLj256ELj8EN10test_utils4lessELj10EEvPKT_PS2_T2_.uses_flat_scratch, 0
	.set _Z16sort_keys_kernelIaLj256ELj8EN10test_utils4lessELj10EEvPKT_PS2_T2_.has_dyn_sized_stack, 0
	.set _Z16sort_keys_kernelIaLj256ELj8EN10test_utils4lessELj10EEvPKT_PS2_T2_.has_recursion, 0
	.set _Z16sort_keys_kernelIaLj256ELj8EN10test_utils4lessELj10EEvPKT_PS2_T2_.has_indirect_call, 0
	.section	.AMDGPU.csdata,"",@progbits
; Kernel info:
; codeLenInByte = 10920
; TotalNumSgprs: 52
; NumVgprs: 67
; ScratchSize: 0
; MemoryBound: 0
; FloatMode: 240
; IeeeMode: 1
; LDSByteSize: 2049 bytes/workgroup (compile time only)
; SGPRBlocks: 6
; VGPRBlocks: 16
; NumSGPRsForWavesPerEU: 52
; NumVGPRsForWavesPerEU: 67
; Occupancy: 3
; WaveLimiterHint : 1
; COMPUTE_PGM_RSRC2:SCRATCH_EN: 0
; COMPUTE_PGM_RSRC2:USER_SGPR: 6
; COMPUTE_PGM_RSRC2:TRAP_HANDLER: 0
; COMPUTE_PGM_RSRC2:TGID_X_EN: 1
; COMPUTE_PGM_RSRC2:TGID_Y_EN: 0
; COMPUTE_PGM_RSRC2:TGID_Z_EN: 0
; COMPUTE_PGM_RSRC2:TIDIG_COMP_CNT: 0
	.section	.text._Z17sort_pairs_kernelIaLj256ELj8EN10test_utils4lessELj10EEvPKT_PS2_T2_,"axG",@progbits,_Z17sort_pairs_kernelIaLj256ELj8EN10test_utils4lessELj10EEvPKT_PS2_T2_,comdat
	.protected	_Z17sort_pairs_kernelIaLj256ELj8EN10test_utils4lessELj10EEvPKT_PS2_T2_ ; -- Begin function _Z17sort_pairs_kernelIaLj256ELj8EN10test_utils4lessELj10EEvPKT_PS2_T2_
	.globl	_Z17sort_pairs_kernelIaLj256ELj8EN10test_utils4lessELj10EEvPKT_PS2_T2_
	.p2align	8
	.type	_Z17sort_pairs_kernelIaLj256ELj8EN10test_utils4lessELj10EEvPKT_PS2_T2_,@function
_Z17sort_pairs_kernelIaLj256ELj8EN10test_utils4lessELj10EEvPKT_PS2_T2_: ; @_Z17sort_pairs_kernelIaLj256ELj8EN10test_utils4lessELj10EEvPKT_PS2_T2_
; %bb.0:
	s_load_dwordx4 s[0:3], s[4:5], 0x0
	s_lshl_b32 s4, s6, 11
                                        ; implicit-def: $vgpr88 : SGPR spill to VGPR lane
	v_lshlrev_b32_e32 v5, 3, v0
	v_writelane_b32 v88, s4, 0
	v_and_b32_e32 v6, 0x7f0, v5
	s_waitcnt lgkmcnt(0)
	s_add_u32 s0, s0, s4
	v_writelane_b32 v88, s0, 1
	v_writelane_b32 v88, s1, 2
	;; [unrolled: 1-line block ×4, first 2 shown]
	s_addc_u32 s1, s1, 0
	s_nop 0
	global_load_ubyte v1, v0, s[0:1]
	global_load_ubyte v2, v0, s[0:1] offset:512
	global_load_ubyte v3, v0, s[0:1] offset:1024
	;; [unrolled: 1-line block ×7, first 2 shown]
	v_or_b32_e32 v13, 8, v6
	v_add_u32_e32 v14, 16, v6
	v_and_b32_e32 v29, 8, v5
	v_sub_u32_e32 v36, v14, v13
	v_and_b32_e32 v7, 0x7e0, v5
	v_sub_u32_e32 v28, v13, v6
	v_sub_u32_e32 v46, v29, v36
	v_cmp_ge_i32_e32 vcc, v29, v36
	s_mov_b32 s88, 0xc0c0004
	v_and_b32_e32 v8, 0x7c0, v5
	v_or_b32_e32 v15, 16, v7
	v_add_u32_e32 v16, 32, v7
	v_add_u32_e32 v27, v13, v29
	v_min_i32_e32 v28, v29, v28
	v_cndmask_b32_e32 v29, 0, v46, vcc
	s_movk_i32 s0, 0x100
	v_and_b32_e32 v34, 24, v5
	v_and_b32_e32 v9, 0x780, v5
	v_or_b32_e32 v17, 32, v8
	v_add_u32_e32 v18, 64, v8
	v_sub_u32_e32 v37, v16, v15
	v_and_b32_e32 v35, 56, v5
	v_and_b32_e32 v10, 0x700, v5
	v_or_b32_e32 v19, 64, v9
	v_add_u32_e32 v20, 0x80, v9
	v_sub_u32_e32 v39, v18, v17
	v_sub_u32_e32 v48, v34, v37
	v_cmp_ge_i32_e32 vcc, v34, v37
	v_and_b32_e32 v38, 0x78, v5
	v_and_b32_e32 v11, 0x600, v5
	v_or_b32_e32 v21, 0x80, v10
	v_add_u32_e32 v22, 0x100, v10
	v_sub_u32_e32 v40, v20, v19
	v_sub_u32_e32 v49, v35, v39
	v_and_b32_e32 v41, 0xf8, v5
	v_and_b32_e32 v12, 0x400, v5
	v_or_b32_e32 v23, 0x100, v11
	v_add_u32_e32 v24, 0x200, v11
	v_sub_u32_e32 v42, v22, v21
	v_sub_u32_e32 v50, v38, v40
	v_and_b32_e32 v44, 0x1f8, v5
	v_or_b32_e32 v25, 0x200, v12
	v_add_u32_e32 v26, 0x400, v12
	v_sub_u32_e32 v43, v24, v23
	v_sub_u32_e32 v51, v41, v42
	v_cmp_lt_i32_e64 s[2:3], v29, v28
	v_and_b32_e32 v47, 0x3f8, v5
	v_sub_u32_e32 v45, v26, v25
	v_sub_u32_e32 v52, v44, v43
	v_writelane_b32 v88, s2, 5
	v_sub_u32_e32 v53, v47, v45
	v_writelane_b32 v88, s3, 6
	v_sub_u32_e32 v37, v19, v9
	v_min_i32_e32 v37, v38, v37
	s_mov_b32 s89, 0
	s_movk_i32 s92, 0xff
	s_mov_b32 s93, 0x7060405
	s_mov_b32 s94, 0xc0c0001
	s_mov_b32 s95, 0xffff
	s_mov_b32 s33, 0x6070504
	s_mov_b32 s90, 0x7050604
	s_mov_b32 s91, 0x3020107
	s_waitcnt vmcnt(7)
	v_add_u16_e32 v36, 1, v1
	s_waitcnt vmcnt(6)
	v_add_u16_e32 v46, 1, v2
	;; [unrolled: 2-line block ×4, first 2 shown]
	s_waitcnt vmcnt(3)
	v_lshlrev_b16_e32 v59, 8, v30
	s_waitcnt vmcnt(2)
	v_lshlrev_b16_e32 v58, 8, v31
	;; [unrolled: 2-line block ×4, first 2 shown]
	v_perm_b32 v1, v1, v33, s88
	v_perm_b32 v2, v2, v32, s88
	;; [unrolled: 1-line block ×4, first 2 shown]
	v_or_b32_sdwa v31, v56, v36 dst_sel:DWORD dst_unused:UNUSED_PAD src0_sel:DWORD src1_sel:BYTE_0
	v_or_b32_sdwa v32, v57, v46 dst_sel:DWORD dst_unused:UNUSED_PAD src0_sel:DWORD src1_sel:BYTE_0
	;; [unrolled: 1-line block ×4, first 2 shown]
	v_lshl_or_b32 v4, v2, 16, v1
	v_lshl_or_b32 v3, v30, 16, v3
	v_add_u16_e32 v1, 0x100, v31
	v_add_u16_sdwa v2, v32, s0 dst_sel:WORD_1 dst_unused:UNUSED_PAD src0_sel:DWORD src1_sel:DWORD
	v_add_u16_e32 v30, 0x100, v33
	v_add_u16_sdwa v31, v36, s0 dst_sel:WORD_1 dst_unused:UNUSED_PAD src0_sel:DWORD src1_sel:DWORD
	v_or_b32_e32 v1, v1, v2
	v_or_b32_e32 v2, v30, v31
	v_cndmask_b32_e32 v30, 0, v48, vcc
	v_cmp_ge_i32_e32 vcc, v35, v39
	v_cndmask_b32_e32 v33, 0, v49, vcc
	v_cmp_ge_i32_e32 vcc, v38, v40
	v_sub_u32_e32 v31, v15, v7
	v_cndmask_b32_e32 v36, 0, v50, vcc
	v_cmp_ge_i32_e32 vcc, v41, v42
	v_min_i32_e32 v31, v34, v31
	v_cndmask_b32_e32 v39, 0, v51, vcc
	v_cmp_ge_i32_e32 vcc, v44, v43
	v_cmp_lt_i32_e64 s[0:1], v30, v31
	v_add_u32_e32 v32, v15, v34
	v_sub_u32_e32 v34, v17, v8
	v_sub_u32_e32 v40, v21, v10
	v_cndmask_b32_e32 v42, 0, v52, vcc
	v_sub_u32_e32 v43, v23, v11
	v_cmp_ge_i32_e32 vcc, v47, v45
	v_sub_u32_e32 v46, v25, v12
	v_mov_b32_e32 v48, 0x400
	v_writelane_b32 v88, s0, 7
	v_min_i32_e32 v34, v35, v34
	v_min_i32_e32 v40, v41, v40
	;; [unrolled: 1-line block ×3, first 2 shown]
	v_cndmask_b32_e32 v45, 0, v53, vcc
	v_min_i32_e32 v46, v47, v46
	v_sub_u32_e64 v49, v5, v48 clamp
	v_min_i32_e32 v50, 0x400, v5
	v_writelane_b32 v88, s1, 8
	v_cmp_lt_i32_e64 s[4:5], v33, v34
	v_add_u32_e32 v35, v17, v35
	v_cmp_lt_i32_e64 s[6:7], v36, v37
	v_add_u32_e32 v38, v19, v38
	;; [unrolled: 2-line block ×5, first 2 shown]
	v_cmp_lt_i32_e64 s[14:15], v49, v50
	s_mov_b32 s0, 0xffff0000
	s_movk_i32 s1, 0x800
	v_add_u32_e32 v51, 0x400, v5
	s_branch .LBB69_2
.LBB69_1:                               ;   in Loop: Header=BB69_2 Depth=1
	s_or_b64 exec, exec, s[28:29]
	v_cndmask_b32_e32 v58, v58, v59, vcc
	v_cndmask_b32_e64 v59, v60, v61, s[16:17]
	v_cndmask_b32_e64 v62, v63, v62, s[16:17]
	v_cmp_ge_i32_e64 s[16:17], v84, v48
	s_waitcnt lgkmcnt(0)
	v_cmp_lt_i16_sdwa s[2:3], sext(v87), sext(v85) src0_sel:BYTE_0 src1_sel:BYTE_0
	v_cndmask_b32_e32 v57, v56, v57, vcc
	v_cmp_gt_i32_e32 vcc, s1, v82
	s_or_b64 s[2:3], s[16:17], s[2:3]
	s_and_b64 vcc, vcc, s[2:3]
	v_perm_b32 v53, v53, v54, s88
	v_perm_b32 v52, v55, v52, s88
	;; [unrolled: 1-line block ×4, first 2 shown]
	v_cndmask_b32_e64 v61, v68, v69, s[20:21]
	v_cndmask_b32_e64 v66, v67, v66, s[18:19]
	v_cndmask_b32_e32 v63, v84, v82, vcc
	v_lshl_or_b32 v53, v52, 16, v53
	v_lshl_or_b32 v52, v2, 16, v1
	v_cndmask_b32_e64 v60, v64, v65, s[18:19]
	v_cndmask_b32_e64 v64, v72, v73, s[22:23]
	;; [unrolled: 1-line block ×5, first 2 shown]
	s_barrier
	ds_write_b64 v5, v[52:53]
	s_waitcnt lgkmcnt(0)
	s_barrier
	ds_read_u8 v52, v57
	ds_read_u8 v53, v83
	;; [unrolled: 1-line block ×8, first 2 shown]
	v_lshlrev_b16_e32 v1, 8, v59
	v_lshlrev_b16_e32 v2, 8, v61
	v_cndmask_b32_e64 v65, v76, v77, s[24:25]
	v_cndmask_b32_e32 v56, v85, v87, vcc
	v_or_b32_sdwa v1, v58, v1 dst_sel:DWORD dst_unused:UNUSED_PAD src0_sel:BYTE_0 src1_sel:DWORD
	v_or_b32_sdwa v2, v60, v2 dst_sel:WORD_1 dst_unused:UNUSED_PAD src0_sel:BYTE_0 src1_sel:DWORD
	v_cndmask_b32_e64 v68, v80, v81, s[26:27]
	v_or_b32_sdwa v4, v1, v2 dst_sel:DWORD dst_unused:UNUSED_PAD src0_sel:WORD_0 src1_sel:DWORD
	v_lshlrev_b16_e32 v1, 8, v65
	v_lshlrev_b16_e32 v2, 8, v56
	v_or_b32_sdwa v1, v64, v1 dst_sel:DWORD dst_unused:UNUSED_PAD src0_sel:BYTE_0 src1_sel:DWORD
	v_or_b32_sdwa v2, v68, v2 dst_sel:WORD_1 dst_unused:UNUSED_PAD src0_sel:BYTE_0 src1_sel:DWORD
	v_or_b32_sdwa v3, v1, v2 dst_sel:DWORD dst_unused:UNUSED_PAD src0_sel:WORD_0 src1_sel:DWORD
	s_waitcnt lgkmcnt(4)
	v_perm_b32 v1, v52, v55, s88
	s_waitcnt lgkmcnt(2)
	v_perm_b32 v2, v57, v62, s88
	s_add_i32 s89, s89, 1
	v_lshl_or_b32 v1, v2, 16, v1
	s_waitcnt lgkmcnt(0)
	v_perm_b32 v2, v63, v66, s88
	v_perm_b32 v67, v53, v54, s88
	s_cmp_eq_u32 s89, 10
	v_lshl_or_b32 v2, v67, 16, v2
	s_cbranch_scc1 .LBB69_258
.LBB69_2:                               ; =>This Loop Header: Depth=1
                                        ;     Child Loop BB69_4 Depth 2
                                        ;     Child Loop BB69_36 Depth 2
	;; [unrolled: 1-line block ×8, first 2 shown]
	v_lshrrev_b32_e32 v53, 8, v4
	v_perm_b32 v52, v4, v4, s93
	v_cmp_lt_i16_sdwa s[16:17], sext(v53), sext(v4) src0_sel:BYTE_0 src1_sel:BYTE_0
	v_cndmask_b32_e64 v4, v4, v52, s[16:17]
	v_lshrrev_b32_e32 v52, 16, v4
	v_perm_b32 v53, 0, v52, s94
	v_lshrrev_b32_e32 v54, 24, v4
	v_lshlrev_b32_e32 v53, 16, v53
	v_and_or_b32 v53, v4, s95, v53
	v_cmp_lt_i16_sdwa s[18:19], sext(v54), sext(v52) src0_sel:BYTE_0 src1_sel:BYTE_0
	v_cndmask_b32_e64 v4, v4, v53, s[18:19]
	v_lshrrev_b32_e32 v53, 8, v3
	v_perm_b32 v52, v3, v3, s93
	v_cmp_lt_i16_sdwa s[20:21], sext(v53), sext(v3) src0_sel:BYTE_0 src1_sel:BYTE_0
	v_cndmask_b32_e64 v3, v3, v52, s[20:21]
	v_lshrrev_b32_e32 v52, 24, v3
	v_lshrrev_b32_e32 v53, 16, v3
	v_perm_b32 v54, v3, v3, s33
	v_cmp_lt_i16_sdwa s[22:23], sext(v52), sext(v53) src0_sel:BYTE_0 src1_sel:BYTE_0
	v_lshrrev_b32_e32 v52, 16, v4
	v_lshrrev_b32_e32 v53, 8, v4
	v_cndmask_b32_e64 v3, v3, v54, s[22:23]
	v_perm_b32 v54, v4, v4, s90
	v_cmp_lt_i16_sdwa s[24:25], sext(v52), sext(v53) src0_sel:BYTE_0 src1_sel:BYTE_0
	v_cndmask_b32_e64 v4, v4, v54, s[24:25]
	v_and_b32_sdwa v53, v4, s92 dst_sel:DWORD dst_unused:UNUSED_PAD src0_sel:WORD_1 src1_sel:DWORD
	v_lshlrev_b16_e32 v54, 8, v3
	v_or_b32_sdwa v53, v53, v54 dst_sel:WORD_1 dst_unused:UNUSED_PAD src0_sel:DWORD src1_sel:DWORD
	v_lshrrev_b32_e32 v54, 24, v4
	v_perm_b32 v52, v4, v3, s91
	v_cmp_lt_i16_sdwa s[26:27], sext(v3), sext(v54) src0_sel:BYTE_0 src1_sel:BYTE_0
	v_and_or_b32 v53, v4, s95, v53
	v_cndmask_b32_e64 v3, v3, v52, s[26:27]
	v_cndmask_b32_e64 v4, v4, v53, s[26:27]
	v_lshrrev_b32_e32 v52, 16, v3
	v_lshrrev_b32_e32 v53, 8, v3
	v_cmp_lt_i16_sdwa s[28:29], sext(v52), sext(v53) src0_sel:BYTE_0 src1_sel:BYTE_0
	v_perm_b32 v52, 0, v4, s94
	v_lshrrev_b32_e32 v53, 8, v4
	v_and_or_b32 v52, v4, s0, v52
	v_cmp_lt_i16_sdwa s[30:31], sext(v53), sext(v4) src0_sel:BYTE_0 src1_sel:BYTE_0
	v_cndmask_b32_e64 v4, v4, v52, s[30:31]
	v_lshrrev_b32_e32 v52, 16, v4
	v_perm_b32 v54, v3, v3, s90
	v_perm_b32 v53, 0, v52, s94
	v_cndmask_b32_e64 v3, v3, v54, s[28:29]
	v_lshrrev_b32_e32 v54, 24, v4
	v_lshlrev_b32_e32 v53, 16, v53
	v_and_or_b32 v53, v4, s95, v53
	v_cmp_lt_i16_sdwa s[34:35], sext(v54), sext(v52) src0_sel:BYTE_0 src1_sel:BYTE_0
	v_cndmask_b32_e64 v4, v4, v53, s[34:35]
	v_lshrrev_b32_e32 v53, 8, v3
	v_perm_b32 v52, v3, v3, s93
	v_cmp_lt_i16_sdwa s[36:37], sext(v53), sext(v3) src0_sel:BYTE_0 src1_sel:BYTE_0
	v_cndmask_b32_e64 v3, v3, v52, s[36:37]
	v_lshrrev_b32_e32 v52, 24, v3
	v_lshrrev_b32_e32 v53, 16, v3
	v_perm_b32 v54, v3, v3, s33
	v_cmp_lt_i16_sdwa s[38:39], sext(v52), sext(v53) src0_sel:BYTE_0 src1_sel:BYTE_0
	v_lshrrev_b32_e32 v52, 16, v4
	v_lshrrev_b32_e32 v53, 8, v4
	v_cndmask_b32_e64 v3, v3, v54, s[38:39]
	v_perm_b32 v54, v4, v4, s90
	v_cmp_lt_i16_sdwa s[40:41], sext(v52), sext(v53) src0_sel:BYTE_0 src1_sel:BYTE_0
	v_cndmask_b32_e64 v4, v4, v54, s[40:41]
	v_and_b32_sdwa v53, v4, s92 dst_sel:DWORD dst_unused:UNUSED_PAD src0_sel:WORD_1 src1_sel:DWORD
	v_lshlrev_b16_e32 v54, 8, v3
	v_or_b32_sdwa v53, v53, v54 dst_sel:WORD_1 dst_unused:UNUSED_PAD src0_sel:DWORD src1_sel:DWORD
	v_lshrrev_b32_e32 v54, 24, v4
	v_perm_b32 v52, v4, v3, s91
	v_cmp_lt_i16_sdwa s[42:43], sext(v3), sext(v54) src0_sel:BYTE_0 src1_sel:BYTE_0
	v_and_or_b32 v53, v4, s95, v53
	v_cndmask_b32_e64 v3, v3, v52, s[42:43]
	v_cndmask_b32_e64 v4, v4, v53, s[42:43]
	v_lshrrev_b32_e32 v52, 16, v3
	v_lshrrev_b32_e32 v53, 8, v3
	v_cmp_lt_i16_sdwa s[44:45], sext(v52), sext(v53) src0_sel:BYTE_0 src1_sel:BYTE_0
	v_perm_b32 v52, 0, v4, s94
	v_lshrrev_b32_e32 v53, 8, v4
	v_and_or_b32 v52, v4, s0, v52
	v_cmp_lt_i16_sdwa s[46:47], sext(v53), sext(v4) src0_sel:BYTE_0 src1_sel:BYTE_0
	v_cndmask_b32_e64 v4, v4, v52, s[46:47]
	v_lshrrev_b32_e32 v52, 16, v4
	v_perm_b32 v54, v3, v3, s90
	v_perm_b32 v53, 0, v52, s94
	v_cndmask_b32_e64 v3, v3, v54, s[44:45]
	;; [unrolled: 40-line block ×3, first 2 shown]
	v_lshrrev_b32_e32 v54, 24, v4
	v_lshlrev_b32_e32 v53, 16, v53
	v_and_or_b32 v53, v4, s95, v53
	v_cmp_lt_i16_sdwa s[62:63], sext(v54), sext(v52) src0_sel:BYTE_0 src1_sel:BYTE_0
	v_cndmask_b32_e64 v4, v4, v53, s[62:63]
	v_lshrrev_b32_e32 v53, 8, v3
	v_perm_b32 v52, v3, v3, s93
	v_cmp_lt_i16_sdwa s[64:65], sext(v53), sext(v3) src0_sel:BYTE_0 src1_sel:BYTE_0
	v_cndmask_b32_e64 v3, v3, v52, s[64:65]
	v_lshrrev_b32_e32 v52, 24, v3
	v_lshrrev_b32_e32 v53, 16, v3
	v_perm_b32 v54, v3, v3, s33
	v_cmp_lt_i16_sdwa s[66:67], sext(v52), sext(v53) src0_sel:BYTE_0 src1_sel:BYTE_0
	v_cndmask_b32_e64 v52, v3, v54, s[66:67]
	v_lshrrev_b32_e32 v3, 16, v4
	v_lshrrev_b32_e32 v53, 8, v4
	v_perm_b32 v54, v4, v4, s90
	v_cmp_lt_i16_sdwa s[68:69], sext(v3), sext(v53) src0_sel:BYTE_0 src1_sel:BYTE_0
	v_cndmask_b32_e64 v3, v4, v54, s[68:69]
	v_and_b32_sdwa v53, v3, s92 dst_sel:DWORD dst_unused:UNUSED_PAD src0_sel:WORD_1 src1_sel:DWORD
	v_lshlrev_b16_e32 v54, 8, v52
	v_or_b32_sdwa v53, v53, v54 dst_sel:WORD_1 dst_unused:UNUSED_PAD src0_sel:DWORD src1_sel:DWORD
	v_lshrrev_b32_e32 v54, 24, v3
	v_perm_b32 v4, v3, v52, s91
	v_cmp_lt_i16_sdwa s[70:71], sext(v52), sext(v54) src0_sel:BYTE_0 src1_sel:BYTE_0
	v_and_or_b32 v53, v3, s95, v53
	v_cndmask_b32_e64 v4, v52, v4, s[70:71]
	v_cndmask_b32_e64 v3, v3, v53, s[70:71]
	v_lshrrev_b32_e32 v52, 16, v4
	v_lshrrev_b32_e32 v53, 8, v4
	v_perm_b32 v54, v4, v4, s90
	v_cmp_lt_i16_sdwa s[72:73], sext(v52), sext(v53) src0_sel:BYTE_0 src1_sel:BYTE_0
	v_readlane_b32 s2, v88, 5
	v_cndmask_b32_e64 v4, v4, v54, s[72:73]
	v_mov_b32_e32 v57, v29
	v_readlane_b32 s3, v88, 6
	s_barrier
	ds_write_b64 v5, v[3:4]
	s_waitcnt lgkmcnt(0)
	s_barrier
	s_and_saveexec_b64 s[74:75], s[2:3]
	s_cbranch_execz .LBB69_6
; %bb.3:                                ;   in Loop: Header=BB69_2 Depth=1
	s_mov_b64 s[76:77], 0
	v_mov_b32_e32 v57, v29
	v_mov_b32_e32 v3, v28
.LBB69_4:                               ;   Parent Loop BB69_2 Depth=1
                                        ; =>  This Inner Loop Header: Depth=2
	v_sub_u32_e32 v4, v3, v57
	v_lshrrev_b32_e32 v4, 1, v4
	v_add_u32_e32 v4, v4, v57
	v_add_u32_e32 v52, v6, v4
	v_xad_u32 v53, v4, -1, v27
	ds_read_i8 v52, v52
	ds_read_i8 v53, v53
	v_add_u32_e32 v54, 1, v4
	s_waitcnt lgkmcnt(0)
	v_cmp_lt_i16_e32 vcc, v53, v52
	v_cndmask_b32_e32 v3, v3, v4, vcc
	v_cndmask_b32_e32 v57, v54, v57, vcc
	v_cmp_ge_i32_e32 vcc, v57, v3
	s_or_b64 s[76:77], vcc, s[76:77]
	s_andn2_b64 exec, exec, s[76:77]
	s_cbranch_execnz .LBB69_4
; %bb.5:                                ;   in Loop: Header=BB69_2 Depth=1
	s_or_b64 exec, exec, s[76:77]
.LBB69_6:                               ;   in Loop: Header=BB69_2 Depth=1
	s_or_b64 exec, exec, s[74:75]
	v_add_u32_e32 v56, v57, v6
	v_sub_u32_e32 v57, v27, v57
	ds_read_u8 v58, v56
	ds_read_u8 v59, v57
	v_cmp_le_i32_e64 s[74:75], v13, v56
	v_cmp_gt_i32_e32 vcc, v14, v57
	v_lshrrev_b64 v[3:4], 24, v[1:2]
	s_waitcnt lgkmcnt(1)
	v_bfe_i32 v58, v58, 0, 8
	s_waitcnt lgkmcnt(0)
	v_bfe_i32 v59, v59, 0, 8
	v_cmp_lt_i16_e64 s[76:77], v59, v58
	s_or_b64 s[74:75], s[74:75], s[76:77]
	s_and_b64 s[74:75], vcc, s[74:75]
	v_lshrrev_b32_e32 v52, 8, v2
	v_lshrrev_b32_e32 v53, 16, v2
	;; [unrolled: 1-line block ×5, first 2 shown]
	s_xor_b64 s[76:77], s[74:75], -1
                                        ; implicit-def: $vgpr60
	s_and_saveexec_b64 s[78:79], s[76:77]
	s_xor_b64 s[76:77], exec, s[78:79]
; %bb.7:                                ;   in Loop: Header=BB69_2 Depth=1
	ds_read_u8 v60, v56 offset:1
; %bb.8:                                ;   in Loop: Header=BB69_2 Depth=1
	s_or_saveexec_b64 s[76:77], s[76:77]
	v_mov_b32_e32 v61, v59
	s_xor_b64 exec, exec, s[76:77]
	s_cbranch_execz .LBB69_10
; %bb.9:                                ;   in Loop: Header=BB69_2 Depth=1
	ds_read_u8 v61, v57 offset:1
	s_waitcnt lgkmcnt(1)
	v_mov_b32_e32 v60, v58
.LBB69_10:                              ;   in Loop: Header=BB69_2 Depth=1
	s_or_b64 exec, exec, s[76:77]
	v_add_u32_e32 v63, 1, v56
	v_add_u32_e32 v62, 1, v57
	v_cndmask_b32_e64 v63, v63, v56, s[74:75]
	v_cndmask_b32_e64 v62, v57, v62, s[74:75]
	v_cmp_ge_i32_e64 s[76:77], v63, v13
	s_waitcnt lgkmcnt(0)
	v_cmp_lt_i16_sdwa s[78:79], sext(v61), sext(v60) src0_sel:BYTE_0 src1_sel:BYTE_0
	v_cmp_lt_i32_e32 vcc, v62, v14
	s_or_b64 s[76:77], s[76:77], s[78:79]
	s_and_b64 s[76:77], vcc, s[76:77]
	s_xor_b64 s[78:79], s[76:77], -1
                                        ; implicit-def: $vgpr64
	s_and_saveexec_b64 s[80:81], s[78:79]
	s_xor_b64 s[78:79], exec, s[80:81]
; %bb.11:                               ;   in Loop: Header=BB69_2 Depth=1
	ds_read_u8 v64, v63 offset:1
; %bb.12:                               ;   in Loop: Header=BB69_2 Depth=1
	s_or_saveexec_b64 s[78:79], s[78:79]
	v_mov_b32_e32 v65, v61
	s_xor_b64 exec, exec, s[78:79]
	s_cbranch_execz .LBB69_14
; %bb.13:                               ;   in Loop: Header=BB69_2 Depth=1
	ds_read_u8 v65, v62 offset:1
	s_waitcnt lgkmcnt(1)
	v_mov_b32_e32 v64, v60
.LBB69_14:                              ;   in Loop: Header=BB69_2 Depth=1
	s_or_b64 exec, exec, s[78:79]
	v_add_u32_e32 v67, 1, v63
	v_add_u32_e32 v66, 1, v62
	v_cndmask_b32_e64 v67, v67, v63, s[76:77]
	v_cndmask_b32_e64 v66, v62, v66, s[76:77]
	v_cmp_ge_i32_e64 s[78:79], v67, v13
	s_waitcnt lgkmcnt(0)
	v_cmp_lt_i16_sdwa s[80:81], sext(v65), sext(v64) src0_sel:BYTE_0 src1_sel:BYTE_0
	v_cmp_lt_i32_e32 vcc, v66, v14
	s_or_b64 s[78:79], s[78:79], s[80:81]
	s_and_b64 s[78:79], vcc, s[78:79]
	s_xor_b64 s[80:81], s[78:79], -1
                                        ; implicit-def: $vgpr68
	s_and_saveexec_b64 s[82:83], s[80:81]
	s_xor_b64 s[80:81], exec, s[82:83]
; %bb.15:                               ;   in Loop: Header=BB69_2 Depth=1
	ds_read_u8 v68, v67 offset:1
; %bb.16:                               ;   in Loop: Header=BB69_2 Depth=1
	s_or_saveexec_b64 s[80:81], s[80:81]
	v_mov_b32_e32 v69, v65
	s_xor_b64 exec, exec, s[80:81]
	s_cbranch_execz .LBB69_18
; %bb.17:                               ;   in Loop: Header=BB69_2 Depth=1
	ds_read_u8 v69, v66 offset:1
	s_waitcnt lgkmcnt(1)
	v_mov_b32_e32 v68, v64
.LBB69_18:                              ;   in Loop: Header=BB69_2 Depth=1
	s_or_b64 exec, exec, s[80:81]
	v_add_u32_e32 v71, 1, v67
	v_add_u32_e32 v70, 1, v66
	v_cndmask_b32_e64 v71, v71, v67, s[78:79]
	v_cndmask_b32_e64 v70, v66, v70, s[78:79]
	v_cmp_ge_i32_e64 s[80:81], v71, v13
	s_waitcnt lgkmcnt(0)
	v_cmp_lt_i16_sdwa s[82:83], sext(v69), sext(v68) src0_sel:BYTE_0 src1_sel:BYTE_0
	v_cmp_lt_i32_e32 vcc, v70, v14
	s_or_b64 s[80:81], s[80:81], s[82:83]
	s_and_b64 s[80:81], vcc, s[80:81]
	s_xor_b64 s[82:83], s[80:81], -1
                                        ; implicit-def: $vgpr72
	s_and_saveexec_b64 s[84:85], s[82:83]
	s_xor_b64 s[82:83], exec, s[84:85]
; %bb.19:                               ;   in Loop: Header=BB69_2 Depth=1
	ds_read_u8 v72, v71 offset:1
; %bb.20:                               ;   in Loop: Header=BB69_2 Depth=1
	s_or_saveexec_b64 s[82:83], s[82:83]
	v_mov_b32_e32 v74, v69
	s_xor_b64 exec, exec, s[82:83]
	s_cbranch_execz .LBB69_22
; %bb.21:                               ;   in Loop: Header=BB69_2 Depth=1
	ds_read_u8 v74, v70 offset:1
	s_waitcnt lgkmcnt(1)
	v_mov_b32_e32 v72, v68
.LBB69_22:                              ;   in Loop: Header=BB69_2 Depth=1
	s_or_b64 exec, exec, s[82:83]
	v_add_u32_e32 v75, 1, v71
	v_add_u32_e32 v73, 1, v70
	v_cndmask_b32_e64 v77, v75, v71, s[80:81]
	v_cndmask_b32_e64 v76, v70, v73, s[80:81]
	v_cmp_ge_i32_e64 s[82:83], v77, v13
	s_waitcnt lgkmcnt(0)
	v_cmp_lt_i16_sdwa s[84:85], sext(v74), sext(v72) src0_sel:BYTE_0 src1_sel:BYTE_0
	v_cmp_lt_i32_e32 vcc, v76, v14
	s_or_b64 s[82:83], s[82:83], s[84:85]
	s_and_b64 s[82:83], vcc, s[82:83]
	s_xor_b64 s[84:85], s[82:83], -1
                                        ; implicit-def: $vgpr78
	s_and_saveexec_b64 s[86:87], s[84:85]
	s_xor_b64 s[84:85], exec, s[86:87]
; %bb.23:                               ;   in Loop: Header=BB69_2 Depth=1
	ds_read_u8 v78, v77 offset:1
; %bb.24:                               ;   in Loop: Header=BB69_2 Depth=1
	s_or_saveexec_b64 s[84:85], s[84:85]
	v_mov_b32_e32 v79, v74
	s_xor_b64 exec, exec, s[84:85]
	s_cbranch_execz .LBB69_26
; %bb.25:                               ;   in Loop: Header=BB69_2 Depth=1
	ds_read_u8 v79, v76 offset:1
	s_waitcnt lgkmcnt(1)
	v_mov_b32_e32 v78, v72
.LBB69_26:                              ;   in Loop: Header=BB69_2 Depth=1
	s_or_b64 exec, exec, s[84:85]
	v_add_u32_e32 v75, 1, v77
	v_add_u32_e32 v73, 1, v76
	v_cndmask_b32_e64 v81, v75, v77, s[82:83]
	v_cndmask_b32_e64 v80, v76, v73, s[82:83]
	v_cmp_ge_i32_e64 s[84:85], v81, v13
	s_waitcnt lgkmcnt(0)
	v_cmp_lt_i16_sdwa s[86:87], sext(v79), sext(v78) src0_sel:BYTE_0 src1_sel:BYTE_0
	v_cmp_lt_i32_e32 vcc, v80, v14
	s_or_b64 s[84:85], s[84:85], s[86:87]
	s_and_b64 vcc, vcc, s[84:85]
	s_xor_b64 s[84:85], vcc, -1
                                        ; implicit-def: $vgpr82
	s_and_saveexec_b64 s[86:87], s[84:85]
	s_xor_b64 s[84:85], exec, s[86:87]
; %bb.27:                               ;   in Loop: Header=BB69_2 Depth=1
	ds_read_u8 v82, v81 offset:1
; %bb.28:                               ;   in Loop: Header=BB69_2 Depth=1
	s_or_saveexec_b64 s[84:85], s[84:85]
	v_mov_b32_e32 v83, v79
	s_xor_b64 exec, exec, s[84:85]
	s_cbranch_execz .LBB69_30
; %bb.29:                               ;   in Loop: Header=BB69_2 Depth=1
	ds_read_u8 v83, v80 offset:1
	s_waitcnt lgkmcnt(1)
	v_mov_b32_e32 v82, v78
.LBB69_30:                              ;   in Loop: Header=BB69_2 Depth=1
	s_or_b64 exec, exec, s[84:85]
	v_add_u32_e32 v75, 1, v81
	v_add_u32_e32 v73, 1, v80
	v_cndmask_b32_e32 v85, v75, v81, vcc
	v_cndmask_b32_e32 v84, v80, v73, vcc
	v_cmp_ge_i32_e64 s[86:87], v85, v13
	s_waitcnt lgkmcnt(0)
	v_cmp_lt_i16_sdwa s[2:3], sext(v83), sext(v82) src0_sel:BYTE_0 src1_sel:BYTE_0
	v_cmp_lt_i32_e64 s[84:85], v84, v14
	s_or_b64 s[2:3], s[86:87], s[2:3]
	s_and_b64 s[84:85], s[84:85], s[2:3]
	s_xor_b64 s[2:3], s[84:85], -1
                                        ; implicit-def: $vgpr73
	s_and_saveexec_b64 s[86:87], s[2:3]
	s_xor_b64 s[86:87], exec, s[86:87]
; %bb.31:                               ;   in Loop: Header=BB69_2 Depth=1
	ds_read_u8 v73, v85 offset:1
; %bb.32:                               ;   in Loop: Header=BB69_2 Depth=1
	s_or_saveexec_b64 s[86:87], s[86:87]
	v_mov_b32_e32 v75, v83
	s_xor_b64 exec, exec, s[86:87]
	s_cbranch_execz .LBB69_34
; %bb.33:                               ;   in Loop: Header=BB69_2 Depth=1
	ds_read_u8 v75, v84 offset:1
	s_waitcnt lgkmcnt(1)
	v_mov_b32_e32 v73, v82
.LBB69_34:                              ;   in Loop: Header=BB69_2 Depth=1
	s_or_b64 exec, exec, s[86:87]
	v_perm_b32 v2, v2, v52, s88
	v_perm_b32 v52, v53, v55, s88
	v_lshl_or_b32 v2, v52, 16, v2
	v_perm_b32 v52, v4, v1, s88
	v_perm_b32 v1, v1, v4, s88
	;; [unrolled: 1-line block ×3, first 2 shown]
	v_cndmask_b32_e64 v1, v1, v52, s[16:17]
	v_lshl_or_b32 v1, v3, 16, v1
	v_perm_b32 v3, 0, v3, s94
	v_lshlrev_b32_e32 v3, 16, v3
	v_and_or_b32 v3, v1, s95, v3
	v_cndmask_b32_e64 v1, v1, v3, s[18:19]
	v_perm_b32 v3, v2, v2, s93
	v_cndmask_b32_e64 v2, v2, v3, s[20:21]
	v_perm_b32 v3, v2, v2, s33
	v_cndmask_b32_e64 v2, v2, v3, s[22:23]
	v_perm_b32 v3, v1, v1, s90
	v_cndmask_b32_e64 v1, v1, v3, s[24:25]
	v_and_b32_sdwa v4, v1, s92 dst_sel:DWORD dst_unused:UNUSED_PAD src0_sel:WORD_1 src1_sel:DWORD
	v_lshlrev_b16_e32 v52, 8, v2
	v_or_b32_sdwa v4, v4, v52 dst_sel:WORD_1 dst_unused:UNUSED_PAD src0_sel:DWORD src1_sel:DWORD
	v_and_or_b32 v4, v1, s95, v4
	v_perm_b32 v3, v1, v2, s91
	v_cndmask_b32_e64 v1, v1, v4, s[26:27]
	v_perm_b32 v4, 0, v1, s94
	v_cndmask_b32_e64 v2, v2, v3, s[26:27]
	v_and_or_b32 v4, v1, s0, v4
	v_perm_b32 v3, v2, v2, s90
	v_cndmask_b32_e64 v1, v1, v4, s[30:31]
	v_cndmask_b32_e64 v2, v2, v3, s[28:29]
	v_lshrrev_b32_e32 v3, 16, v1
	v_perm_b32 v3, 0, v3, s94
	v_lshlrev_b32_e32 v3, 16, v3
	v_and_or_b32 v3, v1, s95, v3
	v_cndmask_b32_e64 v1, v1, v3, s[34:35]
	v_perm_b32 v3, v2, v2, s93
	v_cndmask_b32_e64 v2, v2, v3, s[36:37]
	v_perm_b32 v3, v2, v2, s33
	v_cndmask_b32_e64 v2, v2, v3, s[38:39]
	v_perm_b32 v3, v1, v1, s90
	v_cndmask_b32_e64 v1, v1, v3, s[40:41]
	v_and_b32_sdwa v4, v1, s92 dst_sel:DWORD dst_unused:UNUSED_PAD src0_sel:WORD_1 src1_sel:DWORD
	v_lshlrev_b16_e32 v52, 8, v2
	v_or_b32_sdwa v4, v4, v52 dst_sel:WORD_1 dst_unused:UNUSED_PAD src0_sel:DWORD src1_sel:DWORD
	v_and_or_b32 v4, v1, s95, v4
	v_perm_b32 v3, v1, v2, s91
	v_cndmask_b32_e64 v1, v1, v4, s[42:43]
	v_perm_b32 v4, 0, v1, s94
	v_cndmask_b32_e64 v2, v2, v3, s[42:43]
	v_and_or_b32 v4, v1, s0, v4
	v_perm_b32 v3, v2, v2, s90
	v_cndmask_b32_e64 v1, v1, v4, s[46:47]
	v_cndmask_b32_e64 v2, v2, v3, s[44:45]
	v_lshrrev_b32_e32 v3, 16, v1
	;; [unrolled: 23-line block ×3, first 2 shown]
	v_perm_b32 v3, 0, v3, s94
	v_lshlrev_b32_e32 v3, 16, v3
	v_and_or_b32 v3, v1, s95, v3
	v_cndmask_b32_e64 v1, v1, v3, s[62:63]
	v_perm_b32 v3, v2, v2, s93
	v_cndmask_b32_e64 v2, v2, v3, s[64:65]
	v_perm_b32 v3, v2, v2, s33
	v_add_u32_e32 v86, 1, v85
	v_cndmask_b32_e64 v2, v2, v3, s[66:67]
	v_perm_b32 v3, v1, v1, s90
	v_cndmask_b32_e64 v82, v82, v83, s[84:85]
	v_add_u32_e32 v83, 1, v84
	v_cndmask_b32_e64 v86, v86, v85, s[84:85]
	v_cndmask_b32_e64 v1, v1, v3, s[68:69]
	;; [unrolled: 1-line block ×3, first 2 shown]
	v_perm_b32 v3, v1, v2, s91
	v_and_b32_sdwa v4, v1, s92 dst_sel:DWORD dst_unused:UNUSED_PAD src0_sel:WORD_1 src1_sel:DWORD
	v_lshlrev_b16_e32 v52, 8, v2
	v_cmp_ge_i32_e64 s[16:17], v86, v13
	s_waitcnt lgkmcnt(0)
	v_cmp_lt_i16_sdwa s[2:3], sext(v75), sext(v73) src0_sel:BYTE_0 src1_sel:BYTE_0
	v_cndmask_b32_sdwa v78, v78, v79, vcc dst_sel:BYTE_1 dst_unused:UNUSED_PAD src0_sel:DWORD src1_sel:DWORD
	v_cndmask_b32_e32 v79, v81, v80, vcc
	v_or_b32_sdwa v4, v4, v52 dst_sel:WORD_1 dst_unused:UNUSED_PAD src0_sel:DWORD src1_sel:DWORD
	v_cndmask_b32_e64 v2, v2, v3, s[70:71]
	v_cmp_lt_i32_e32 vcc, v83, v14
	s_or_b64 s[2:3], s[16:17], s[2:3]
	v_and_or_b32 v4, v1, s95, v4
	v_perm_b32 v3, v2, v2, s90
	s_and_b64 vcc, vcc, s[2:3]
	v_cndmask_b32_e64 v56, v56, v57, s[74:75]
	v_cndmask_b32_e64 v1, v1, v4, s[70:71]
	;; [unrolled: 1-line block ×3, first 2 shown]
	v_cndmask_b32_e32 v3, v86, v83, vcc
	v_cndmask_b32_e64 v84, v85, v84, s[84:85]
	v_cndmask_b32_e64 v72, v72, v74, s[82:83]
	;; [unrolled: 1-line block ×9, first 2 shown]
	s_barrier
	ds_write_b64 v5, v[1:2]
	s_waitcnt lgkmcnt(0)
	s_barrier
	ds_read_u8 v1, v56
	ds_read_u8 v52, v3
	;; [unrolled: 1-line block ×8, first 2 shown]
	v_cndmask_b32_e64 v58, v58, v59, s[74:75]
	v_lshlrev_b16_e32 v56, 8, v60
	v_cndmask_b32_e32 v57, v73, v75, vcc
	v_or_b32_sdwa v56, v58, v56 dst_sel:DWORD dst_unused:UNUSED_PAD src0_sel:BYTE_0 src1_sel:DWORD
	v_lshlrev_b16_e32 v58, 8, v68
	v_or_b32_sdwa v58, v64, v58 dst_sel:WORD_1 dst_unused:UNUSED_PAD src0_sel:BYTE_0 src1_sel:DWORD
	v_lshlrev_b16_e32 v57, 8, v57
	v_or_b32_sdwa v56, v56, v58 dst_sel:DWORD dst_unused:UNUSED_PAD src0_sel:WORD_0 src1_sel:DWORD
	v_or_b32_sdwa v58, v72, v78 dst_sel:DWORD dst_unused:UNUSED_PAD src0_sel:BYTE_0 src1_sel:DWORD
	v_or_b32_sdwa v57, v82, v57 dst_sel:WORD_1 dst_unused:UNUSED_PAD src0_sel:BYTE_0 src1_sel:DWORD
	v_or_b32_sdwa v57, v58, v57 dst_sel:DWORD dst_unused:UNUSED_PAD src0_sel:WORD_0 src1_sel:DWORD
	s_waitcnt lgkmcnt(0)
	s_barrier
	ds_write_b64 v5, v[56:57]
	v_mov_b32_e32 v57, v30
	s_waitcnt lgkmcnt(0)
	s_barrier
	s_mov_b64 s[16:17], exec
	v_readlane_b32 s2, v88, 7
	v_readlane_b32 s3, v88, 8
	s_and_b64 s[2:3], s[16:17], s[2:3]
	s_mov_b64 exec, s[2:3]
	s_cbranch_execz .LBB69_38
; %bb.35:                               ;   in Loop: Header=BB69_2 Depth=1
	s_mov_b64 s[18:19], 0
	v_mov_b32_e32 v57, v30
	v_mov_b32_e32 v56, v31
.LBB69_36:                              ;   Parent Loop BB69_2 Depth=1
                                        ; =>  This Inner Loop Header: Depth=2
	v_sub_u32_e32 v58, v56, v57
	v_lshrrev_b32_e32 v58, 1, v58
	v_add_u32_e32 v58, v58, v57
	v_add_u32_e32 v59, v7, v58
	v_xad_u32 v60, v58, -1, v32
	ds_read_i8 v59, v59
	ds_read_i8 v60, v60
	v_add_u32_e32 v61, 1, v58
	s_waitcnt lgkmcnt(0)
	v_cmp_lt_i16_e32 vcc, v60, v59
	v_cndmask_b32_e32 v56, v56, v58, vcc
	v_cndmask_b32_e32 v57, v61, v57, vcc
	v_cmp_ge_i32_e32 vcc, v57, v56
	s_or_b64 s[18:19], vcc, s[18:19]
	s_andn2_b64 exec, exec, s[18:19]
	s_cbranch_execnz .LBB69_36
; %bb.37:                               ;   in Loop: Header=BB69_2 Depth=1
	s_or_b64 exec, exec, s[18:19]
.LBB69_38:                              ;   in Loop: Header=BB69_2 Depth=1
	s_or_b64 exec, exec, s[16:17]
	v_add_u32_e32 v56, v57, v7
	v_sub_u32_e32 v57, v32, v57
	ds_read_u8 v58, v56
	ds_read_u8 v59, v57
	v_cmp_le_i32_e64 s[16:17], v15, v56
	v_cmp_gt_i32_e32 vcc, v16, v57
                                        ; implicit-def: $vgpr60
	s_waitcnt lgkmcnt(1)
	v_bfe_i32 v58, v58, 0, 8
	s_waitcnt lgkmcnt(0)
	v_bfe_i32 v59, v59, 0, 8
	v_cmp_lt_i16_e64 s[18:19], v59, v58
	s_or_b64 s[2:3], s[16:17], s[18:19]
	s_and_b64 s[16:17], vcc, s[2:3]
	s_xor_b64 s[2:3], s[16:17], -1
	s_and_saveexec_b64 s[18:19], s[2:3]
	s_xor_b64 s[18:19], exec, s[18:19]
; %bb.39:                               ;   in Loop: Header=BB69_2 Depth=1
	ds_read_u8 v60, v56 offset:1
; %bb.40:                               ;   in Loop: Header=BB69_2 Depth=1
	s_or_saveexec_b64 s[18:19], s[18:19]
	v_mov_b32_e32 v61, v59
	s_xor_b64 exec, exec, s[18:19]
	s_cbranch_execz .LBB69_42
; %bb.41:                               ;   in Loop: Header=BB69_2 Depth=1
	ds_read_u8 v61, v57 offset:1
	s_waitcnt lgkmcnt(1)
	v_mov_b32_e32 v60, v58
.LBB69_42:                              ;   in Loop: Header=BB69_2 Depth=1
	s_or_b64 exec, exec, s[18:19]
	v_add_u32_e32 v63, 1, v56
	v_add_u32_e32 v62, 1, v57
	v_cndmask_b32_e64 v63, v63, v56, s[16:17]
	v_cndmask_b32_e64 v62, v57, v62, s[16:17]
	v_cmp_ge_i32_e64 s[18:19], v63, v15
	s_waitcnt lgkmcnt(0)
	v_cmp_lt_i16_sdwa s[2:3], sext(v61), sext(v60) src0_sel:BYTE_0 src1_sel:BYTE_0
	v_cmp_lt_i32_e32 vcc, v62, v16
	s_or_b64 s[2:3], s[18:19], s[2:3]
	s_and_b64 s[18:19], vcc, s[2:3]
	s_xor_b64 s[2:3], s[18:19], -1
                                        ; implicit-def: $vgpr64
	s_and_saveexec_b64 s[20:21], s[2:3]
	s_xor_b64 s[20:21], exec, s[20:21]
; %bb.43:                               ;   in Loop: Header=BB69_2 Depth=1
	ds_read_u8 v64, v63 offset:1
; %bb.44:                               ;   in Loop: Header=BB69_2 Depth=1
	s_or_saveexec_b64 s[20:21], s[20:21]
	v_mov_b32_e32 v65, v61
	s_xor_b64 exec, exec, s[20:21]
	s_cbranch_execz .LBB69_46
; %bb.45:                               ;   in Loop: Header=BB69_2 Depth=1
	ds_read_u8 v65, v62 offset:1
	s_waitcnt lgkmcnt(1)
	v_mov_b32_e32 v64, v60
.LBB69_46:                              ;   in Loop: Header=BB69_2 Depth=1
	s_or_b64 exec, exec, s[20:21]
	v_add_u32_e32 v67, 1, v63
	v_add_u32_e32 v66, 1, v62
	v_cndmask_b32_e64 v67, v67, v63, s[18:19]
	v_cndmask_b32_e64 v66, v62, v66, s[18:19]
	v_cmp_ge_i32_e64 s[20:21], v67, v15
	s_waitcnt lgkmcnt(0)
	v_cmp_lt_i16_sdwa s[2:3], sext(v65), sext(v64) src0_sel:BYTE_0 src1_sel:BYTE_0
	v_cmp_lt_i32_e32 vcc, v66, v16
	s_or_b64 s[2:3], s[20:21], s[2:3]
	s_and_b64 s[20:21], vcc, s[2:3]
	s_xor_b64 s[2:3], s[20:21], -1
                                        ; implicit-def: $vgpr68
	s_and_saveexec_b64 s[22:23], s[2:3]
	s_xor_b64 s[22:23], exec, s[22:23]
; %bb.47:                               ;   in Loop: Header=BB69_2 Depth=1
	ds_read_u8 v68, v67 offset:1
; %bb.48:                               ;   in Loop: Header=BB69_2 Depth=1
	s_or_saveexec_b64 s[22:23], s[22:23]
	v_mov_b32_e32 v69, v65
	s_xor_b64 exec, exec, s[22:23]
	s_cbranch_execz .LBB69_50
; %bb.49:                               ;   in Loop: Header=BB69_2 Depth=1
	ds_read_u8 v69, v66 offset:1
	s_waitcnt lgkmcnt(1)
	v_mov_b32_e32 v68, v64
.LBB69_50:                              ;   in Loop: Header=BB69_2 Depth=1
	s_or_b64 exec, exec, s[22:23]
	v_add_u32_e32 v71, 1, v67
	v_add_u32_e32 v70, 1, v66
	v_cndmask_b32_e64 v71, v71, v67, s[20:21]
	v_cndmask_b32_e64 v70, v66, v70, s[20:21]
	v_cmp_ge_i32_e64 s[22:23], v71, v15
	s_waitcnt lgkmcnt(0)
	v_cmp_lt_i16_sdwa s[2:3], sext(v69), sext(v68) src0_sel:BYTE_0 src1_sel:BYTE_0
	v_cmp_lt_i32_e32 vcc, v70, v16
	s_or_b64 s[2:3], s[22:23], s[2:3]
	s_and_b64 s[22:23], vcc, s[2:3]
	s_xor_b64 s[2:3], s[22:23], -1
                                        ; implicit-def: $vgpr72
	s_and_saveexec_b64 s[24:25], s[2:3]
	s_xor_b64 s[24:25], exec, s[24:25]
; %bb.51:                               ;   in Loop: Header=BB69_2 Depth=1
	ds_read_u8 v72, v71 offset:1
; %bb.52:                               ;   in Loop: Header=BB69_2 Depth=1
	s_or_saveexec_b64 s[24:25], s[24:25]
	v_mov_b32_e32 v73, v69
	s_xor_b64 exec, exec, s[24:25]
	s_cbranch_execz .LBB69_54
; %bb.53:                               ;   in Loop: Header=BB69_2 Depth=1
	ds_read_u8 v73, v70 offset:1
	s_waitcnt lgkmcnt(1)
	v_mov_b32_e32 v72, v68
.LBB69_54:                              ;   in Loop: Header=BB69_2 Depth=1
	s_or_b64 exec, exec, s[24:25]
	v_add_u32_e32 v75, 1, v71
	v_add_u32_e32 v74, 1, v70
	v_cndmask_b32_e64 v75, v75, v71, s[22:23]
	v_cndmask_b32_e64 v74, v70, v74, s[22:23]
	v_cmp_ge_i32_e64 s[24:25], v75, v15
	s_waitcnt lgkmcnt(0)
	v_cmp_lt_i16_sdwa s[2:3], sext(v73), sext(v72) src0_sel:BYTE_0 src1_sel:BYTE_0
	v_cmp_lt_i32_e32 vcc, v74, v16
	s_or_b64 s[2:3], s[24:25], s[2:3]
	s_and_b64 s[24:25], vcc, s[2:3]
	s_xor_b64 s[2:3], s[24:25], -1
                                        ; implicit-def: $vgpr76
	s_and_saveexec_b64 s[26:27], s[2:3]
	s_xor_b64 s[26:27], exec, s[26:27]
; %bb.55:                               ;   in Loop: Header=BB69_2 Depth=1
	ds_read_u8 v76, v75 offset:1
; %bb.56:                               ;   in Loop: Header=BB69_2 Depth=1
	s_or_saveexec_b64 s[26:27], s[26:27]
	v_mov_b32_e32 v77, v73
	s_xor_b64 exec, exec, s[26:27]
	s_cbranch_execz .LBB69_58
; %bb.57:                               ;   in Loop: Header=BB69_2 Depth=1
	ds_read_u8 v77, v74 offset:1
	s_waitcnt lgkmcnt(1)
	v_mov_b32_e32 v76, v72
.LBB69_58:                              ;   in Loop: Header=BB69_2 Depth=1
	s_or_b64 exec, exec, s[26:27]
	v_add_u32_e32 v79, 1, v75
	v_add_u32_e32 v78, 1, v74
	v_cndmask_b32_e64 v79, v79, v75, s[24:25]
	v_cndmask_b32_e64 v78, v74, v78, s[24:25]
	v_cmp_ge_i32_e64 s[26:27], v79, v15
	s_waitcnt lgkmcnt(0)
	v_cmp_lt_i16_sdwa s[2:3], sext(v77), sext(v76) src0_sel:BYTE_0 src1_sel:BYTE_0
	v_cmp_lt_i32_e32 vcc, v78, v16
	s_or_b64 s[2:3], s[26:27], s[2:3]
	s_and_b64 vcc, vcc, s[2:3]
	s_xor_b64 s[2:3], vcc, -1
                                        ; implicit-def: $vgpr80
	s_and_saveexec_b64 s[26:27], s[2:3]
	s_xor_b64 s[26:27], exec, s[26:27]
; %bb.59:                               ;   in Loop: Header=BB69_2 Depth=1
	ds_read_u8 v80, v79 offset:1
; %bb.60:                               ;   in Loop: Header=BB69_2 Depth=1
	s_or_saveexec_b64 s[26:27], s[26:27]
	v_mov_b32_e32 v81, v77
	s_xor_b64 exec, exec, s[26:27]
	s_cbranch_execz .LBB69_62
; %bb.61:                               ;   in Loop: Header=BB69_2 Depth=1
	ds_read_u8 v81, v78 offset:1
	s_waitcnt lgkmcnt(1)
	v_mov_b32_e32 v80, v76
.LBB69_62:                              ;   in Loop: Header=BB69_2 Depth=1
	s_or_b64 exec, exec, s[26:27]
	v_add_u32_e32 v84, 1, v79
	v_add_u32_e32 v82, 1, v78
	v_cndmask_b32_e32 v84, v84, v79, vcc
	v_cndmask_b32_e32 v83, v78, v82, vcc
	v_cmp_ge_i32_e64 s[28:29], v84, v15
	s_waitcnt lgkmcnt(0)
	v_cmp_lt_i16_sdwa s[2:3], sext(v81), sext(v80) src0_sel:BYTE_0 src1_sel:BYTE_0
	v_cmp_lt_i32_e64 s[26:27], v83, v16
	s_or_b64 s[2:3], s[28:29], s[2:3]
	s_and_b64 s[26:27], s[26:27], s[2:3]
	s_xor_b64 s[2:3], s[26:27], -1
                                        ; implicit-def: $vgpr82
	s_and_saveexec_b64 s[28:29], s[2:3]
	s_xor_b64 s[28:29], exec, s[28:29]
; %bb.63:                               ;   in Loop: Header=BB69_2 Depth=1
	ds_read_u8 v82, v84 offset:1
; %bb.64:                               ;   in Loop: Header=BB69_2 Depth=1
	s_or_saveexec_b64 s[28:29], s[28:29]
	v_mov_b32_e32 v85, v81
	s_xor_b64 exec, exec, s[28:29]
	s_cbranch_execz .LBB69_66
; %bb.65:                               ;   in Loop: Header=BB69_2 Depth=1
	ds_read_u8 v85, v83 offset:1
	s_waitcnt lgkmcnt(1)
	v_mov_b32_e32 v82, v80
.LBB69_66:                              ;   in Loop: Header=BB69_2 Depth=1
	s_or_b64 exec, exec, s[28:29]
	v_add_u32_e32 v86, 1, v84
	v_cndmask_b32_e64 v80, v80, v81, s[26:27]
	v_add_u32_e32 v81, 1, v83
	v_cndmask_b32_e64 v86, v86, v84, s[26:27]
	v_cndmask_b32_e64 v81, v83, v81, s[26:27]
	v_cndmask_b32_e64 v58, v58, v59, s[16:17]
	v_cndmask_b32_e64 v56, v56, v57, s[16:17]
	v_cmp_ge_i32_e64 s[16:17], v86, v15
	s_waitcnt lgkmcnt(0)
	v_cmp_lt_i16_sdwa s[2:3], sext(v85), sext(v82) src0_sel:BYTE_0 src1_sel:BYTE_0
	v_cndmask_b32_sdwa v76, v76, v77, vcc dst_sel:BYTE_1 dst_unused:UNUSED_PAD src0_sel:DWORD src1_sel:DWORD
	v_cndmask_b32_e32 v77, v79, v78, vcc
	v_cmp_lt_i32_e32 vcc, v81, v16
	s_or_b64 s[2:3], s[16:17], s[2:3]
	v_perm_b32 v53, v53, v54, s88
	v_perm_b32 v52, v55, v52, s88
	;; [unrolled: 1-line block ×4, first 2 shown]
	s_and_b64 vcc, vcc, s[2:3]
	v_lshl_or_b32 v53, v52, 16, v53
	v_lshl_or_b32 v52, v2, 16, v1
	v_cndmask_b32_e64 v83, v84, v83, s[26:27]
	v_cndmask_b32_e64 v72, v72, v73, s[24:25]
	;; [unrolled: 1-line block ×9, first 2 shown]
	v_cndmask_b32_e32 v59, v86, v81, vcc
	s_barrier
	ds_write_b64 v5, v[52:53]
	s_waitcnt lgkmcnt(0)
	s_barrier
	ds_read_u8 v1, v56
	ds_read_u8 v52, v59
	;; [unrolled: 1-line block ×8, first 2 shown]
	v_lshlrev_b16_e32 v56, 8, v60
	v_cndmask_b32_e32 v57, v82, v85, vcc
	v_or_b32_sdwa v56, v58, v56 dst_sel:DWORD dst_unused:UNUSED_PAD src0_sel:BYTE_0 src1_sel:DWORD
	v_lshlrev_b16_e32 v58, 8, v68
	v_or_b32_sdwa v58, v64, v58 dst_sel:WORD_1 dst_unused:UNUSED_PAD src0_sel:BYTE_0 src1_sel:DWORD
	v_lshlrev_b16_e32 v57, 8, v57
	v_or_b32_sdwa v56, v56, v58 dst_sel:DWORD dst_unused:UNUSED_PAD src0_sel:WORD_0 src1_sel:DWORD
	v_or_b32_sdwa v58, v72, v76 dst_sel:DWORD dst_unused:UNUSED_PAD src0_sel:BYTE_0 src1_sel:DWORD
	v_or_b32_sdwa v57, v80, v57 dst_sel:WORD_1 dst_unused:UNUSED_PAD src0_sel:BYTE_0 src1_sel:DWORD
	v_or_b32_sdwa v57, v58, v57 dst_sel:DWORD dst_unused:UNUSED_PAD src0_sel:WORD_0 src1_sel:DWORD
	s_waitcnt lgkmcnt(0)
	s_barrier
	ds_write_b64 v5, v[56:57]
	v_mov_b32_e32 v57, v33
	s_waitcnt lgkmcnt(0)
	s_barrier
	s_and_saveexec_b64 s[16:17], s[4:5]
	s_cbranch_execz .LBB69_70
; %bb.67:                               ;   in Loop: Header=BB69_2 Depth=1
	s_mov_b64 s[18:19], 0
	v_mov_b32_e32 v57, v33
	v_mov_b32_e32 v56, v34
.LBB69_68:                              ;   Parent Loop BB69_2 Depth=1
                                        ; =>  This Inner Loop Header: Depth=2
	v_sub_u32_e32 v58, v56, v57
	v_lshrrev_b32_e32 v58, 1, v58
	v_add_u32_e32 v58, v58, v57
	v_add_u32_e32 v59, v8, v58
	v_xad_u32 v60, v58, -1, v35
	ds_read_i8 v59, v59
	ds_read_i8 v60, v60
	v_add_u32_e32 v61, 1, v58
	s_waitcnt lgkmcnt(0)
	v_cmp_lt_i16_e32 vcc, v60, v59
	v_cndmask_b32_e32 v56, v56, v58, vcc
	v_cndmask_b32_e32 v57, v61, v57, vcc
	v_cmp_ge_i32_e32 vcc, v57, v56
	s_or_b64 s[18:19], vcc, s[18:19]
	s_andn2_b64 exec, exec, s[18:19]
	s_cbranch_execnz .LBB69_68
; %bb.69:                               ;   in Loop: Header=BB69_2 Depth=1
	s_or_b64 exec, exec, s[18:19]
.LBB69_70:                              ;   in Loop: Header=BB69_2 Depth=1
	s_or_b64 exec, exec, s[16:17]
	v_add_u32_e32 v56, v57, v8
	v_sub_u32_e32 v57, v35, v57
	ds_read_u8 v58, v56
	ds_read_u8 v59, v57
	v_cmp_le_i32_e64 s[16:17], v17, v56
	v_cmp_gt_i32_e32 vcc, v18, v57
                                        ; implicit-def: $vgpr60
	s_waitcnt lgkmcnt(1)
	v_bfe_i32 v58, v58, 0, 8
	s_waitcnt lgkmcnt(0)
	v_bfe_i32 v59, v59, 0, 8
	v_cmp_lt_i16_e64 s[18:19], v59, v58
	s_or_b64 s[2:3], s[16:17], s[18:19]
	s_and_b64 s[16:17], vcc, s[2:3]
	s_xor_b64 s[2:3], s[16:17], -1
	s_and_saveexec_b64 s[18:19], s[2:3]
	s_xor_b64 s[18:19], exec, s[18:19]
; %bb.71:                               ;   in Loop: Header=BB69_2 Depth=1
	ds_read_u8 v60, v56 offset:1
; %bb.72:                               ;   in Loop: Header=BB69_2 Depth=1
	s_or_saveexec_b64 s[18:19], s[18:19]
	v_mov_b32_e32 v61, v59
	s_xor_b64 exec, exec, s[18:19]
	s_cbranch_execz .LBB69_74
; %bb.73:                               ;   in Loop: Header=BB69_2 Depth=1
	ds_read_u8 v61, v57 offset:1
	s_waitcnt lgkmcnt(1)
	v_mov_b32_e32 v60, v58
.LBB69_74:                              ;   in Loop: Header=BB69_2 Depth=1
	s_or_b64 exec, exec, s[18:19]
	v_add_u32_e32 v63, 1, v56
	v_add_u32_e32 v62, 1, v57
	v_cndmask_b32_e64 v63, v63, v56, s[16:17]
	v_cndmask_b32_e64 v62, v57, v62, s[16:17]
	v_cmp_ge_i32_e64 s[18:19], v63, v17
	s_waitcnt lgkmcnt(0)
	v_cmp_lt_i16_sdwa s[2:3], sext(v61), sext(v60) src0_sel:BYTE_0 src1_sel:BYTE_0
	v_cmp_lt_i32_e32 vcc, v62, v18
	s_or_b64 s[2:3], s[18:19], s[2:3]
	s_and_b64 s[18:19], vcc, s[2:3]
	s_xor_b64 s[2:3], s[18:19], -1
                                        ; implicit-def: $vgpr64
	s_and_saveexec_b64 s[20:21], s[2:3]
	s_xor_b64 s[20:21], exec, s[20:21]
; %bb.75:                               ;   in Loop: Header=BB69_2 Depth=1
	ds_read_u8 v64, v63 offset:1
; %bb.76:                               ;   in Loop: Header=BB69_2 Depth=1
	s_or_saveexec_b64 s[20:21], s[20:21]
	v_mov_b32_e32 v65, v61
	s_xor_b64 exec, exec, s[20:21]
	s_cbranch_execz .LBB69_78
; %bb.77:                               ;   in Loop: Header=BB69_2 Depth=1
	ds_read_u8 v65, v62 offset:1
	s_waitcnt lgkmcnt(1)
	v_mov_b32_e32 v64, v60
.LBB69_78:                              ;   in Loop: Header=BB69_2 Depth=1
	s_or_b64 exec, exec, s[20:21]
	v_add_u32_e32 v67, 1, v63
	v_add_u32_e32 v66, 1, v62
	v_cndmask_b32_e64 v67, v67, v63, s[18:19]
	v_cndmask_b32_e64 v66, v62, v66, s[18:19]
	v_cmp_ge_i32_e64 s[20:21], v67, v17
	s_waitcnt lgkmcnt(0)
	v_cmp_lt_i16_sdwa s[2:3], sext(v65), sext(v64) src0_sel:BYTE_0 src1_sel:BYTE_0
	v_cmp_lt_i32_e32 vcc, v66, v18
	s_or_b64 s[2:3], s[20:21], s[2:3]
	s_and_b64 s[20:21], vcc, s[2:3]
	s_xor_b64 s[2:3], s[20:21], -1
                                        ; implicit-def: $vgpr68
	s_and_saveexec_b64 s[22:23], s[2:3]
	s_xor_b64 s[22:23], exec, s[22:23]
; %bb.79:                               ;   in Loop: Header=BB69_2 Depth=1
	ds_read_u8 v68, v67 offset:1
; %bb.80:                               ;   in Loop: Header=BB69_2 Depth=1
	s_or_saveexec_b64 s[22:23], s[22:23]
	v_mov_b32_e32 v69, v65
	s_xor_b64 exec, exec, s[22:23]
	s_cbranch_execz .LBB69_82
; %bb.81:                               ;   in Loop: Header=BB69_2 Depth=1
	ds_read_u8 v69, v66 offset:1
	s_waitcnt lgkmcnt(1)
	v_mov_b32_e32 v68, v64
.LBB69_82:                              ;   in Loop: Header=BB69_2 Depth=1
	s_or_b64 exec, exec, s[22:23]
	v_add_u32_e32 v71, 1, v67
	v_add_u32_e32 v70, 1, v66
	v_cndmask_b32_e64 v71, v71, v67, s[20:21]
	v_cndmask_b32_e64 v70, v66, v70, s[20:21]
	v_cmp_ge_i32_e64 s[22:23], v71, v17
	s_waitcnt lgkmcnt(0)
	v_cmp_lt_i16_sdwa s[2:3], sext(v69), sext(v68) src0_sel:BYTE_0 src1_sel:BYTE_0
	v_cmp_lt_i32_e32 vcc, v70, v18
	s_or_b64 s[2:3], s[22:23], s[2:3]
	s_and_b64 s[22:23], vcc, s[2:3]
	s_xor_b64 s[2:3], s[22:23], -1
                                        ; implicit-def: $vgpr72
	s_and_saveexec_b64 s[24:25], s[2:3]
	s_xor_b64 s[24:25], exec, s[24:25]
; %bb.83:                               ;   in Loop: Header=BB69_2 Depth=1
	ds_read_u8 v72, v71 offset:1
; %bb.84:                               ;   in Loop: Header=BB69_2 Depth=1
	s_or_saveexec_b64 s[24:25], s[24:25]
	v_mov_b32_e32 v73, v69
	s_xor_b64 exec, exec, s[24:25]
	s_cbranch_execz .LBB69_86
; %bb.85:                               ;   in Loop: Header=BB69_2 Depth=1
	ds_read_u8 v73, v70 offset:1
	s_waitcnt lgkmcnt(1)
	v_mov_b32_e32 v72, v68
.LBB69_86:                              ;   in Loop: Header=BB69_2 Depth=1
	s_or_b64 exec, exec, s[24:25]
	v_add_u32_e32 v75, 1, v71
	v_add_u32_e32 v74, 1, v70
	v_cndmask_b32_e64 v75, v75, v71, s[22:23]
	v_cndmask_b32_e64 v74, v70, v74, s[22:23]
	v_cmp_ge_i32_e64 s[24:25], v75, v17
	s_waitcnt lgkmcnt(0)
	v_cmp_lt_i16_sdwa s[2:3], sext(v73), sext(v72) src0_sel:BYTE_0 src1_sel:BYTE_0
	v_cmp_lt_i32_e32 vcc, v74, v18
	s_or_b64 s[2:3], s[24:25], s[2:3]
	s_and_b64 s[24:25], vcc, s[2:3]
	s_xor_b64 s[2:3], s[24:25], -1
                                        ; implicit-def: $vgpr76
	s_and_saveexec_b64 s[26:27], s[2:3]
	s_xor_b64 s[26:27], exec, s[26:27]
; %bb.87:                               ;   in Loop: Header=BB69_2 Depth=1
	ds_read_u8 v76, v75 offset:1
; %bb.88:                               ;   in Loop: Header=BB69_2 Depth=1
	s_or_saveexec_b64 s[26:27], s[26:27]
	v_mov_b32_e32 v77, v73
	s_xor_b64 exec, exec, s[26:27]
	s_cbranch_execz .LBB69_90
; %bb.89:                               ;   in Loop: Header=BB69_2 Depth=1
	ds_read_u8 v77, v74 offset:1
	s_waitcnt lgkmcnt(1)
	v_mov_b32_e32 v76, v72
.LBB69_90:                              ;   in Loop: Header=BB69_2 Depth=1
	s_or_b64 exec, exec, s[26:27]
	v_add_u32_e32 v79, 1, v75
	v_add_u32_e32 v78, 1, v74
	v_cndmask_b32_e64 v79, v79, v75, s[24:25]
	v_cndmask_b32_e64 v78, v74, v78, s[24:25]
	v_cmp_ge_i32_e64 s[26:27], v79, v17
	s_waitcnt lgkmcnt(0)
	v_cmp_lt_i16_sdwa s[2:3], sext(v77), sext(v76) src0_sel:BYTE_0 src1_sel:BYTE_0
	v_cmp_lt_i32_e32 vcc, v78, v18
	s_or_b64 s[2:3], s[26:27], s[2:3]
	s_and_b64 vcc, vcc, s[2:3]
	s_xor_b64 s[2:3], vcc, -1
                                        ; implicit-def: $vgpr80
	s_and_saveexec_b64 s[26:27], s[2:3]
	s_xor_b64 s[26:27], exec, s[26:27]
; %bb.91:                               ;   in Loop: Header=BB69_2 Depth=1
	ds_read_u8 v80, v79 offset:1
; %bb.92:                               ;   in Loop: Header=BB69_2 Depth=1
	s_or_saveexec_b64 s[26:27], s[26:27]
	v_mov_b32_e32 v81, v77
	s_xor_b64 exec, exec, s[26:27]
	s_cbranch_execz .LBB69_94
; %bb.93:                               ;   in Loop: Header=BB69_2 Depth=1
	ds_read_u8 v81, v78 offset:1
	s_waitcnt lgkmcnt(1)
	v_mov_b32_e32 v80, v76
.LBB69_94:                              ;   in Loop: Header=BB69_2 Depth=1
	s_or_b64 exec, exec, s[26:27]
	v_add_u32_e32 v84, 1, v79
	v_add_u32_e32 v82, 1, v78
	v_cndmask_b32_e32 v84, v84, v79, vcc
	v_cndmask_b32_e32 v83, v78, v82, vcc
	v_cmp_ge_i32_e64 s[28:29], v84, v17
	s_waitcnt lgkmcnt(0)
	v_cmp_lt_i16_sdwa s[2:3], sext(v81), sext(v80) src0_sel:BYTE_0 src1_sel:BYTE_0
	v_cmp_lt_i32_e64 s[26:27], v83, v18
	s_or_b64 s[2:3], s[28:29], s[2:3]
	s_and_b64 s[26:27], s[26:27], s[2:3]
	s_xor_b64 s[2:3], s[26:27], -1
                                        ; implicit-def: $vgpr82
	s_and_saveexec_b64 s[28:29], s[2:3]
	s_xor_b64 s[28:29], exec, s[28:29]
; %bb.95:                               ;   in Loop: Header=BB69_2 Depth=1
	ds_read_u8 v82, v84 offset:1
; %bb.96:                               ;   in Loop: Header=BB69_2 Depth=1
	s_or_saveexec_b64 s[28:29], s[28:29]
	v_mov_b32_e32 v85, v81
	s_xor_b64 exec, exec, s[28:29]
	s_cbranch_execz .LBB69_98
; %bb.97:                               ;   in Loop: Header=BB69_2 Depth=1
	ds_read_u8 v85, v83 offset:1
	s_waitcnt lgkmcnt(1)
	v_mov_b32_e32 v82, v80
.LBB69_98:                              ;   in Loop: Header=BB69_2 Depth=1
	s_or_b64 exec, exec, s[28:29]
	v_add_u32_e32 v86, 1, v84
	v_cndmask_b32_e64 v80, v80, v81, s[26:27]
	v_add_u32_e32 v81, 1, v83
	v_cndmask_b32_e64 v86, v86, v84, s[26:27]
	v_cndmask_b32_e64 v81, v83, v81, s[26:27]
	;; [unrolled: 1-line block ×4, first 2 shown]
	v_cmp_ge_i32_e64 s[16:17], v86, v17
	s_waitcnt lgkmcnt(0)
	v_cmp_lt_i16_sdwa s[2:3], sext(v85), sext(v82) src0_sel:BYTE_0 src1_sel:BYTE_0
	v_cndmask_b32_sdwa v76, v76, v77, vcc dst_sel:BYTE_1 dst_unused:UNUSED_PAD src0_sel:DWORD src1_sel:DWORD
	v_cndmask_b32_e32 v77, v79, v78, vcc
	v_cmp_lt_i32_e32 vcc, v81, v18
	s_or_b64 s[2:3], s[16:17], s[2:3]
	v_perm_b32 v53, v53, v54, s88
	v_perm_b32 v52, v55, v52, s88
	;; [unrolled: 1-line block ×4, first 2 shown]
	s_and_b64 vcc, vcc, s[2:3]
	v_lshl_or_b32 v53, v52, 16, v53
	v_lshl_or_b32 v52, v2, 16, v1
	v_cndmask_b32_e64 v83, v84, v83, s[26:27]
	v_cndmask_b32_e64 v72, v72, v73, s[24:25]
	;; [unrolled: 1-line block ×9, first 2 shown]
	v_cndmask_b32_e32 v59, v86, v81, vcc
	s_barrier
	ds_write_b64 v5, v[52:53]
	s_waitcnt lgkmcnt(0)
	s_barrier
	ds_read_u8 v1, v56
	ds_read_u8 v52, v59
	ds_read_u8 v2, v61
	ds_read_u8 v3, v65
	ds_read_u8 v4, v69
	ds_read_u8 v53, v73
	ds_read_u8 v54, v77
	ds_read_u8 v55, v83
	v_lshlrev_b16_e32 v56, 8, v60
	v_cndmask_b32_e32 v57, v82, v85, vcc
	v_or_b32_sdwa v56, v58, v56 dst_sel:DWORD dst_unused:UNUSED_PAD src0_sel:BYTE_0 src1_sel:DWORD
	v_lshlrev_b16_e32 v58, 8, v68
	v_or_b32_sdwa v58, v64, v58 dst_sel:WORD_1 dst_unused:UNUSED_PAD src0_sel:BYTE_0 src1_sel:DWORD
	v_lshlrev_b16_e32 v57, 8, v57
	v_or_b32_sdwa v56, v56, v58 dst_sel:DWORD dst_unused:UNUSED_PAD src0_sel:WORD_0 src1_sel:DWORD
	v_or_b32_sdwa v58, v72, v76 dst_sel:DWORD dst_unused:UNUSED_PAD src0_sel:BYTE_0 src1_sel:DWORD
	v_or_b32_sdwa v57, v80, v57 dst_sel:WORD_1 dst_unused:UNUSED_PAD src0_sel:BYTE_0 src1_sel:DWORD
	v_or_b32_sdwa v57, v58, v57 dst_sel:DWORD dst_unused:UNUSED_PAD src0_sel:WORD_0 src1_sel:DWORD
	s_waitcnt lgkmcnt(0)
	s_barrier
	ds_write_b64 v5, v[56:57]
	v_mov_b32_e32 v57, v36
	s_waitcnt lgkmcnt(0)
	s_barrier
	s_and_saveexec_b64 s[16:17], s[6:7]
	s_cbranch_execz .LBB69_102
; %bb.99:                               ;   in Loop: Header=BB69_2 Depth=1
	s_mov_b64 s[18:19], 0
	v_mov_b32_e32 v57, v36
	v_mov_b32_e32 v56, v37
.LBB69_100:                             ;   Parent Loop BB69_2 Depth=1
                                        ; =>  This Inner Loop Header: Depth=2
	v_sub_u32_e32 v58, v56, v57
	v_lshrrev_b32_e32 v58, 1, v58
	v_add_u32_e32 v58, v58, v57
	v_add_u32_e32 v59, v9, v58
	v_xad_u32 v60, v58, -1, v38
	ds_read_i8 v59, v59
	ds_read_i8 v60, v60
	v_add_u32_e32 v61, 1, v58
	s_waitcnt lgkmcnt(0)
	v_cmp_lt_i16_e32 vcc, v60, v59
	v_cndmask_b32_e32 v56, v56, v58, vcc
	v_cndmask_b32_e32 v57, v61, v57, vcc
	v_cmp_ge_i32_e32 vcc, v57, v56
	s_or_b64 s[18:19], vcc, s[18:19]
	s_andn2_b64 exec, exec, s[18:19]
	s_cbranch_execnz .LBB69_100
; %bb.101:                              ;   in Loop: Header=BB69_2 Depth=1
	s_or_b64 exec, exec, s[18:19]
.LBB69_102:                             ;   in Loop: Header=BB69_2 Depth=1
	s_or_b64 exec, exec, s[16:17]
	v_add_u32_e32 v56, v57, v9
	v_sub_u32_e32 v57, v38, v57
	ds_read_u8 v58, v56
	ds_read_u8 v59, v57
	v_cmp_le_i32_e64 s[16:17], v19, v56
	v_cmp_gt_i32_e32 vcc, v20, v57
                                        ; implicit-def: $vgpr60
	s_waitcnt lgkmcnt(1)
	v_bfe_i32 v58, v58, 0, 8
	s_waitcnt lgkmcnt(0)
	v_bfe_i32 v59, v59, 0, 8
	v_cmp_lt_i16_e64 s[18:19], v59, v58
	s_or_b64 s[2:3], s[16:17], s[18:19]
	s_and_b64 s[16:17], vcc, s[2:3]
	s_xor_b64 s[2:3], s[16:17], -1
	s_and_saveexec_b64 s[18:19], s[2:3]
	s_xor_b64 s[18:19], exec, s[18:19]
; %bb.103:                              ;   in Loop: Header=BB69_2 Depth=1
	ds_read_u8 v60, v56 offset:1
; %bb.104:                              ;   in Loop: Header=BB69_2 Depth=1
	s_or_saveexec_b64 s[18:19], s[18:19]
	v_mov_b32_e32 v61, v59
	s_xor_b64 exec, exec, s[18:19]
	s_cbranch_execz .LBB69_106
; %bb.105:                              ;   in Loop: Header=BB69_2 Depth=1
	ds_read_u8 v61, v57 offset:1
	s_waitcnt lgkmcnt(1)
	v_mov_b32_e32 v60, v58
.LBB69_106:                             ;   in Loop: Header=BB69_2 Depth=1
	s_or_b64 exec, exec, s[18:19]
	v_add_u32_e32 v63, 1, v56
	v_add_u32_e32 v62, 1, v57
	v_cndmask_b32_e64 v63, v63, v56, s[16:17]
	v_cndmask_b32_e64 v62, v57, v62, s[16:17]
	v_cmp_ge_i32_e64 s[18:19], v63, v19
	s_waitcnt lgkmcnt(0)
	v_cmp_lt_i16_sdwa s[2:3], sext(v61), sext(v60) src0_sel:BYTE_0 src1_sel:BYTE_0
	v_cmp_lt_i32_e32 vcc, v62, v20
	s_or_b64 s[2:3], s[18:19], s[2:3]
	s_and_b64 s[18:19], vcc, s[2:3]
	s_xor_b64 s[2:3], s[18:19], -1
                                        ; implicit-def: $vgpr64
	s_and_saveexec_b64 s[20:21], s[2:3]
	s_xor_b64 s[20:21], exec, s[20:21]
; %bb.107:                              ;   in Loop: Header=BB69_2 Depth=1
	ds_read_u8 v64, v63 offset:1
; %bb.108:                              ;   in Loop: Header=BB69_2 Depth=1
	s_or_saveexec_b64 s[20:21], s[20:21]
	v_mov_b32_e32 v65, v61
	s_xor_b64 exec, exec, s[20:21]
	s_cbranch_execz .LBB69_110
; %bb.109:                              ;   in Loop: Header=BB69_2 Depth=1
	ds_read_u8 v65, v62 offset:1
	s_waitcnt lgkmcnt(1)
	v_mov_b32_e32 v64, v60
.LBB69_110:                             ;   in Loop: Header=BB69_2 Depth=1
	s_or_b64 exec, exec, s[20:21]
	v_add_u32_e32 v67, 1, v63
	v_add_u32_e32 v66, 1, v62
	v_cndmask_b32_e64 v67, v67, v63, s[18:19]
	v_cndmask_b32_e64 v66, v62, v66, s[18:19]
	v_cmp_ge_i32_e64 s[20:21], v67, v19
	s_waitcnt lgkmcnt(0)
	v_cmp_lt_i16_sdwa s[2:3], sext(v65), sext(v64) src0_sel:BYTE_0 src1_sel:BYTE_0
	v_cmp_lt_i32_e32 vcc, v66, v20
	s_or_b64 s[2:3], s[20:21], s[2:3]
	s_and_b64 s[20:21], vcc, s[2:3]
	s_xor_b64 s[2:3], s[20:21], -1
                                        ; implicit-def: $vgpr68
	s_and_saveexec_b64 s[22:23], s[2:3]
	s_xor_b64 s[22:23], exec, s[22:23]
; %bb.111:                              ;   in Loop: Header=BB69_2 Depth=1
	ds_read_u8 v68, v67 offset:1
; %bb.112:                              ;   in Loop: Header=BB69_2 Depth=1
	s_or_saveexec_b64 s[22:23], s[22:23]
	v_mov_b32_e32 v69, v65
	s_xor_b64 exec, exec, s[22:23]
	s_cbranch_execz .LBB69_114
; %bb.113:                              ;   in Loop: Header=BB69_2 Depth=1
	ds_read_u8 v69, v66 offset:1
	s_waitcnt lgkmcnt(1)
	v_mov_b32_e32 v68, v64
.LBB69_114:                             ;   in Loop: Header=BB69_2 Depth=1
	s_or_b64 exec, exec, s[22:23]
	v_add_u32_e32 v71, 1, v67
	v_add_u32_e32 v70, 1, v66
	v_cndmask_b32_e64 v71, v71, v67, s[20:21]
	v_cndmask_b32_e64 v70, v66, v70, s[20:21]
	v_cmp_ge_i32_e64 s[22:23], v71, v19
	s_waitcnt lgkmcnt(0)
	v_cmp_lt_i16_sdwa s[2:3], sext(v69), sext(v68) src0_sel:BYTE_0 src1_sel:BYTE_0
	v_cmp_lt_i32_e32 vcc, v70, v20
	s_or_b64 s[2:3], s[22:23], s[2:3]
	s_and_b64 s[22:23], vcc, s[2:3]
	s_xor_b64 s[2:3], s[22:23], -1
                                        ; implicit-def: $vgpr72
	s_and_saveexec_b64 s[24:25], s[2:3]
	s_xor_b64 s[24:25], exec, s[24:25]
; %bb.115:                              ;   in Loop: Header=BB69_2 Depth=1
	ds_read_u8 v72, v71 offset:1
; %bb.116:                              ;   in Loop: Header=BB69_2 Depth=1
	s_or_saveexec_b64 s[24:25], s[24:25]
	v_mov_b32_e32 v73, v69
	s_xor_b64 exec, exec, s[24:25]
	s_cbranch_execz .LBB69_118
; %bb.117:                              ;   in Loop: Header=BB69_2 Depth=1
	ds_read_u8 v73, v70 offset:1
	s_waitcnt lgkmcnt(1)
	v_mov_b32_e32 v72, v68
.LBB69_118:                             ;   in Loop: Header=BB69_2 Depth=1
	s_or_b64 exec, exec, s[24:25]
	v_add_u32_e32 v75, 1, v71
	v_add_u32_e32 v74, 1, v70
	v_cndmask_b32_e64 v75, v75, v71, s[22:23]
	v_cndmask_b32_e64 v74, v70, v74, s[22:23]
	v_cmp_ge_i32_e64 s[24:25], v75, v19
	s_waitcnt lgkmcnt(0)
	v_cmp_lt_i16_sdwa s[2:3], sext(v73), sext(v72) src0_sel:BYTE_0 src1_sel:BYTE_0
	v_cmp_lt_i32_e32 vcc, v74, v20
	s_or_b64 s[2:3], s[24:25], s[2:3]
	s_and_b64 s[24:25], vcc, s[2:3]
	s_xor_b64 s[2:3], s[24:25], -1
                                        ; implicit-def: $vgpr76
	s_and_saveexec_b64 s[26:27], s[2:3]
	s_xor_b64 s[26:27], exec, s[26:27]
; %bb.119:                              ;   in Loop: Header=BB69_2 Depth=1
	ds_read_u8 v76, v75 offset:1
; %bb.120:                              ;   in Loop: Header=BB69_2 Depth=1
	s_or_saveexec_b64 s[26:27], s[26:27]
	v_mov_b32_e32 v77, v73
	s_xor_b64 exec, exec, s[26:27]
	s_cbranch_execz .LBB69_122
; %bb.121:                              ;   in Loop: Header=BB69_2 Depth=1
	ds_read_u8 v77, v74 offset:1
	s_waitcnt lgkmcnt(1)
	v_mov_b32_e32 v76, v72
.LBB69_122:                             ;   in Loop: Header=BB69_2 Depth=1
	s_or_b64 exec, exec, s[26:27]
	v_add_u32_e32 v79, 1, v75
	v_add_u32_e32 v78, 1, v74
	v_cndmask_b32_e64 v79, v79, v75, s[24:25]
	v_cndmask_b32_e64 v78, v74, v78, s[24:25]
	v_cmp_ge_i32_e64 s[26:27], v79, v19
	s_waitcnt lgkmcnt(0)
	v_cmp_lt_i16_sdwa s[2:3], sext(v77), sext(v76) src0_sel:BYTE_0 src1_sel:BYTE_0
	v_cmp_lt_i32_e32 vcc, v78, v20
	s_or_b64 s[2:3], s[26:27], s[2:3]
	s_and_b64 vcc, vcc, s[2:3]
	s_xor_b64 s[2:3], vcc, -1
                                        ; implicit-def: $vgpr80
	s_and_saveexec_b64 s[26:27], s[2:3]
	s_xor_b64 s[26:27], exec, s[26:27]
; %bb.123:                              ;   in Loop: Header=BB69_2 Depth=1
	ds_read_u8 v80, v79 offset:1
; %bb.124:                              ;   in Loop: Header=BB69_2 Depth=1
	s_or_saveexec_b64 s[26:27], s[26:27]
	v_mov_b32_e32 v81, v77
	s_xor_b64 exec, exec, s[26:27]
	s_cbranch_execz .LBB69_126
; %bb.125:                              ;   in Loop: Header=BB69_2 Depth=1
	ds_read_u8 v81, v78 offset:1
	s_waitcnt lgkmcnt(1)
	v_mov_b32_e32 v80, v76
.LBB69_126:                             ;   in Loop: Header=BB69_2 Depth=1
	s_or_b64 exec, exec, s[26:27]
	v_add_u32_e32 v84, 1, v79
	v_add_u32_e32 v82, 1, v78
	v_cndmask_b32_e32 v84, v84, v79, vcc
	v_cndmask_b32_e32 v83, v78, v82, vcc
	v_cmp_ge_i32_e64 s[28:29], v84, v19
	s_waitcnt lgkmcnt(0)
	v_cmp_lt_i16_sdwa s[2:3], sext(v81), sext(v80) src0_sel:BYTE_0 src1_sel:BYTE_0
	v_cmp_lt_i32_e64 s[26:27], v83, v20
	s_or_b64 s[2:3], s[28:29], s[2:3]
	s_and_b64 s[26:27], s[26:27], s[2:3]
	s_xor_b64 s[2:3], s[26:27], -1
                                        ; implicit-def: $vgpr82
	s_and_saveexec_b64 s[28:29], s[2:3]
	s_xor_b64 s[28:29], exec, s[28:29]
; %bb.127:                              ;   in Loop: Header=BB69_2 Depth=1
	ds_read_u8 v82, v84 offset:1
; %bb.128:                              ;   in Loop: Header=BB69_2 Depth=1
	s_or_saveexec_b64 s[28:29], s[28:29]
	v_mov_b32_e32 v85, v81
	s_xor_b64 exec, exec, s[28:29]
	s_cbranch_execz .LBB69_130
; %bb.129:                              ;   in Loop: Header=BB69_2 Depth=1
	ds_read_u8 v85, v83 offset:1
	s_waitcnt lgkmcnt(1)
	v_mov_b32_e32 v82, v80
.LBB69_130:                             ;   in Loop: Header=BB69_2 Depth=1
	s_or_b64 exec, exec, s[28:29]
	v_add_u32_e32 v86, 1, v84
	v_cndmask_b32_e64 v80, v80, v81, s[26:27]
	v_add_u32_e32 v81, 1, v83
	v_cndmask_b32_e64 v86, v86, v84, s[26:27]
	v_cndmask_b32_e64 v81, v83, v81, s[26:27]
	;; [unrolled: 1-line block ×4, first 2 shown]
	v_cmp_ge_i32_e64 s[16:17], v86, v19
	s_waitcnt lgkmcnt(0)
	v_cmp_lt_i16_sdwa s[2:3], sext(v85), sext(v82) src0_sel:BYTE_0 src1_sel:BYTE_0
	v_cndmask_b32_sdwa v76, v76, v77, vcc dst_sel:BYTE_1 dst_unused:UNUSED_PAD src0_sel:DWORD src1_sel:DWORD
	v_cndmask_b32_e32 v77, v79, v78, vcc
	v_cmp_lt_i32_e32 vcc, v81, v20
	s_or_b64 s[2:3], s[16:17], s[2:3]
	v_perm_b32 v53, v53, v54, s88
	v_perm_b32 v52, v55, v52, s88
	;; [unrolled: 1-line block ×4, first 2 shown]
	s_and_b64 vcc, vcc, s[2:3]
	v_lshl_or_b32 v53, v52, 16, v53
	v_lshl_or_b32 v52, v2, 16, v1
	v_cndmask_b32_e64 v83, v84, v83, s[26:27]
	v_cndmask_b32_e64 v72, v72, v73, s[24:25]
	;; [unrolled: 1-line block ×9, first 2 shown]
	v_cndmask_b32_e32 v59, v86, v81, vcc
	s_barrier
	ds_write_b64 v5, v[52:53]
	s_waitcnt lgkmcnt(0)
	s_barrier
	ds_read_u8 v1, v56
	ds_read_u8 v52, v59
	;; [unrolled: 1-line block ×8, first 2 shown]
	v_lshlrev_b16_e32 v56, 8, v60
	v_cndmask_b32_e32 v57, v82, v85, vcc
	v_or_b32_sdwa v56, v58, v56 dst_sel:DWORD dst_unused:UNUSED_PAD src0_sel:BYTE_0 src1_sel:DWORD
	v_lshlrev_b16_e32 v58, 8, v68
	v_or_b32_sdwa v58, v64, v58 dst_sel:WORD_1 dst_unused:UNUSED_PAD src0_sel:BYTE_0 src1_sel:DWORD
	v_lshlrev_b16_e32 v57, 8, v57
	v_or_b32_sdwa v56, v56, v58 dst_sel:DWORD dst_unused:UNUSED_PAD src0_sel:WORD_0 src1_sel:DWORD
	v_or_b32_sdwa v58, v72, v76 dst_sel:DWORD dst_unused:UNUSED_PAD src0_sel:BYTE_0 src1_sel:DWORD
	v_or_b32_sdwa v57, v80, v57 dst_sel:WORD_1 dst_unused:UNUSED_PAD src0_sel:BYTE_0 src1_sel:DWORD
	v_or_b32_sdwa v57, v58, v57 dst_sel:DWORD dst_unused:UNUSED_PAD src0_sel:WORD_0 src1_sel:DWORD
	s_waitcnt lgkmcnt(0)
	s_barrier
	ds_write_b64 v5, v[56:57]
	v_mov_b32_e32 v57, v39
	s_waitcnt lgkmcnt(0)
	s_barrier
	s_and_saveexec_b64 s[16:17], s[8:9]
	s_cbranch_execz .LBB69_134
; %bb.131:                              ;   in Loop: Header=BB69_2 Depth=1
	s_mov_b64 s[18:19], 0
	v_mov_b32_e32 v57, v39
	v_mov_b32_e32 v56, v40
.LBB69_132:                             ;   Parent Loop BB69_2 Depth=1
                                        ; =>  This Inner Loop Header: Depth=2
	v_sub_u32_e32 v58, v56, v57
	v_lshrrev_b32_e32 v58, 1, v58
	v_add_u32_e32 v58, v58, v57
	v_add_u32_e32 v59, v10, v58
	v_xad_u32 v60, v58, -1, v41
	ds_read_i8 v59, v59
	ds_read_i8 v60, v60
	v_add_u32_e32 v61, 1, v58
	s_waitcnt lgkmcnt(0)
	v_cmp_lt_i16_e32 vcc, v60, v59
	v_cndmask_b32_e32 v56, v56, v58, vcc
	v_cndmask_b32_e32 v57, v61, v57, vcc
	v_cmp_ge_i32_e32 vcc, v57, v56
	s_or_b64 s[18:19], vcc, s[18:19]
	s_andn2_b64 exec, exec, s[18:19]
	s_cbranch_execnz .LBB69_132
; %bb.133:                              ;   in Loop: Header=BB69_2 Depth=1
	s_or_b64 exec, exec, s[18:19]
.LBB69_134:                             ;   in Loop: Header=BB69_2 Depth=1
	s_or_b64 exec, exec, s[16:17]
	v_add_u32_e32 v56, v57, v10
	v_sub_u32_e32 v57, v41, v57
	ds_read_u8 v58, v56
	ds_read_u8 v59, v57
	v_cmp_le_i32_e64 s[16:17], v21, v56
	v_cmp_gt_i32_e32 vcc, v22, v57
                                        ; implicit-def: $vgpr60
	s_waitcnt lgkmcnt(1)
	v_bfe_i32 v58, v58, 0, 8
	s_waitcnt lgkmcnt(0)
	v_bfe_i32 v59, v59, 0, 8
	v_cmp_lt_i16_e64 s[18:19], v59, v58
	s_or_b64 s[2:3], s[16:17], s[18:19]
	s_and_b64 s[16:17], vcc, s[2:3]
	s_xor_b64 s[2:3], s[16:17], -1
	s_and_saveexec_b64 s[18:19], s[2:3]
	s_xor_b64 s[18:19], exec, s[18:19]
; %bb.135:                              ;   in Loop: Header=BB69_2 Depth=1
	ds_read_u8 v60, v56 offset:1
; %bb.136:                              ;   in Loop: Header=BB69_2 Depth=1
	s_or_saveexec_b64 s[18:19], s[18:19]
	v_mov_b32_e32 v61, v59
	s_xor_b64 exec, exec, s[18:19]
	s_cbranch_execz .LBB69_138
; %bb.137:                              ;   in Loop: Header=BB69_2 Depth=1
	ds_read_u8 v61, v57 offset:1
	s_waitcnt lgkmcnt(1)
	v_mov_b32_e32 v60, v58
.LBB69_138:                             ;   in Loop: Header=BB69_2 Depth=1
	s_or_b64 exec, exec, s[18:19]
	v_add_u32_e32 v63, 1, v56
	v_add_u32_e32 v62, 1, v57
	v_cndmask_b32_e64 v63, v63, v56, s[16:17]
	v_cndmask_b32_e64 v62, v57, v62, s[16:17]
	v_cmp_ge_i32_e64 s[18:19], v63, v21
	s_waitcnt lgkmcnt(0)
	v_cmp_lt_i16_sdwa s[2:3], sext(v61), sext(v60) src0_sel:BYTE_0 src1_sel:BYTE_0
	v_cmp_lt_i32_e32 vcc, v62, v22
	s_or_b64 s[2:3], s[18:19], s[2:3]
	s_and_b64 s[18:19], vcc, s[2:3]
	s_xor_b64 s[2:3], s[18:19], -1
                                        ; implicit-def: $vgpr64
	s_and_saveexec_b64 s[20:21], s[2:3]
	s_xor_b64 s[20:21], exec, s[20:21]
; %bb.139:                              ;   in Loop: Header=BB69_2 Depth=1
	ds_read_u8 v64, v63 offset:1
; %bb.140:                              ;   in Loop: Header=BB69_2 Depth=1
	s_or_saveexec_b64 s[20:21], s[20:21]
	v_mov_b32_e32 v65, v61
	s_xor_b64 exec, exec, s[20:21]
	s_cbranch_execz .LBB69_142
; %bb.141:                              ;   in Loop: Header=BB69_2 Depth=1
	ds_read_u8 v65, v62 offset:1
	s_waitcnt lgkmcnt(1)
	v_mov_b32_e32 v64, v60
.LBB69_142:                             ;   in Loop: Header=BB69_2 Depth=1
	s_or_b64 exec, exec, s[20:21]
	v_add_u32_e32 v67, 1, v63
	v_add_u32_e32 v66, 1, v62
	v_cndmask_b32_e64 v67, v67, v63, s[18:19]
	v_cndmask_b32_e64 v66, v62, v66, s[18:19]
	v_cmp_ge_i32_e64 s[20:21], v67, v21
	s_waitcnt lgkmcnt(0)
	v_cmp_lt_i16_sdwa s[2:3], sext(v65), sext(v64) src0_sel:BYTE_0 src1_sel:BYTE_0
	v_cmp_lt_i32_e32 vcc, v66, v22
	s_or_b64 s[2:3], s[20:21], s[2:3]
	s_and_b64 s[20:21], vcc, s[2:3]
	s_xor_b64 s[2:3], s[20:21], -1
                                        ; implicit-def: $vgpr68
	s_and_saveexec_b64 s[22:23], s[2:3]
	s_xor_b64 s[22:23], exec, s[22:23]
; %bb.143:                              ;   in Loop: Header=BB69_2 Depth=1
	ds_read_u8 v68, v67 offset:1
; %bb.144:                              ;   in Loop: Header=BB69_2 Depth=1
	s_or_saveexec_b64 s[22:23], s[22:23]
	v_mov_b32_e32 v69, v65
	s_xor_b64 exec, exec, s[22:23]
	s_cbranch_execz .LBB69_146
; %bb.145:                              ;   in Loop: Header=BB69_2 Depth=1
	ds_read_u8 v69, v66 offset:1
	s_waitcnt lgkmcnt(1)
	v_mov_b32_e32 v68, v64
.LBB69_146:                             ;   in Loop: Header=BB69_2 Depth=1
	s_or_b64 exec, exec, s[22:23]
	v_add_u32_e32 v71, 1, v67
	v_add_u32_e32 v70, 1, v66
	v_cndmask_b32_e64 v71, v71, v67, s[20:21]
	v_cndmask_b32_e64 v70, v66, v70, s[20:21]
	v_cmp_ge_i32_e64 s[22:23], v71, v21
	s_waitcnt lgkmcnt(0)
	v_cmp_lt_i16_sdwa s[2:3], sext(v69), sext(v68) src0_sel:BYTE_0 src1_sel:BYTE_0
	v_cmp_lt_i32_e32 vcc, v70, v22
	s_or_b64 s[2:3], s[22:23], s[2:3]
	s_and_b64 s[22:23], vcc, s[2:3]
	s_xor_b64 s[2:3], s[22:23], -1
                                        ; implicit-def: $vgpr72
	s_and_saveexec_b64 s[24:25], s[2:3]
	s_xor_b64 s[24:25], exec, s[24:25]
; %bb.147:                              ;   in Loop: Header=BB69_2 Depth=1
	ds_read_u8 v72, v71 offset:1
; %bb.148:                              ;   in Loop: Header=BB69_2 Depth=1
	s_or_saveexec_b64 s[24:25], s[24:25]
	v_mov_b32_e32 v73, v69
	s_xor_b64 exec, exec, s[24:25]
	s_cbranch_execz .LBB69_150
; %bb.149:                              ;   in Loop: Header=BB69_2 Depth=1
	ds_read_u8 v73, v70 offset:1
	s_waitcnt lgkmcnt(1)
	v_mov_b32_e32 v72, v68
.LBB69_150:                             ;   in Loop: Header=BB69_2 Depth=1
	s_or_b64 exec, exec, s[24:25]
	v_add_u32_e32 v75, 1, v71
	v_add_u32_e32 v74, 1, v70
	v_cndmask_b32_e64 v75, v75, v71, s[22:23]
	v_cndmask_b32_e64 v74, v70, v74, s[22:23]
	v_cmp_ge_i32_e64 s[24:25], v75, v21
	s_waitcnt lgkmcnt(0)
	v_cmp_lt_i16_sdwa s[2:3], sext(v73), sext(v72) src0_sel:BYTE_0 src1_sel:BYTE_0
	v_cmp_lt_i32_e32 vcc, v74, v22
	s_or_b64 s[2:3], s[24:25], s[2:3]
	s_and_b64 s[24:25], vcc, s[2:3]
	s_xor_b64 s[2:3], s[24:25], -1
                                        ; implicit-def: $vgpr76
	s_and_saveexec_b64 s[26:27], s[2:3]
	s_xor_b64 s[26:27], exec, s[26:27]
; %bb.151:                              ;   in Loop: Header=BB69_2 Depth=1
	ds_read_u8 v76, v75 offset:1
; %bb.152:                              ;   in Loop: Header=BB69_2 Depth=1
	s_or_saveexec_b64 s[26:27], s[26:27]
	v_mov_b32_e32 v77, v73
	s_xor_b64 exec, exec, s[26:27]
	s_cbranch_execz .LBB69_154
; %bb.153:                              ;   in Loop: Header=BB69_2 Depth=1
	ds_read_u8 v77, v74 offset:1
	s_waitcnt lgkmcnt(1)
	v_mov_b32_e32 v76, v72
.LBB69_154:                             ;   in Loop: Header=BB69_2 Depth=1
	s_or_b64 exec, exec, s[26:27]
	v_add_u32_e32 v79, 1, v75
	v_add_u32_e32 v78, 1, v74
	v_cndmask_b32_e64 v79, v79, v75, s[24:25]
	v_cndmask_b32_e64 v78, v74, v78, s[24:25]
	v_cmp_ge_i32_e64 s[26:27], v79, v21
	s_waitcnt lgkmcnt(0)
	v_cmp_lt_i16_sdwa s[2:3], sext(v77), sext(v76) src0_sel:BYTE_0 src1_sel:BYTE_0
	v_cmp_lt_i32_e32 vcc, v78, v22
	s_or_b64 s[2:3], s[26:27], s[2:3]
	s_and_b64 vcc, vcc, s[2:3]
	s_xor_b64 s[2:3], vcc, -1
                                        ; implicit-def: $vgpr80
	s_and_saveexec_b64 s[26:27], s[2:3]
	s_xor_b64 s[26:27], exec, s[26:27]
; %bb.155:                              ;   in Loop: Header=BB69_2 Depth=1
	ds_read_u8 v80, v79 offset:1
; %bb.156:                              ;   in Loop: Header=BB69_2 Depth=1
	s_or_saveexec_b64 s[26:27], s[26:27]
	v_mov_b32_e32 v81, v77
	s_xor_b64 exec, exec, s[26:27]
	s_cbranch_execz .LBB69_158
; %bb.157:                              ;   in Loop: Header=BB69_2 Depth=1
	ds_read_u8 v81, v78 offset:1
	s_waitcnt lgkmcnt(1)
	v_mov_b32_e32 v80, v76
.LBB69_158:                             ;   in Loop: Header=BB69_2 Depth=1
	s_or_b64 exec, exec, s[26:27]
	v_add_u32_e32 v84, 1, v79
	v_add_u32_e32 v82, 1, v78
	v_cndmask_b32_e32 v84, v84, v79, vcc
	v_cndmask_b32_e32 v83, v78, v82, vcc
	v_cmp_ge_i32_e64 s[28:29], v84, v21
	s_waitcnt lgkmcnt(0)
	v_cmp_lt_i16_sdwa s[2:3], sext(v81), sext(v80) src0_sel:BYTE_0 src1_sel:BYTE_0
	v_cmp_lt_i32_e64 s[26:27], v83, v22
	s_or_b64 s[2:3], s[28:29], s[2:3]
	s_and_b64 s[26:27], s[26:27], s[2:3]
	s_xor_b64 s[2:3], s[26:27], -1
                                        ; implicit-def: $vgpr82
	s_and_saveexec_b64 s[28:29], s[2:3]
	s_xor_b64 s[28:29], exec, s[28:29]
; %bb.159:                              ;   in Loop: Header=BB69_2 Depth=1
	ds_read_u8 v82, v84 offset:1
; %bb.160:                              ;   in Loop: Header=BB69_2 Depth=1
	s_or_saveexec_b64 s[28:29], s[28:29]
	v_mov_b32_e32 v85, v81
	s_xor_b64 exec, exec, s[28:29]
	s_cbranch_execz .LBB69_162
; %bb.161:                              ;   in Loop: Header=BB69_2 Depth=1
	ds_read_u8 v85, v83 offset:1
	s_waitcnt lgkmcnt(1)
	v_mov_b32_e32 v82, v80
.LBB69_162:                             ;   in Loop: Header=BB69_2 Depth=1
	s_or_b64 exec, exec, s[28:29]
	v_add_u32_e32 v86, 1, v84
	v_cndmask_b32_e64 v80, v80, v81, s[26:27]
	v_add_u32_e32 v81, 1, v83
	v_cndmask_b32_e64 v86, v86, v84, s[26:27]
	v_cndmask_b32_e64 v81, v83, v81, s[26:27]
	;; [unrolled: 1-line block ×4, first 2 shown]
	v_cmp_ge_i32_e64 s[16:17], v86, v21
	s_waitcnt lgkmcnt(0)
	v_cmp_lt_i16_sdwa s[2:3], sext(v85), sext(v82) src0_sel:BYTE_0 src1_sel:BYTE_0
	v_cndmask_b32_sdwa v76, v76, v77, vcc dst_sel:BYTE_1 dst_unused:UNUSED_PAD src0_sel:DWORD src1_sel:DWORD
	v_cndmask_b32_e32 v77, v79, v78, vcc
	v_cmp_lt_i32_e32 vcc, v81, v22
	s_or_b64 s[2:3], s[16:17], s[2:3]
	v_perm_b32 v53, v53, v54, s88
	v_perm_b32 v52, v55, v52, s88
	;; [unrolled: 1-line block ×4, first 2 shown]
	s_and_b64 vcc, vcc, s[2:3]
	v_lshl_or_b32 v53, v52, 16, v53
	v_lshl_or_b32 v52, v2, 16, v1
	v_cndmask_b32_e64 v83, v84, v83, s[26:27]
	v_cndmask_b32_e64 v72, v72, v73, s[24:25]
	;; [unrolled: 1-line block ×9, first 2 shown]
	v_cndmask_b32_e32 v59, v86, v81, vcc
	s_barrier
	ds_write_b64 v5, v[52:53]
	s_waitcnt lgkmcnt(0)
	s_barrier
	ds_read_u8 v1, v56
	ds_read_u8 v52, v59
	;; [unrolled: 1-line block ×8, first 2 shown]
	v_lshlrev_b16_e32 v56, 8, v60
	v_cndmask_b32_e32 v57, v82, v85, vcc
	v_or_b32_sdwa v56, v58, v56 dst_sel:DWORD dst_unused:UNUSED_PAD src0_sel:BYTE_0 src1_sel:DWORD
	v_lshlrev_b16_e32 v58, 8, v68
	v_or_b32_sdwa v58, v64, v58 dst_sel:WORD_1 dst_unused:UNUSED_PAD src0_sel:BYTE_0 src1_sel:DWORD
	v_lshlrev_b16_e32 v57, 8, v57
	v_or_b32_sdwa v56, v56, v58 dst_sel:DWORD dst_unused:UNUSED_PAD src0_sel:WORD_0 src1_sel:DWORD
	v_or_b32_sdwa v58, v72, v76 dst_sel:DWORD dst_unused:UNUSED_PAD src0_sel:BYTE_0 src1_sel:DWORD
	v_or_b32_sdwa v57, v80, v57 dst_sel:WORD_1 dst_unused:UNUSED_PAD src0_sel:BYTE_0 src1_sel:DWORD
	v_or_b32_sdwa v57, v58, v57 dst_sel:DWORD dst_unused:UNUSED_PAD src0_sel:WORD_0 src1_sel:DWORD
	s_waitcnt lgkmcnt(0)
	s_barrier
	ds_write_b64 v5, v[56:57]
	v_mov_b32_e32 v57, v42
	s_waitcnt lgkmcnt(0)
	s_barrier
	s_and_saveexec_b64 s[16:17], s[10:11]
	s_cbranch_execz .LBB69_166
; %bb.163:                              ;   in Loop: Header=BB69_2 Depth=1
	s_mov_b64 s[18:19], 0
	v_mov_b32_e32 v57, v42
	v_mov_b32_e32 v56, v43
.LBB69_164:                             ;   Parent Loop BB69_2 Depth=1
                                        ; =>  This Inner Loop Header: Depth=2
	v_sub_u32_e32 v58, v56, v57
	v_lshrrev_b32_e32 v58, 1, v58
	v_add_u32_e32 v58, v58, v57
	v_add_u32_e32 v59, v11, v58
	v_xad_u32 v60, v58, -1, v44
	ds_read_i8 v59, v59
	ds_read_i8 v60, v60
	v_add_u32_e32 v61, 1, v58
	s_waitcnt lgkmcnt(0)
	v_cmp_lt_i16_e32 vcc, v60, v59
	v_cndmask_b32_e32 v56, v56, v58, vcc
	v_cndmask_b32_e32 v57, v61, v57, vcc
	v_cmp_ge_i32_e32 vcc, v57, v56
	s_or_b64 s[18:19], vcc, s[18:19]
	s_andn2_b64 exec, exec, s[18:19]
	s_cbranch_execnz .LBB69_164
; %bb.165:                              ;   in Loop: Header=BB69_2 Depth=1
	s_or_b64 exec, exec, s[18:19]
.LBB69_166:                             ;   in Loop: Header=BB69_2 Depth=1
	s_or_b64 exec, exec, s[16:17]
	v_add_u32_e32 v56, v57, v11
	v_sub_u32_e32 v57, v44, v57
	ds_read_u8 v58, v56
	ds_read_u8 v59, v57
	v_cmp_le_i32_e64 s[16:17], v23, v56
	v_cmp_gt_i32_e32 vcc, v24, v57
                                        ; implicit-def: $vgpr60
	s_waitcnt lgkmcnt(1)
	v_bfe_i32 v58, v58, 0, 8
	s_waitcnt lgkmcnt(0)
	v_bfe_i32 v59, v59, 0, 8
	v_cmp_lt_i16_e64 s[18:19], v59, v58
	s_or_b64 s[2:3], s[16:17], s[18:19]
	s_and_b64 s[16:17], vcc, s[2:3]
	s_xor_b64 s[2:3], s[16:17], -1
	s_and_saveexec_b64 s[18:19], s[2:3]
	s_xor_b64 s[18:19], exec, s[18:19]
; %bb.167:                              ;   in Loop: Header=BB69_2 Depth=1
	ds_read_u8 v60, v56 offset:1
; %bb.168:                              ;   in Loop: Header=BB69_2 Depth=1
	s_or_saveexec_b64 s[18:19], s[18:19]
	v_mov_b32_e32 v61, v59
	s_xor_b64 exec, exec, s[18:19]
	s_cbranch_execz .LBB69_170
; %bb.169:                              ;   in Loop: Header=BB69_2 Depth=1
	ds_read_u8 v61, v57 offset:1
	s_waitcnt lgkmcnt(1)
	v_mov_b32_e32 v60, v58
.LBB69_170:                             ;   in Loop: Header=BB69_2 Depth=1
	s_or_b64 exec, exec, s[18:19]
	v_add_u32_e32 v63, 1, v56
	v_add_u32_e32 v62, 1, v57
	v_cndmask_b32_e64 v63, v63, v56, s[16:17]
	v_cndmask_b32_e64 v62, v57, v62, s[16:17]
	v_cmp_ge_i32_e64 s[18:19], v63, v23
	s_waitcnt lgkmcnt(0)
	v_cmp_lt_i16_sdwa s[2:3], sext(v61), sext(v60) src0_sel:BYTE_0 src1_sel:BYTE_0
	v_cmp_lt_i32_e32 vcc, v62, v24
	s_or_b64 s[2:3], s[18:19], s[2:3]
	s_and_b64 s[18:19], vcc, s[2:3]
	s_xor_b64 s[2:3], s[18:19], -1
                                        ; implicit-def: $vgpr64
	s_and_saveexec_b64 s[20:21], s[2:3]
	s_xor_b64 s[20:21], exec, s[20:21]
; %bb.171:                              ;   in Loop: Header=BB69_2 Depth=1
	ds_read_u8 v64, v63 offset:1
; %bb.172:                              ;   in Loop: Header=BB69_2 Depth=1
	s_or_saveexec_b64 s[20:21], s[20:21]
	v_mov_b32_e32 v65, v61
	s_xor_b64 exec, exec, s[20:21]
	s_cbranch_execz .LBB69_174
; %bb.173:                              ;   in Loop: Header=BB69_2 Depth=1
	ds_read_u8 v65, v62 offset:1
	s_waitcnt lgkmcnt(1)
	v_mov_b32_e32 v64, v60
.LBB69_174:                             ;   in Loop: Header=BB69_2 Depth=1
	s_or_b64 exec, exec, s[20:21]
	v_add_u32_e32 v67, 1, v63
	v_add_u32_e32 v66, 1, v62
	v_cndmask_b32_e64 v67, v67, v63, s[18:19]
	v_cndmask_b32_e64 v66, v62, v66, s[18:19]
	v_cmp_ge_i32_e64 s[20:21], v67, v23
	s_waitcnt lgkmcnt(0)
	v_cmp_lt_i16_sdwa s[2:3], sext(v65), sext(v64) src0_sel:BYTE_0 src1_sel:BYTE_0
	v_cmp_lt_i32_e32 vcc, v66, v24
	s_or_b64 s[2:3], s[20:21], s[2:3]
	s_and_b64 s[20:21], vcc, s[2:3]
	s_xor_b64 s[2:3], s[20:21], -1
                                        ; implicit-def: $vgpr68
	s_and_saveexec_b64 s[22:23], s[2:3]
	s_xor_b64 s[22:23], exec, s[22:23]
; %bb.175:                              ;   in Loop: Header=BB69_2 Depth=1
	ds_read_u8 v68, v67 offset:1
; %bb.176:                              ;   in Loop: Header=BB69_2 Depth=1
	s_or_saveexec_b64 s[22:23], s[22:23]
	v_mov_b32_e32 v69, v65
	s_xor_b64 exec, exec, s[22:23]
	s_cbranch_execz .LBB69_178
; %bb.177:                              ;   in Loop: Header=BB69_2 Depth=1
	ds_read_u8 v69, v66 offset:1
	s_waitcnt lgkmcnt(1)
	v_mov_b32_e32 v68, v64
.LBB69_178:                             ;   in Loop: Header=BB69_2 Depth=1
	s_or_b64 exec, exec, s[22:23]
	v_add_u32_e32 v71, 1, v67
	v_add_u32_e32 v70, 1, v66
	v_cndmask_b32_e64 v71, v71, v67, s[20:21]
	v_cndmask_b32_e64 v70, v66, v70, s[20:21]
	v_cmp_ge_i32_e64 s[22:23], v71, v23
	s_waitcnt lgkmcnt(0)
	v_cmp_lt_i16_sdwa s[2:3], sext(v69), sext(v68) src0_sel:BYTE_0 src1_sel:BYTE_0
	v_cmp_lt_i32_e32 vcc, v70, v24
	s_or_b64 s[2:3], s[22:23], s[2:3]
	s_and_b64 s[22:23], vcc, s[2:3]
	s_xor_b64 s[2:3], s[22:23], -1
                                        ; implicit-def: $vgpr72
	s_and_saveexec_b64 s[24:25], s[2:3]
	s_xor_b64 s[24:25], exec, s[24:25]
; %bb.179:                              ;   in Loop: Header=BB69_2 Depth=1
	ds_read_u8 v72, v71 offset:1
; %bb.180:                              ;   in Loop: Header=BB69_2 Depth=1
	s_or_saveexec_b64 s[24:25], s[24:25]
	v_mov_b32_e32 v73, v69
	s_xor_b64 exec, exec, s[24:25]
	s_cbranch_execz .LBB69_182
; %bb.181:                              ;   in Loop: Header=BB69_2 Depth=1
	ds_read_u8 v73, v70 offset:1
	s_waitcnt lgkmcnt(1)
	v_mov_b32_e32 v72, v68
.LBB69_182:                             ;   in Loop: Header=BB69_2 Depth=1
	s_or_b64 exec, exec, s[24:25]
	v_add_u32_e32 v75, 1, v71
	v_add_u32_e32 v74, 1, v70
	v_cndmask_b32_e64 v75, v75, v71, s[22:23]
	v_cndmask_b32_e64 v74, v70, v74, s[22:23]
	v_cmp_ge_i32_e64 s[24:25], v75, v23
	s_waitcnt lgkmcnt(0)
	v_cmp_lt_i16_sdwa s[2:3], sext(v73), sext(v72) src0_sel:BYTE_0 src1_sel:BYTE_0
	v_cmp_lt_i32_e32 vcc, v74, v24
	s_or_b64 s[2:3], s[24:25], s[2:3]
	s_and_b64 s[24:25], vcc, s[2:3]
	s_xor_b64 s[2:3], s[24:25], -1
                                        ; implicit-def: $vgpr76
	s_and_saveexec_b64 s[26:27], s[2:3]
	s_xor_b64 s[26:27], exec, s[26:27]
; %bb.183:                              ;   in Loop: Header=BB69_2 Depth=1
	ds_read_u8 v76, v75 offset:1
; %bb.184:                              ;   in Loop: Header=BB69_2 Depth=1
	s_or_saveexec_b64 s[26:27], s[26:27]
	v_mov_b32_e32 v77, v73
	s_xor_b64 exec, exec, s[26:27]
	s_cbranch_execz .LBB69_186
; %bb.185:                              ;   in Loop: Header=BB69_2 Depth=1
	ds_read_u8 v77, v74 offset:1
	s_waitcnt lgkmcnt(1)
	v_mov_b32_e32 v76, v72
.LBB69_186:                             ;   in Loop: Header=BB69_2 Depth=1
	s_or_b64 exec, exec, s[26:27]
	v_add_u32_e32 v79, 1, v75
	v_add_u32_e32 v78, 1, v74
	v_cndmask_b32_e64 v79, v79, v75, s[24:25]
	v_cndmask_b32_e64 v78, v74, v78, s[24:25]
	v_cmp_ge_i32_e64 s[26:27], v79, v23
	s_waitcnt lgkmcnt(0)
	v_cmp_lt_i16_sdwa s[2:3], sext(v77), sext(v76) src0_sel:BYTE_0 src1_sel:BYTE_0
	v_cmp_lt_i32_e32 vcc, v78, v24
	s_or_b64 s[2:3], s[26:27], s[2:3]
	s_and_b64 vcc, vcc, s[2:3]
	s_xor_b64 s[2:3], vcc, -1
                                        ; implicit-def: $vgpr80
	s_and_saveexec_b64 s[26:27], s[2:3]
	s_xor_b64 s[26:27], exec, s[26:27]
; %bb.187:                              ;   in Loop: Header=BB69_2 Depth=1
	ds_read_u8 v80, v79 offset:1
; %bb.188:                              ;   in Loop: Header=BB69_2 Depth=1
	s_or_saveexec_b64 s[26:27], s[26:27]
	v_mov_b32_e32 v81, v77
	s_xor_b64 exec, exec, s[26:27]
	s_cbranch_execz .LBB69_190
; %bb.189:                              ;   in Loop: Header=BB69_2 Depth=1
	ds_read_u8 v81, v78 offset:1
	s_waitcnt lgkmcnt(1)
	v_mov_b32_e32 v80, v76
.LBB69_190:                             ;   in Loop: Header=BB69_2 Depth=1
	s_or_b64 exec, exec, s[26:27]
	v_add_u32_e32 v84, 1, v79
	v_add_u32_e32 v82, 1, v78
	v_cndmask_b32_e32 v84, v84, v79, vcc
	v_cndmask_b32_e32 v83, v78, v82, vcc
	v_cmp_ge_i32_e64 s[28:29], v84, v23
	s_waitcnt lgkmcnt(0)
	v_cmp_lt_i16_sdwa s[2:3], sext(v81), sext(v80) src0_sel:BYTE_0 src1_sel:BYTE_0
	v_cmp_lt_i32_e64 s[26:27], v83, v24
	s_or_b64 s[2:3], s[28:29], s[2:3]
	s_and_b64 s[26:27], s[26:27], s[2:3]
	s_xor_b64 s[2:3], s[26:27], -1
                                        ; implicit-def: $vgpr82
	s_and_saveexec_b64 s[28:29], s[2:3]
	s_xor_b64 s[28:29], exec, s[28:29]
; %bb.191:                              ;   in Loop: Header=BB69_2 Depth=1
	ds_read_u8 v82, v84 offset:1
; %bb.192:                              ;   in Loop: Header=BB69_2 Depth=1
	s_or_saveexec_b64 s[28:29], s[28:29]
	v_mov_b32_e32 v85, v81
	s_xor_b64 exec, exec, s[28:29]
	s_cbranch_execz .LBB69_194
; %bb.193:                              ;   in Loop: Header=BB69_2 Depth=1
	ds_read_u8 v85, v83 offset:1
	s_waitcnt lgkmcnt(1)
	v_mov_b32_e32 v82, v80
.LBB69_194:                             ;   in Loop: Header=BB69_2 Depth=1
	s_or_b64 exec, exec, s[28:29]
	v_add_u32_e32 v86, 1, v84
	v_cndmask_b32_e64 v80, v80, v81, s[26:27]
	v_add_u32_e32 v81, 1, v83
	v_cndmask_b32_e64 v86, v86, v84, s[26:27]
	v_cndmask_b32_e64 v81, v83, v81, s[26:27]
	v_cndmask_b32_e64 v58, v58, v59, s[16:17]
	v_cndmask_b32_e64 v56, v56, v57, s[16:17]
	v_cmp_ge_i32_e64 s[16:17], v86, v23
	s_waitcnt lgkmcnt(0)
	v_cmp_lt_i16_sdwa s[2:3], sext(v85), sext(v82) src0_sel:BYTE_0 src1_sel:BYTE_0
	v_cndmask_b32_sdwa v76, v76, v77, vcc dst_sel:BYTE_1 dst_unused:UNUSED_PAD src0_sel:DWORD src1_sel:DWORD
	v_cndmask_b32_e32 v77, v79, v78, vcc
	v_cmp_lt_i32_e32 vcc, v81, v24
	s_or_b64 s[2:3], s[16:17], s[2:3]
	v_perm_b32 v53, v53, v54, s88
	v_perm_b32 v52, v55, v52, s88
	;; [unrolled: 1-line block ×4, first 2 shown]
	s_and_b64 vcc, vcc, s[2:3]
	v_lshl_or_b32 v53, v52, 16, v53
	v_lshl_or_b32 v52, v2, 16, v1
	v_cndmask_b32_e64 v83, v84, v83, s[26:27]
	v_cndmask_b32_e64 v72, v72, v73, s[24:25]
	v_cndmask_b32_e64 v73, v75, v74, s[24:25]
	v_cndmask_b32_e64 v68, v68, v69, s[22:23]
	v_cndmask_b32_e64 v69, v71, v70, s[22:23]
	v_cndmask_b32_e64 v64, v64, v65, s[20:21]
	v_cndmask_b32_e64 v65, v67, v66, s[20:21]
	v_cndmask_b32_e64 v60, v60, v61, s[18:19]
	v_cndmask_b32_e64 v61, v63, v62, s[18:19]
	v_cndmask_b32_e32 v59, v86, v81, vcc
	s_barrier
	ds_write_b64 v5, v[52:53]
	s_waitcnt lgkmcnt(0)
	s_barrier
	ds_read_u8 v1, v56
	ds_read_u8 v52, v59
	;; [unrolled: 1-line block ×8, first 2 shown]
	v_lshlrev_b16_e32 v56, 8, v60
	v_cndmask_b32_e32 v57, v82, v85, vcc
	v_or_b32_sdwa v56, v58, v56 dst_sel:DWORD dst_unused:UNUSED_PAD src0_sel:BYTE_0 src1_sel:DWORD
	v_lshlrev_b16_e32 v58, 8, v68
	v_or_b32_sdwa v58, v64, v58 dst_sel:WORD_1 dst_unused:UNUSED_PAD src0_sel:BYTE_0 src1_sel:DWORD
	v_lshlrev_b16_e32 v57, 8, v57
	v_or_b32_sdwa v56, v56, v58 dst_sel:DWORD dst_unused:UNUSED_PAD src0_sel:WORD_0 src1_sel:DWORD
	v_or_b32_sdwa v58, v72, v76 dst_sel:DWORD dst_unused:UNUSED_PAD src0_sel:BYTE_0 src1_sel:DWORD
	v_or_b32_sdwa v57, v80, v57 dst_sel:WORD_1 dst_unused:UNUSED_PAD src0_sel:BYTE_0 src1_sel:DWORD
	v_or_b32_sdwa v57, v58, v57 dst_sel:DWORD dst_unused:UNUSED_PAD src0_sel:WORD_0 src1_sel:DWORD
	s_waitcnt lgkmcnt(0)
	s_barrier
	ds_write_b64 v5, v[56:57]
	v_mov_b32_e32 v57, v45
	s_waitcnt lgkmcnt(0)
	s_barrier
	s_and_saveexec_b64 s[16:17], s[12:13]
	s_cbranch_execz .LBB69_198
; %bb.195:                              ;   in Loop: Header=BB69_2 Depth=1
	s_mov_b64 s[18:19], 0
	v_mov_b32_e32 v57, v45
	v_mov_b32_e32 v56, v46
.LBB69_196:                             ;   Parent Loop BB69_2 Depth=1
                                        ; =>  This Inner Loop Header: Depth=2
	v_sub_u32_e32 v58, v56, v57
	v_lshrrev_b32_e32 v58, 1, v58
	v_add_u32_e32 v58, v58, v57
	v_add_u32_e32 v59, v12, v58
	v_xad_u32 v60, v58, -1, v47
	ds_read_i8 v59, v59
	ds_read_i8 v60, v60
	v_add_u32_e32 v61, 1, v58
	s_waitcnt lgkmcnt(0)
	v_cmp_lt_i16_e32 vcc, v60, v59
	v_cndmask_b32_e32 v56, v56, v58, vcc
	v_cndmask_b32_e32 v57, v61, v57, vcc
	v_cmp_ge_i32_e32 vcc, v57, v56
	s_or_b64 s[18:19], vcc, s[18:19]
	s_andn2_b64 exec, exec, s[18:19]
	s_cbranch_execnz .LBB69_196
; %bb.197:                              ;   in Loop: Header=BB69_2 Depth=1
	s_or_b64 exec, exec, s[18:19]
.LBB69_198:                             ;   in Loop: Header=BB69_2 Depth=1
	s_or_b64 exec, exec, s[16:17]
	v_add_u32_e32 v56, v57, v12
	v_sub_u32_e32 v57, v47, v57
	ds_read_u8 v58, v56
	ds_read_u8 v59, v57
	v_cmp_le_i32_e64 s[16:17], v25, v56
	v_cmp_gt_i32_e32 vcc, v26, v57
                                        ; implicit-def: $vgpr60
	s_waitcnt lgkmcnt(1)
	v_bfe_i32 v58, v58, 0, 8
	s_waitcnt lgkmcnt(0)
	v_bfe_i32 v59, v59, 0, 8
	v_cmp_lt_i16_e64 s[18:19], v59, v58
	s_or_b64 s[2:3], s[16:17], s[18:19]
	s_and_b64 s[16:17], vcc, s[2:3]
	s_xor_b64 s[2:3], s[16:17], -1
	s_and_saveexec_b64 s[18:19], s[2:3]
	s_xor_b64 s[18:19], exec, s[18:19]
; %bb.199:                              ;   in Loop: Header=BB69_2 Depth=1
	ds_read_u8 v60, v56 offset:1
; %bb.200:                              ;   in Loop: Header=BB69_2 Depth=1
	s_or_saveexec_b64 s[18:19], s[18:19]
	v_mov_b32_e32 v61, v59
	s_xor_b64 exec, exec, s[18:19]
	s_cbranch_execz .LBB69_202
; %bb.201:                              ;   in Loop: Header=BB69_2 Depth=1
	ds_read_u8 v61, v57 offset:1
	s_waitcnt lgkmcnt(1)
	v_mov_b32_e32 v60, v58
.LBB69_202:                             ;   in Loop: Header=BB69_2 Depth=1
	s_or_b64 exec, exec, s[18:19]
	v_add_u32_e32 v63, 1, v56
	v_add_u32_e32 v62, 1, v57
	v_cndmask_b32_e64 v63, v63, v56, s[16:17]
	v_cndmask_b32_e64 v62, v57, v62, s[16:17]
	v_cmp_ge_i32_e64 s[18:19], v63, v25
	s_waitcnt lgkmcnt(0)
	v_cmp_lt_i16_sdwa s[2:3], sext(v61), sext(v60) src0_sel:BYTE_0 src1_sel:BYTE_0
	v_cmp_lt_i32_e32 vcc, v62, v26
	s_or_b64 s[2:3], s[18:19], s[2:3]
	s_and_b64 s[18:19], vcc, s[2:3]
	s_xor_b64 s[2:3], s[18:19], -1
                                        ; implicit-def: $vgpr64
	s_and_saveexec_b64 s[20:21], s[2:3]
	s_xor_b64 s[20:21], exec, s[20:21]
; %bb.203:                              ;   in Loop: Header=BB69_2 Depth=1
	ds_read_u8 v64, v63 offset:1
; %bb.204:                              ;   in Loop: Header=BB69_2 Depth=1
	s_or_saveexec_b64 s[20:21], s[20:21]
	v_mov_b32_e32 v65, v61
	s_xor_b64 exec, exec, s[20:21]
	s_cbranch_execz .LBB69_206
; %bb.205:                              ;   in Loop: Header=BB69_2 Depth=1
	ds_read_u8 v65, v62 offset:1
	s_waitcnt lgkmcnt(1)
	v_mov_b32_e32 v64, v60
.LBB69_206:                             ;   in Loop: Header=BB69_2 Depth=1
	s_or_b64 exec, exec, s[20:21]
	v_add_u32_e32 v67, 1, v63
	v_add_u32_e32 v66, 1, v62
	v_cndmask_b32_e64 v67, v67, v63, s[18:19]
	v_cndmask_b32_e64 v66, v62, v66, s[18:19]
	v_cmp_ge_i32_e64 s[20:21], v67, v25
	s_waitcnt lgkmcnt(0)
	v_cmp_lt_i16_sdwa s[2:3], sext(v65), sext(v64) src0_sel:BYTE_0 src1_sel:BYTE_0
	v_cmp_lt_i32_e32 vcc, v66, v26
	s_or_b64 s[2:3], s[20:21], s[2:3]
	s_and_b64 s[20:21], vcc, s[2:3]
	s_xor_b64 s[2:3], s[20:21], -1
                                        ; implicit-def: $vgpr68
	s_and_saveexec_b64 s[22:23], s[2:3]
	s_xor_b64 s[22:23], exec, s[22:23]
; %bb.207:                              ;   in Loop: Header=BB69_2 Depth=1
	ds_read_u8 v68, v67 offset:1
; %bb.208:                              ;   in Loop: Header=BB69_2 Depth=1
	s_or_saveexec_b64 s[22:23], s[22:23]
	v_mov_b32_e32 v69, v65
	s_xor_b64 exec, exec, s[22:23]
	s_cbranch_execz .LBB69_210
; %bb.209:                              ;   in Loop: Header=BB69_2 Depth=1
	ds_read_u8 v69, v66 offset:1
	s_waitcnt lgkmcnt(1)
	v_mov_b32_e32 v68, v64
.LBB69_210:                             ;   in Loop: Header=BB69_2 Depth=1
	s_or_b64 exec, exec, s[22:23]
	v_add_u32_e32 v71, 1, v67
	v_add_u32_e32 v70, 1, v66
	v_cndmask_b32_e64 v71, v71, v67, s[20:21]
	v_cndmask_b32_e64 v70, v66, v70, s[20:21]
	v_cmp_ge_i32_e64 s[22:23], v71, v25
	s_waitcnt lgkmcnt(0)
	v_cmp_lt_i16_sdwa s[2:3], sext(v69), sext(v68) src0_sel:BYTE_0 src1_sel:BYTE_0
	v_cmp_lt_i32_e32 vcc, v70, v26
	s_or_b64 s[2:3], s[22:23], s[2:3]
	s_and_b64 s[22:23], vcc, s[2:3]
	s_xor_b64 s[2:3], s[22:23], -1
                                        ; implicit-def: $vgpr72
	s_and_saveexec_b64 s[24:25], s[2:3]
	s_xor_b64 s[24:25], exec, s[24:25]
; %bb.211:                              ;   in Loop: Header=BB69_2 Depth=1
	ds_read_u8 v72, v71 offset:1
; %bb.212:                              ;   in Loop: Header=BB69_2 Depth=1
	s_or_saveexec_b64 s[24:25], s[24:25]
	v_mov_b32_e32 v73, v69
	s_xor_b64 exec, exec, s[24:25]
	s_cbranch_execz .LBB69_214
; %bb.213:                              ;   in Loop: Header=BB69_2 Depth=1
	ds_read_u8 v73, v70 offset:1
	s_waitcnt lgkmcnt(1)
	v_mov_b32_e32 v72, v68
.LBB69_214:                             ;   in Loop: Header=BB69_2 Depth=1
	s_or_b64 exec, exec, s[24:25]
	v_add_u32_e32 v75, 1, v71
	v_add_u32_e32 v74, 1, v70
	v_cndmask_b32_e64 v75, v75, v71, s[22:23]
	v_cndmask_b32_e64 v74, v70, v74, s[22:23]
	v_cmp_ge_i32_e64 s[24:25], v75, v25
	s_waitcnt lgkmcnt(0)
	v_cmp_lt_i16_sdwa s[2:3], sext(v73), sext(v72) src0_sel:BYTE_0 src1_sel:BYTE_0
	v_cmp_lt_i32_e32 vcc, v74, v26
	s_or_b64 s[2:3], s[24:25], s[2:3]
	s_and_b64 s[24:25], vcc, s[2:3]
	s_xor_b64 s[2:3], s[24:25], -1
                                        ; implicit-def: $vgpr76
	s_and_saveexec_b64 s[26:27], s[2:3]
	s_xor_b64 s[26:27], exec, s[26:27]
; %bb.215:                              ;   in Loop: Header=BB69_2 Depth=1
	ds_read_u8 v76, v75 offset:1
; %bb.216:                              ;   in Loop: Header=BB69_2 Depth=1
	s_or_saveexec_b64 s[26:27], s[26:27]
	v_mov_b32_e32 v77, v73
	s_xor_b64 exec, exec, s[26:27]
	s_cbranch_execz .LBB69_218
; %bb.217:                              ;   in Loop: Header=BB69_2 Depth=1
	ds_read_u8 v77, v74 offset:1
	s_waitcnt lgkmcnt(1)
	v_mov_b32_e32 v76, v72
.LBB69_218:                             ;   in Loop: Header=BB69_2 Depth=1
	s_or_b64 exec, exec, s[26:27]
	v_add_u32_e32 v79, 1, v75
	v_add_u32_e32 v78, 1, v74
	v_cndmask_b32_e64 v79, v79, v75, s[24:25]
	v_cndmask_b32_e64 v78, v74, v78, s[24:25]
	v_cmp_ge_i32_e64 s[26:27], v79, v25
	s_waitcnt lgkmcnt(0)
	v_cmp_lt_i16_sdwa s[2:3], sext(v77), sext(v76) src0_sel:BYTE_0 src1_sel:BYTE_0
	v_cmp_lt_i32_e32 vcc, v78, v26
	s_or_b64 s[2:3], s[26:27], s[2:3]
	s_and_b64 vcc, vcc, s[2:3]
	s_xor_b64 s[2:3], vcc, -1
                                        ; implicit-def: $vgpr80
	s_and_saveexec_b64 s[26:27], s[2:3]
	s_xor_b64 s[26:27], exec, s[26:27]
; %bb.219:                              ;   in Loop: Header=BB69_2 Depth=1
	ds_read_u8 v80, v79 offset:1
; %bb.220:                              ;   in Loop: Header=BB69_2 Depth=1
	s_or_saveexec_b64 s[26:27], s[26:27]
	v_mov_b32_e32 v81, v77
	s_xor_b64 exec, exec, s[26:27]
	s_cbranch_execz .LBB69_222
; %bb.221:                              ;   in Loop: Header=BB69_2 Depth=1
	ds_read_u8 v81, v78 offset:1
	s_waitcnt lgkmcnt(1)
	v_mov_b32_e32 v80, v76
.LBB69_222:                             ;   in Loop: Header=BB69_2 Depth=1
	s_or_b64 exec, exec, s[26:27]
	v_add_u32_e32 v84, 1, v79
	v_add_u32_e32 v82, 1, v78
	v_cndmask_b32_e32 v84, v84, v79, vcc
	v_cndmask_b32_e32 v83, v78, v82, vcc
	v_cmp_ge_i32_e64 s[28:29], v84, v25
	s_waitcnt lgkmcnt(0)
	v_cmp_lt_i16_sdwa s[2:3], sext(v81), sext(v80) src0_sel:BYTE_0 src1_sel:BYTE_0
	v_cmp_lt_i32_e64 s[26:27], v83, v26
	s_or_b64 s[2:3], s[28:29], s[2:3]
	s_and_b64 s[26:27], s[26:27], s[2:3]
	s_xor_b64 s[2:3], s[26:27], -1
                                        ; implicit-def: $vgpr82
	s_and_saveexec_b64 s[28:29], s[2:3]
	s_xor_b64 s[28:29], exec, s[28:29]
; %bb.223:                              ;   in Loop: Header=BB69_2 Depth=1
	ds_read_u8 v82, v84 offset:1
; %bb.224:                              ;   in Loop: Header=BB69_2 Depth=1
	s_or_saveexec_b64 s[28:29], s[28:29]
	v_mov_b32_e32 v85, v81
	s_xor_b64 exec, exec, s[28:29]
	s_cbranch_execz .LBB69_226
; %bb.225:                              ;   in Loop: Header=BB69_2 Depth=1
	ds_read_u8 v85, v83 offset:1
	s_waitcnt lgkmcnt(1)
	v_mov_b32_e32 v82, v80
.LBB69_226:                             ;   in Loop: Header=BB69_2 Depth=1
	s_or_b64 exec, exec, s[28:29]
	v_add_u32_e32 v86, 1, v84
	v_cndmask_b32_e64 v80, v80, v81, s[26:27]
	v_add_u32_e32 v81, 1, v83
	v_cndmask_b32_e64 v86, v86, v84, s[26:27]
	v_cndmask_b32_e64 v81, v83, v81, s[26:27]
	;; [unrolled: 1-line block ×4, first 2 shown]
	v_cmp_ge_i32_e64 s[16:17], v86, v25
	s_waitcnt lgkmcnt(0)
	v_cmp_lt_i16_sdwa s[2:3], sext(v85), sext(v82) src0_sel:BYTE_0 src1_sel:BYTE_0
	v_cndmask_b32_sdwa v76, v76, v77, vcc dst_sel:BYTE_1 dst_unused:UNUSED_PAD src0_sel:DWORD src1_sel:DWORD
	v_cndmask_b32_e32 v77, v79, v78, vcc
	v_cmp_lt_i32_e32 vcc, v81, v26
	s_or_b64 s[2:3], s[16:17], s[2:3]
	v_perm_b32 v53, v53, v54, s88
	v_perm_b32 v52, v55, v52, s88
	;; [unrolled: 1-line block ×4, first 2 shown]
	s_and_b64 vcc, vcc, s[2:3]
	v_lshl_or_b32 v53, v52, 16, v53
	v_lshl_or_b32 v52, v2, 16, v1
	v_cndmask_b32_e64 v83, v84, v83, s[26:27]
	v_cndmask_b32_e64 v72, v72, v73, s[24:25]
	;; [unrolled: 1-line block ×9, first 2 shown]
	v_cndmask_b32_e32 v59, v86, v81, vcc
	s_barrier
	ds_write_b64 v5, v[52:53]
	s_waitcnt lgkmcnt(0)
	s_barrier
	ds_read_u8 v1, v56
	ds_read_u8 v52, v59
	;; [unrolled: 1-line block ×8, first 2 shown]
	v_lshlrev_b16_e32 v56, 8, v60
	v_cndmask_b32_e32 v57, v82, v85, vcc
	v_or_b32_sdwa v56, v58, v56 dst_sel:DWORD dst_unused:UNUSED_PAD src0_sel:BYTE_0 src1_sel:DWORD
	v_lshlrev_b16_e32 v58, 8, v68
	v_or_b32_sdwa v58, v64, v58 dst_sel:WORD_1 dst_unused:UNUSED_PAD src0_sel:BYTE_0 src1_sel:DWORD
	v_lshlrev_b16_e32 v57, 8, v57
	v_or_b32_sdwa v56, v56, v58 dst_sel:DWORD dst_unused:UNUSED_PAD src0_sel:WORD_0 src1_sel:DWORD
	v_or_b32_sdwa v58, v72, v76 dst_sel:DWORD dst_unused:UNUSED_PAD src0_sel:BYTE_0 src1_sel:DWORD
	v_or_b32_sdwa v57, v80, v57 dst_sel:WORD_1 dst_unused:UNUSED_PAD src0_sel:BYTE_0 src1_sel:DWORD
	v_or_b32_sdwa v57, v58, v57 dst_sel:DWORD dst_unused:UNUSED_PAD src0_sel:WORD_0 src1_sel:DWORD
	s_waitcnt lgkmcnt(0)
	s_barrier
	ds_write_b64 v5, v[56:57]
	v_mov_b32_e32 v56, v49
	s_waitcnt lgkmcnt(0)
	s_barrier
	s_and_saveexec_b64 s[16:17], s[14:15]
	s_cbranch_execz .LBB69_230
; %bb.227:                              ;   in Loop: Header=BB69_2 Depth=1
	s_mov_b64 s[18:19], 0
	v_mov_b32_e32 v56, v49
	v_mov_b32_e32 v57, v50
.LBB69_228:                             ;   Parent Loop BB69_2 Depth=1
                                        ; =>  This Inner Loop Header: Depth=2
	v_sub_u32_e32 v58, v57, v56
	v_lshrrev_b32_e32 v58, 1, v58
	v_add_u32_e32 v58, v58, v56
	v_xad_u32 v59, v58, -1, v51
	ds_read_i8 v60, v58
	ds_read_i8 v59, v59
	v_add_u32_e32 v61, 1, v58
	s_waitcnt lgkmcnt(0)
	v_cmp_lt_i16_e32 vcc, v59, v60
	v_cndmask_b32_e32 v57, v57, v58, vcc
	v_cndmask_b32_e32 v56, v61, v56, vcc
	v_cmp_ge_i32_e32 vcc, v56, v57
	s_or_b64 s[18:19], vcc, s[18:19]
	s_andn2_b64 exec, exec, s[18:19]
	s_cbranch_execnz .LBB69_228
; %bb.229:                              ;   in Loop: Header=BB69_2 Depth=1
	s_or_b64 exec, exec, s[18:19]
.LBB69_230:                             ;   in Loop: Header=BB69_2 Depth=1
	s_or_b64 exec, exec, s[16:17]
	v_sub_u32_e32 v57, v51, v56
	ds_read_u8 v58, v56
	ds_read_u8 v59, v57
	v_cmp_le_i32_e64 s[16:17], v48, v56
	v_cmp_gt_i32_e32 vcc, s1, v57
                                        ; implicit-def: $vgpr60
	s_waitcnt lgkmcnt(1)
	v_bfe_i32 v58, v58, 0, 8
	s_waitcnt lgkmcnt(0)
	v_bfe_i32 v59, v59, 0, 8
	v_cmp_lt_i16_e64 s[18:19], v59, v58
	s_or_b64 s[2:3], s[16:17], s[18:19]
	s_and_b64 vcc, vcc, s[2:3]
	s_xor_b64 s[2:3], vcc, -1
	s_and_saveexec_b64 s[16:17], s[2:3]
	s_xor_b64 s[16:17], exec, s[16:17]
; %bb.231:                              ;   in Loop: Header=BB69_2 Depth=1
	ds_read_u8 v60, v56 offset:1
; %bb.232:                              ;   in Loop: Header=BB69_2 Depth=1
	s_or_saveexec_b64 s[16:17], s[16:17]
	v_mov_b32_e32 v61, v59
	s_xor_b64 exec, exec, s[16:17]
	s_cbranch_execz .LBB69_234
; %bb.233:                              ;   in Loop: Header=BB69_2 Depth=1
	ds_read_u8 v61, v57 offset:1
	s_waitcnt lgkmcnt(1)
	v_mov_b32_e32 v60, v58
.LBB69_234:                             ;   in Loop: Header=BB69_2 Depth=1
	s_or_b64 exec, exec, s[16:17]
	v_add_u32_e32 v63, 1, v56
	v_add_u32_e32 v62, 1, v57
	v_cndmask_b32_e32 v63, v63, v56, vcc
	v_cndmask_b32_e32 v62, v57, v62, vcc
	v_cmp_ge_i32_e64 s[18:19], v63, v48
	s_waitcnt lgkmcnt(0)
	v_cmp_lt_i16_sdwa s[2:3], sext(v61), sext(v60) src0_sel:BYTE_0 src1_sel:BYTE_0
	v_cmp_gt_i32_e64 s[16:17], s1, v62
	s_or_b64 s[2:3], s[18:19], s[2:3]
	s_and_b64 s[16:17], s[16:17], s[2:3]
	s_xor_b64 s[2:3], s[16:17], -1
                                        ; implicit-def: $vgpr64
	s_and_saveexec_b64 s[18:19], s[2:3]
	s_xor_b64 s[18:19], exec, s[18:19]
; %bb.235:                              ;   in Loop: Header=BB69_2 Depth=1
	ds_read_u8 v64, v63 offset:1
; %bb.236:                              ;   in Loop: Header=BB69_2 Depth=1
	s_or_saveexec_b64 s[18:19], s[18:19]
	v_mov_b32_e32 v65, v61
	s_xor_b64 exec, exec, s[18:19]
	s_cbranch_execz .LBB69_238
; %bb.237:                              ;   in Loop: Header=BB69_2 Depth=1
	ds_read_u8 v65, v62 offset:1
	s_waitcnt lgkmcnt(1)
	v_mov_b32_e32 v64, v60
.LBB69_238:                             ;   in Loop: Header=BB69_2 Depth=1
	s_or_b64 exec, exec, s[18:19]
	v_add_u32_e32 v67, 1, v63
	v_add_u32_e32 v66, 1, v62
	v_cndmask_b32_e64 v67, v67, v63, s[16:17]
	v_cndmask_b32_e64 v66, v62, v66, s[16:17]
	v_cmp_ge_i32_e64 s[20:21], v67, v48
	s_waitcnt lgkmcnt(0)
	v_cmp_lt_i16_sdwa s[2:3], sext(v65), sext(v64) src0_sel:BYTE_0 src1_sel:BYTE_0
	v_cmp_gt_i32_e64 s[18:19], s1, v66
	s_or_b64 s[2:3], s[20:21], s[2:3]
	s_and_b64 s[18:19], s[18:19], s[2:3]
	s_xor_b64 s[2:3], s[18:19], -1
                                        ; implicit-def: $vgpr68
	s_and_saveexec_b64 s[20:21], s[2:3]
	s_xor_b64 s[20:21], exec, s[20:21]
; %bb.239:                              ;   in Loop: Header=BB69_2 Depth=1
	ds_read_u8 v68, v67 offset:1
; %bb.240:                              ;   in Loop: Header=BB69_2 Depth=1
	s_or_saveexec_b64 s[20:21], s[20:21]
	v_mov_b32_e32 v69, v65
	s_xor_b64 exec, exec, s[20:21]
	s_cbranch_execz .LBB69_242
; %bb.241:                              ;   in Loop: Header=BB69_2 Depth=1
	ds_read_u8 v69, v66 offset:1
	s_waitcnt lgkmcnt(1)
	v_mov_b32_e32 v68, v64
.LBB69_242:                             ;   in Loop: Header=BB69_2 Depth=1
	s_or_b64 exec, exec, s[20:21]
	v_add_u32_e32 v71, 1, v67
	v_add_u32_e32 v70, 1, v66
	v_cndmask_b32_e64 v71, v71, v67, s[18:19]
	v_cndmask_b32_e64 v70, v66, v70, s[18:19]
	v_cmp_ge_i32_e64 s[22:23], v71, v48
	s_waitcnt lgkmcnt(0)
	v_cmp_lt_i16_sdwa s[2:3], sext(v69), sext(v68) src0_sel:BYTE_0 src1_sel:BYTE_0
	v_cmp_gt_i32_e64 s[20:21], s1, v70
	s_or_b64 s[2:3], s[22:23], s[2:3]
	s_and_b64 s[20:21], s[20:21], s[2:3]
	s_xor_b64 s[2:3], s[20:21], -1
                                        ; implicit-def: $vgpr72
	s_and_saveexec_b64 s[22:23], s[2:3]
	s_xor_b64 s[22:23], exec, s[22:23]
; %bb.243:                              ;   in Loop: Header=BB69_2 Depth=1
	ds_read_u8 v72, v71 offset:1
; %bb.244:                              ;   in Loop: Header=BB69_2 Depth=1
	s_or_saveexec_b64 s[22:23], s[22:23]
	v_mov_b32_e32 v73, v69
	s_xor_b64 exec, exec, s[22:23]
	s_cbranch_execz .LBB69_246
; %bb.245:                              ;   in Loop: Header=BB69_2 Depth=1
	ds_read_u8 v73, v70 offset:1
	s_waitcnt lgkmcnt(1)
	v_mov_b32_e32 v72, v68
.LBB69_246:                             ;   in Loop: Header=BB69_2 Depth=1
	s_or_b64 exec, exec, s[22:23]
	v_add_u32_e32 v75, 1, v71
	v_add_u32_e32 v74, 1, v70
	v_cndmask_b32_e64 v75, v75, v71, s[20:21]
	v_cndmask_b32_e64 v74, v70, v74, s[20:21]
	v_cmp_ge_i32_e64 s[24:25], v75, v48
	s_waitcnt lgkmcnt(0)
	v_cmp_lt_i16_sdwa s[2:3], sext(v73), sext(v72) src0_sel:BYTE_0 src1_sel:BYTE_0
	v_cmp_gt_i32_e64 s[22:23], s1, v74
	s_or_b64 s[2:3], s[24:25], s[2:3]
	s_and_b64 s[22:23], s[22:23], s[2:3]
	s_xor_b64 s[2:3], s[22:23], -1
                                        ; implicit-def: $vgpr76
	s_and_saveexec_b64 s[24:25], s[2:3]
	s_xor_b64 s[24:25], exec, s[24:25]
; %bb.247:                              ;   in Loop: Header=BB69_2 Depth=1
	ds_read_u8 v76, v75 offset:1
; %bb.248:                              ;   in Loop: Header=BB69_2 Depth=1
	s_or_saveexec_b64 s[24:25], s[24:25]
	v_mov_b32_e32 v77, v73
	s_xor_b64 exec, exec, s[24:25]
	s_cbranch_execz .LBB69_250
; %bb.249:                              ;   in Loop: Header=BB69_2 Depth=1
	ds_read_u8 v77, v74 offset:1
	s_waitcnt lgkmcnt(1)
	v_mov_b32_e32 v76, v72
.LBB69_250:                             ;   in Loop: Header=BB69_2 Depth=1
	s_or_b64 exec, exec, s[24:25]
	v_add_u32_e32 v79, 1, v75
	v_add_u32_e32 v78, 1, v74
	v_cndmask_b32_e64 v79, v79, v75, s[22:23]
	v_cndmask_b32_e64 v78, v74, v78, s[22:23]
	v_cmp_ge_i32_e64 s[26:27], v79, v48
	s_waitcnt lgkmcnt(0)
	v_cmp_lt_i16_sdwa s[2:3], sext(v77), sext(v76) src0_sel:BYTE_0 src1_sel:BYTE_0
	v_cmp_gt_i32_e64 s[24:25], s1, v78
	s_or_b64 s[2:3], s[26:27], s[2:3]
	s_and_b64 s[24:25], s[24:25], s[2:3]
	s_xor_b64 s[2:3], s[24:25], -1
                                        ; implicit-def: $vgpr80
	s_and_saveexec_b64 s[26:27], s[2:3]
	s_xor_b64 s[26:27], exec, s[26:27]
; %bb.251:                              ;   in Loop: Header=BB69_2 Depth=1
	ds_read_u8 v80, v79 offset:1
; %bb.252:                              ;   in Loop: Header=BB69_2 Depth=1
	s_or_saveexec_b64 s[26:27], s[26:27]
	v_mov_b32_e32 v81, v77
	s_xor_b64 exec, exec, s[26:27]
	s_cbranch_execz .LBB69_254
; %bb.253:                              ;   in Loop: Header=BB69_2 Depth=1
	ds_read_u8 v81, v78 offset:1
	s_waitcnt lgkmcnt(1)
	v_mov_b32_e32 v80, v76
.LBB69_254:                             ;   in Loop: Header=BB69_2 Depth=1
	s_or_b64 exec, exec, s[26:27]
	v_add_u32_e32 v83, 1, v79
	v_add_u32_e32 v82, 1, v78
	v_cndmask_b32_e64 v86, v83, v79, s[24:25]
	v_cndmask_b32_e64 v82, v78, v82, s[24:25]
	v_cmp_ge_i32_e64 s[28:29], v86, v48
	s_waitcnt lgkmcnt(0)
	v_cmp_lt_i16_sdwa s[2:3], sext(v81), sext(v80) src0_sel:BYTE_0 src1_sel:BYTE_0
	v_cmp_gt_i32_e64 s[26:27], s1, v82
	s_or_b64 s[2:3], s[28:29], s[2:3]
	s_and_b64 s[26:27], s[26:27], s[2:3]
	s_xor_b64 s[2:3], s[26:27], -1
                                        ; implicit-def: $vgpr85
                                        ; implicit-def: $vgpr84
	s_and_saveexec_b64 s[28:29], s[2:3]
	s_xor_b64 s[28:29], exec, s[28:29]
; %bb.255:                              ;   in Loop: Header=BB69_2 Depth=1
	ds_read_u8 v85, v86 offset:1
	v_add_u32_e32 v84, 1, v86
; %bb.256:                              ;   in Loop: Header=BB69_2 Depth=1
	s_or_saveexec_b64 s[28:29], s[28:29]
	v_mov_b32_e32 v83, v86
	v_mov_b32_e32 v87, v81
	s_xor_b64 exec, exec, s[28:29]
	s_cbranch_execz .LBB69_1
; %bb.257:                              ;   in Loop: Header=BB69_2 Depth=1
	ds_read_u8 v87, v82 offset:1
	s_waitcnt lgkmcnt(1)
	v_add_u32_e32 v85, 1, v82
	v_mov_b32_e32 v83, v82
	v_mov_b32_e32 v84, v86
	;; [unrolled: 1-line block ×4, first 2 shown]
	s_branch .LBB69_1
.LBB69_258:
	v_readlane_b32 s0, v88, 1
	v_readlane_b32 s2, v88, 3
	;; [unrolled: 1-line block ×5, first 2 shown]
	s_add_u32 s0, s2, s0
	s_addc_u32 s1, s3, 0
	v_mov_b32_e32 v1, s1
	v_add_co_u32_e32 v0, vcc, s0, v0
	v_add_u16_e32 v2, v58, v52
	v_addc_co_u32_e32 v1, vcc, 0, v1, vcc
	v_add_u16_e32 v3, v59, v55
	v_add_u16_e32 v4, v60, v57
	;; [unrolled: 1-line block ×7, first 2 shown]
	global_store_byte v[0:1], v2, off
	global_store_byte v[0:1], v3, off offset:256
	global_store_byte v[0:1], v4, off offset:512
	;; [unrolled: 1-line block ×7, first 2 shown]
	s_endpgm
	.section	.rodata,"a",@progbits
	.p2align	6, 0x0
	.amdhsa_kernel _Z17sort_pairs_kernelIaLj256ELj8EN10test_utils4lessELj10EEvPKT_PS2_T2_
		.amdhsa_group_segment_fixed_size 2049
		.amdhsa_private_segment_fixed_size 0
		.amdhsa_kernarg_size 20
		.amdhsa_user_sgpr_count 6
		.amdhsa_user_sgpr_private_segment_buffer 1
		.amdhsa_user_sgpr_dispatch_ptr 0
		.amdhsa_user_sgpr_queue_ptr 0
		.amdhsa_user_sgpr_kernarg_segment_ptr 1
		.amdhsa_user_sgpr_dispatch_id 0
		.amdhsa_user_sgpr_flat_scratch_init 0
		.amdhsa_user_sgpr_private_segment_size 0
		.amdhsa_uses_dynamic_stack 0
		.amdhsa_system_sgpr_private_segment_wavefront_offset 0
		.amdhsa_system_sgpr_workgroup_id_x 1
		.amdhsa_system_sgpr_workgroup_id_y 0
		.amdhsa_system_sgpr_workgroup_id_z 0
		.amdhsa_system_sgpr_workgroup_info 0
		.amdhsa_system_vgpr_workitem_id 0
		.amdhsa_next_free_vgpr 89
		.amdhsa_next_free_sgpr 96
		.amdhsa_reserve_vcc 1
		.amdhsa_reserve_flat_scratch 0
		.amdhsa_float_round_mode_32 0
		.amdhsa_float_round_mode_16_64 0
		.amdhsa_float_denorm_mode_32 3
		.amdhsa_float_denorm_mode_16_64 3
		.amdhsa_dx10_clamp 1
		.amdhsa_ieee_mode 1
		.amdhsa_fp16_overflow 0
		.amdhsa_exception_fp_ieee_invalid_op 0
		.amdhsa_exception_fp_denorm_src 0
		.amdhsa_exception_fp_ieee_div_zero 0
		.amdhsa_exception_fp_ieee_overflow 0
		.amdhsa_exception_fp_ieee_underflow 0
		.amdhsa_exception_fp_ieee_inexact 0
		.amdhsa_exception_int_div_zero 0
	.end_amdhsa_kernel
	.section	.text._Z17sort_pairs_kernelIaLj256ELj8EN10test_utils4lessELj10EEvPKT_PS2_T2_,"axG",@progbits,_Z17sort_pairs_kernelIaLj256ELj8EN10test_utils4lessELj10EEvPKT_PS2_T2_,comdat
.Lfunc_end69:
	.size	_Z17sort_pairs_kernelIaLj256ELj8EN10test_utils4lessELj10EEvPKT_PS2_T2_, .Lfunc_end69-_Z17sort_pairs_kernelIaLj256ELj8EN10test_utils4lessELj10EEvPKT_PS2_T2_
                                        ; -- End function
	.set _Z17sort_pairs_kernelIaLj256ELj8EN10test_utils4lessELj10EEvPKT_PS2_T2_.num_vgpr, 89
	.set _Z17sort_pairs_kernelIaLj256ELj8EN10test_utils4lessELj10EEvPKT_PS2_T2_.num_agpr, 0
	.set _Z17sort_pairs_kernelIaLj256ELj8EN10test_utils4lessELj10EEvPKT_PS2_T2_.numbered_sgpr, 96
	.set _Z17sort_pairs_kernelIaLj256ELj8EN10test_utils4lessELj10EEvPKT_PS2_T2_.num_named_barrier, 0
	.set _Z17sort_pairs_kernelIaLj256ELj8EN10test_utils4lessELj10EEvPKT_PS2_T2_.private_seg_size, 0
	.set _Z17sort_pairs_kernelIaLj256ELj8EN10test_utils4lessELj10EEvPKT_PS2_T2_.uses_vcc, 1
	.set _Z17sort_pairs_kernelIaLj256ELj8EN10test_utils4lessELj10EEvPKT_PS2_T2_.uses_flat_scratch, 0
	.set _Z17sort_pairs_kernelIaLj256ELj8EN10test_utils4lessELj10EEvPKT_PS2_T2_.has_dyn_sized_stack, 0
	.set _Z17sort_pairs_kernelIaLj256ELj8EN10test_utils4lessELj10EEvPKT_PS2_T2_.has_recursion, 0
	.set _Z17sort_pairs_kernelIaLj256ELj8EN10test_utils4lessELj10EEvPKT_PS2_T2_.has_indirect_call, 0
	.section	.AMDGPU.csdata,"",@progbits
; Kernel info:
; codeLenInByte = 13324
; TotalNumSgprs: 100
; NumVgprs: 89
; ScratchSize: 0
; MemoryBound: 0
; FloatMode: 240
; IeeeMode: 1
; LDSByteSize: 2049 bytes/workgroup (compile time only)
; SGPRBlocks: 12
; VGPRBlocks: 22
; NumSGPRsForWavesPerEU: 100
; NumVGPRsForWavesPerEU: 89
; Occupancy: 2
; WaveLimiterHint : 1
; COMPUTE_PGM_RSRC2:SCRATCH_EN: 0
; COMPUTE_PGM_RSRC2:USER_SGPR: 6
; COMPUTE_PGM_RSRC2:TRAP_HANDLER: 0
; COMPUTE_PGM_RSRC2:TGID_X_EN: 1
; COMPUTE_PGM_RSRC2:TGID_Y_EN: 0
; COMPUTE_PGM_RSRC2:TGID_Z_EN: 0
; COMPUTE_PGM_RSRC2:TIDIG_COMP_CNT: 0
	.section	.text._Z16sort_keys_kernelIaLj512ELj1EN10test_utils4lessELj10EEvPKT_PS2_T2_,"axG",@progbits,_Z16sort_keys_kernelIaLj512ELj1EN10test_utils4lessELj10EEvPKT_PS2_T2_,comdat
	.protected	_Z16sort_keys_kernelIaLj512ELj1EN10test_utils4lessELj10EEvPKT_PS2_T2_ ; -- Begin function _Z16sort_keys_kernelIaLj512ELj1EN10test_utils4lessELj10EEvPKT_PS2_T2_
	.globl	_Z16sort_keys_kernelIaLj512ELj1EN10test_utils4lessELj10EEvPKT_PS2_T2_
	.p2align	8
	.type	_Z16sort_keys_kernelIaLj512ELj1EN10test_utils4lessELj10EEvPKT_PS2_T2_,@function
_Z16sort_keys_kernelIaLj512ELj1EN10test_utils4lessELj10EEvPKT_PS2_T2_: ; @_Z16sort_keys_kernelIaLj512ELj1EN10test_utils4lessELj10EEvPKT_PS2_T2_
; %bb.0:
	s_load_dwordx4 s[20:23], s[4:5], 0x0
	s_lshl_b32 s24, s6, 9
	v_and_b32_e32 v1, 0x1fc, v0
	v_and_b32_e32 v3, 0x1f8, v0
	;; [unrolled: 1-line block ×3, first 2 shown]
	s_waitcnt lgkmcnt(0)
	s_add_u32 s0, s20, s24
	s_addc_u32 s1, s21, 0
	global_load_ubyte v53, v0, s[0:1]
	v_and_b32_e32 v7, 0x1e0, v0
	v_and_b32_e32 v9, 0x1c0, v0
	;; [unrolled: 1-line block ×4, first 2 shown]
	v_or_b32_e32 v23, 2, v1
	v_add_u32_e32 v2, 4, v1
	v_or_b32_e32 v27, 4, v3
	v_add_u32_e32 v4, 8, v3
	;; [unrolled: 2-line block ×7, first 2 shown]
	v_and_b32_e32 v24, 3, v0
	v_sub_u32_e32 v21, v2, v23
	v_and_b32_e32 v28, 7, v0
	v_sub_u32_e32 v25, v4, v27
	;; [unrolled: 2-line block ×6, first 2 shown]
	v_sub_u32_e32 v45, v14, v48
	v_and_b32_e32 v16, 0x1fe, v0
	v_sub_u32_e32 v22, v24, v21
	v_sub_u32_e32 v26, v28, v25
	;; [unrolled: 1-line block ×6, first 2 shown]
	v_sub_u32_sdwa v46, v0, v45 dst_sel:DWORD dst_unused:UNUSED_PAD src0_sel:BYTE_0 src1_sel:DWORD
	v_and_b32_e32 v20, 1, v0
	v_or_b32_e32 v17, 1, v16
	v_cmp_ge_i32_e64 s[0:1], v24, v21
	v_cmp_ge_i32_e64 s[2:3], v28, v25
	v_cmp_ge_i32_e64 s[4:5], v32, v29
	v_cmp_ge_i32_e64 s[6:7], v36, v33
	v_cmp_ge_i32_e64 s[8:9], v40, v37
	v_cmp_ge_i32_e64 s[10:11], v44, v41
	v_cmp_ge_i32_sdwa s[12:13], v0, v45 src0_sel:BYTE_0 src1_sel:DWORD
	v_add_u32_e32 v15, -1, v20
	v_cmp_lt_i32_e32 vcc, 0, v20
	v_sub_u32_e32 v18, v17, v16
	v_cndmask_b32_e64 v21, 0, v22, s[0:1]
	v_sub_u32_e32 v22, v23, v1
	v_cndmask_b32_e64 v25, 0, v26, s[2:3]
	;; [unrolled: 2-line block ×7, first 2 shown]
	v_sub_u32_e32 v46, v48, v13
	v_mov_b32_e32 v49, 0x100
	v_cndmask_b32_e32 v15, 0, v15, vcc
	v_min_i32_e32 v19, v20, v18
	v_add_u32_e32 v23, v23, v24
	v_min_i32_e32 v24, v24, v22
	v_add_u32_e32 v27, v27, v28
	;; [unrolled: 2-line block ×6, first 2 shown]
	v_min_i32_e32 v44, v44, v42
	v_min_i32_sdwa v47, v0, v46 dst_sel:DWORD dst_unused:UNUSED_PAD src0_sel:BYTE_0 src1_sel:DWORD
	v_sub_u32_e64 v50, v0, v49 clamp
	v_min_i32_e32 v51, 0x100, v0
	s_mov_b32 s25, 0
	v_cmp_lt_i32_e32 vcc, v15, v19
	v_add_u32_e32 v20, v17, v20
	v_cmp_lt_i32_e64 s[0:1], v21, v24
	v_cmp_lt_i32_e64 s[2:3], v25, v28
	v_cmp_lt_i32_e64 s[4:5], v29, v32
	v_cmp_lt_i32_e64 s[6:7], v33, v36
	v_cmp_lt_i32_e64 s[8:9], v37, v40
	v_cmp_lt_i32_e64 s[10:11], v41, v44
	v_cmp_lt_i32_e64 s[12:13], v45, v47
	v_add_u32_sdwa v48, v48, v0 dst_sel:DWORD dst_unused:UNUSED_PAD src0_sel:DWORD src1_sel:BYTE_0
	v_cmp_lt_i32_e64 s[14:15], v50, v51
	s_movk_i32 s26, 0x200
	v_add_u32_e32 v52, 0x100, v0
	s_branch .LBB70_2
.LBB70_1:                               ;   in Loop: Header=BB70_2 Depth=1
	s_or_b64 exec, exec, s[18:19]
	v_sub_u32_e32 v54, v52, v53
	ds_read_u8 v55, v53
	ds_read_u8 v56, v54
	v_cmp_ge_i32_e64 s[16:17], v53, v49
	v_cmp_gt_i32_e64 s[18:19], s26, v54
	s_add_i32 s25, s25, 1
	s_waitcnt lgkmcnt(0)
	v_cmp_lt_i16_sdwa s[20:21], sext(v56), sext(v55) src0_sel:BYTE_0 src1_sel:BYTE_0
	s_or_b64 s[16:17], s[16:17], s[20:21]
	s_and_b64 s[16:17], s[18:19], s[16:17]
	s_cmp_eq_u32 s25, 10
	v_cndmask_b32_e64 v53, v55, v56, s[16:17]
	s_cbranch_scc1 .LBB70_38
.LBB70_2:                               ; =>This Loop Header: Depth=1
                                        ;     Child Loop BB70_4 Depth 2
                                        ;     Child Loop BB70_8 Depth 2
	;; [unrolled: 1-line block ×9, first 2 shown]
	s_waitcnt vmcnt(0)
	s_barrier
	ds_write_b8 v0, v53
	v_mov_b32_e32 v53, v15
	s_waitcnt lgkmcnt(0)
	s_barrier
	s_and_saveexec_b64 s[18:19], vcc
	s_cbranch_execz .LBB70_6
; %bb.3:                                ;   in Loop: Header=BB70_2 Depth=1
	s_mov_b64 s[20:21], 0
	v_mov_b32_e32 v53, v15
	v_mov_b32_e32 v54, v19
.LBB70_4:                               ;   Parent Loop BB70_2 Depth=1
                                        ; =>  This Inner Loop Header: Depth=2
	v_sub_u32_e32 v55, v54, v53
	v_lshrrev_b32_e32 v55, 1, v55
	v_add_u32_e32 v55, v55, v53
	v_add_u32_e32 v56, v16, v55
	v_xad_u32 v57, v55, -1, v20
	ds_read_i8 v56, v56
	ds_read_i8 v57, v57
	v_add_u32_e32 v58, 1, v55
	s_waitcnt lgkmcnt(0)
	v_cmp_lt_i16_e64 s[16:17], v57, v56
	v_cndmask_b32_e64 v54, v54, v55, s[16:17]
	v_cndmask_b32_e64 v53, v58, v53, s[16:17]
	v_cmp_ge_i32_e64 s[16:17], v53, v54
	s_or_b64 s[20:21], s[16:17], s[20:21]
	s_andn2_b64 exec, exec, s[20:21]
	s_cbranch_execnz .LBB70_4
; %bb.5:                                ;   in Loop: Header=BB70_2 Depth=1
	s_or_b64 exec, exec, s[20:21]
.LBB70_6:                               ;   in Loop: Header=BB70_2 Depth=1
	s_or_b64 exec, exec, s[18:19]
	v_add_u32_e32 v55, v16, v53
	v_sub_u32_e32 v54, v20, v53
	ds_read_u8 v55, v55
	ds_read_u8 v56, v54
	v_cmp_ge_i32_e64 s[16:17], v53, v18
	v_cmp_ge_i32_e64 s[18:19], v17, v54
	s_waitcnt lgkmcnt(0)
	s_barrier
	v_cmp_lt_i16_sdwa s[20:21], sext(v56), sext(v55) src0_sel:BYTE_0 src1_sel:BYTE_0
	s_or_b64 s[16:17], s[16:17], s[20:21]
	s_and_b64 s[16:17], s[18:19], s[16:17]
	v_cndmask_b32_e64 v53, v55, v56, s[16:17]
	ds_write_b8 v0, v53
	v_mov_b32_e32 v53, v21
	s_waitcnt lgkmcnt(0)
	s_barrier
	s_and_saveexec_b64 s[18:19], s[0:1]
	s_cbranch_execz .LBB70_10
; %bb.7:                                ;   in Loop: Header=BB70_2 Depth=1
	s_mov_b64 s[20:21], 0
	v_mov_b32_e32 v53, v21
	v_mov_b32_e32 v54, v24
.LBB70_8:                               ;   Parent Loop BB70_2 Depth=1
                                        ; =>  This Inner Loop Header: Depth=2
	v_sub_u32_e32 v55, v54, v53
	v_lshrrev_b32_e32 v55, 1, v55
	v_add_u32_e32 v55, v55, v53
	v_add_u32_e32 v56, v1, v55
	v_xad_u32 v57, v55, -1, v23
	ds_read_i8 v56, v56
	ds_read_i8 v57, v57
	v_add_u32_e32 v58, 1, v55
	s_waitcnt lgkmcnt(0)
	v_cmp_lt_i16_e64 s[16:17], v57, v56
	v_cndmask_b32_e64 v54, v54, v55, s[16:17]
	v_cndmask_b32_e64 v53, v58, v53, s[16:17]
	v_cmp_ge_i32_e64 s[16:17], v53, v54
	s_or_b64 s[20:21], s[16:17], s[20:21]
	s_andn2_b64 exec, exec, s[20:21]
	s_cbranch_execnz .LBB70_8
; %bb.9:                                ;   in Loop: Header=BB70_2 Depth=1
	s_or_b64 exec, exec, s[20:21]
.LBB70_10:                              ;   in Loop: Header=BB70_2 Depth=1
	s_or_b64 exec, exec, s[18:19]
	v_add_u32_e32 v55, v1, v53
	v_sub_u32_e32 v54, v23, v53
	ds_read_u8 v55, v55
	ds_read_u8 v56, v54
	v_cmp_ge_i32_e64 s[16:17], v53, v22
	v_cmp_gt_i32_e64 s[18:19], v2, v54
	s_waitcnt lgkmcnt(0)
	s_barrier
	v_cmp_lt_i16_sdwa s[20:21], sext(v56), sext(v55) src0_sel:BYTE_0 src1_sel:BYTE_0
	s_or_b64 s[16:17], s[16:17], s[20:21]
	s_and_b64 s[16:17], s[18:19], s[16:17]
	v_cndmask_b32_e64 v53, v55, v56, s[16:17]
	ds_write_b8 v0, v53
	v_mov_b32_e32 v53, v25
	s_waitcnt lgkmcnt(0)
	s_barrier
	s_and_saveexec_b64 s[18:19], s[2:3]
	s_cbranch_execz .LBB70_14
; %bb.11:                               ;   in Loop: Header=BB70_2 Depth=1
	s_mov_b64 s[20:21], 0
	v_mov_b32_e32 v53, v25
	v_mov_b32_e32 v54, v28
.LBB70_12:                              ;   Parent Loop BB70_2 Depth=1
                                        ; =>  This Inner Loop Header: Depth=2
	v_sub_u32_e32 v55, v54, v53
	v_lshrrev_b32_e32 v55, 1, v55
	v_add_u32_e32 v55, v55, v53
	v_add_u32_e32 v56, v3, v55
	v_xad_u32 v57, v55, -1, v27
	ds_read_i8 v56, v56
	ds_read_i8 v57, v57
	v_add_u32_e32 v58, 1, v55
	s_waitcnt lgkmcnt(0)
	v_cmp_lt_i16_e64 s[16:17], v57, v56
	v_cndmask_b32_e64 v54, v54, v55, s[16:17]
	v_cndmask_b32_e64 v53, v58, v53, s[16:17]
	v_cmp_ge_i32_e64 s[16:17], v53, v54
	s_or_b64 s[20:21], s[16:17], s[20:21]
	s_andn2_b64 exec, exec, s[20:21]
	s_cbranch_execnz .LBB70_12
; %bb.13:                               ;   in Loop: Header=BB70_2 Depth=1
	s_or_b64 exec, exec, s[20:21]
.LBB70_14:                              ;   in Loop: Header=BB70_2 Depth=1
	s_or_b64 exec, exec, s[18:19]
	v_add_u32_e32 v55, v3, v53
	v_sub_u32_e32 v54, v27, v53
	ds_read_u8 v55, v55
	ds_read_u8 v56, v54
	v_cmp_ge_i32_e64 s[16:17], v53, v26
	v_cmp_gt_i32_e64 s[18:19], v4, v54
	s_waitcnt lgkmcnt(0)
	s_barrier
	v_cmp_lt_i16_sdwa s[20:21], sext(v56), sext(v55) src0_sel:BYTE_0 src1_sel:BYTE_0
	s_or_b64 s[16:17], s[16:17], s[20:21]
	s_and_b64 s[16:17], s[18:19], s[16:17]
	v_cndmask_b32_e64 v53, v55, v56, s[16:17]
	ds_write_b8 v0, v53
	v_mov_b32_e32 v53, v29
	s_waitcnt lgkmcnt(0)
	s_barrier
	s_and_saveexec_b64 s[18:19], s[4:5]
	s_cbranch_execz .LBB70_18
; %bb.15:                               ;   in Loop: Header=BB70_2 Depth=1
	s_mov_b64 s[20:21], 0
	v_mov_b32_e32 v53, v29
	v_mov_b32_e32 v54, v32
.LBB70_16:                              ;   Parent Loop BB70_2 Depth=1
                                        ; =>  This Inner Loop Header: Depth=2
	v_sub_u32_e32 v55, v54, v53
	v_lshrrev_b32_e32 v55, 1, v55
	v_add_u32_e32 v55, v55, v53
	v_add_u32_e32 v56, v5, v55
	v_xad_u32 v57, v55, -1, v31
	ds_read_i8 v56, v56
	ds_read_i8 v57, v57
	v_add_u32_e32 v58, 1, v55
	s_waitcnt lgkmcnt(0)
	v_cmp_lt_i16_e64 s[16:17], v57, v56
	v_cndmask_b32_e64 v54, v54, v55, s[16:17]
	v_cndmask_b32_e64 v53, v58, v53, s[16:17]
	v_cmp_ge_i32_e64 s[16:17], v53, v54
	s_or_b64 s[20:21], s[16:17], s[20:21]
	s_andn2_b64 exec, exec, s[20:21]
	s_cbranch_execnz .LBB70_16
; %bb.17:                               ;   in Loop: Header=BB70_2 Depth=1
	s_or_b64 exec, exec, s[20:21]
.LBB70_18:                              ;   in Loop: Header=BB70_2 Depth=1
	;; [unrolled: 44-line block ×6, first 2 shown]
	s_or_b64 exec, exec, s[18:19]
	v_add_u32_e32 v55, v13, v53
	v_sub_u32_e32 v54, v48, v53
	ds_read_u8 v55, v55
	ds_read_u8 v56, v54
	v_cmp_ge_i32_e64 s[16:17], v53, v46
	v_cmp_gt_i32_e64 s[18:19], v14, v54
	s_waitcnt lgkmcnt(0)
	s_barrier
	v_cmp_lt_i16_sdwa s[20:21], sext(v56), sext(v55) src0_sel:BYTE_0 src1_sel:BYTE_0
	s_or_b64 s[16:17], s[16:17], s[20:21]
	s_and_b64 s[16:17], s[18:19], s[16:17]
	v_cndmask_b32_e64 v53, v55, v56, s[16:17]
	ds_write_b8 v0, v53
	v_mov_b32_e32 v53, v50
	s_waitcnt lgkmcnt(0)
	s_barrier
	s_and_saveexec_b64 s[18:19], s[14:15]
	s_cbranch_execz .LBB70_1
; %bb.35:                               ;   in Loop: Header=BB70_2 Depth=1
	s_mov_b64 s[20:21], 0
	v_mov_b32_e32 v53, v50
	v_mov_b32_e32 v54, v51
.LBB70_36:                              ;   Parent Loop BB70_2 Depth=1
                                        ; =>  This Inner Loop Header: Depth=2
	v_sub_u32_e32 v55, v54, v53
	v_lshrrev_b32_e32 v55, 1, v55
	v_add_u32_e32 v55, v55, v53
	v_xad_u32 v56, v55, -1, v52
	ds_read_i8 v57, v55
	ds_read_i8 v56, v56
	v_add_u32_e32 v58, 1, v55
	s_waitcnt lgkmcnt(0)
	v_cmp_lt_i16_e64 s[16:17], v56, v57
	v_cndmask_b32_e64 v54, v54, v55, s[16:17]
	v_cndmask_b32_e64 v53, v58, v53, s[16:17]
	v_cmp_ge_i32_e64 s[16:17], v53, v54
	s_or_b64 s[20:21], s[16:17], s[20:21]
	s_andn2_b64 exec, exec, s[20:21]
	s_cbranch_execnz .LBB70_36
; %bb.37:                               ;   in Loop: Header=BB70_2 Depth=1
	s_or_b64 exec, exec, s[20:21]
	s_branch .LBB70_1
.LBB70_38:
	s_add_u32 s0, s22, s24
	s_addc_u32 s1, s23, 0
	v_mov_b32_e32 v1, s1
	v_add_co_u32_e32 v0, vcc, s0, v0
	v_addc_co_u32_e32 v1, vcc, 0, v1, vcc
	global_store_byte v[0:1], v53, off
	s_endpgm
	.section	.rodata,"a",@progbits
	.p2align	6, 0x0
	.amdhsa_kernel _Z16sort_keys_kernelIaLj512ELj1EN10test_utils4lessELj10EEvPKT_PS2_T2_
		.amdhsa_group_segment_fixed_size 513
		.amdhsa_private_segment_fixed_size 0
		.amdhsa_kernarg_size 20
		.amdhsa_user_sgpr_count 6
		.amdhsa_user_sgpr_private_segment_buffer 1
		.amdhsa_user_sgpr_dispatch_ptr 0
		.amdhsa_user_sgpr_queue_ptr 0
		.amdhsa_user_sgpr_kernarg_segment_ptr 1
		.amdhsa_user_sgpr_dispatch_id 0
		.amdhsa_user_sgpr_flat_scratch_init 0
		.amdhsa_user_sgpr_private_segment_size 0
		.amdhsa_uses_dynamic_stack 0
		.amdhsa_system_sgpr_private_segment_wavefront_offset 0
		.amdhsa_system_sgpr_workgroup_id_x 1
		.amdhsa_system_sgpr_workgroup_id_y 0
		.amdhsa_system_sgpr_workgroup_id_z 0
		.amdhsa_system_sgpr_workgroup_info 0
		.amdhsa_system_vgpr_workitem_id 0
		.amdhsa_next_free_vgpr 59
		.amdhsa_next_free_sgpr 27
		.amdhsa_reserve_vcc 1
		.amdhsa_reserve_flat_scratch 0
		.amdhsa_float_round_mode_32 0
		.amdhsa_float_round_mode_16_64 0
		.amdhsa_float_denorm_mode_32 3
		.amdhsa_float_denorm_mode_16_64 3
		.amdhsa_dx10_clamp 1
		.amdhsa_ieee_mode 1
		.amdhsa_fp16_overflow 0
		.amdhsa_exception_fp_ieee_invalid_op 0
		.amdhsa_exception_fp_denorm_src 0
		.amdhsa_exception_fp_ieee_div_zero 0
		.amdhsa_exception_fp_ieee_overflow 0
		.amdhsa_exception_fp_ieee_underflow 0
		.amdhsa_exception_fp_ieee_inexact 0
		.amdhsa_exception_int_div_zero 0
	.end_amdhsa_kernel
	.section	.text._Z16sort_keys_kernelIaLj512ELj1EN10test_utils4lessELj10EEvPKT_PS2_T2_,"axG",@progbits,_Z16sort_keys_kernelIaLj512ELj1EN10test_utils4lessELj10EEvPKT_PS2_T2_,comdat
.Lfunc_end70:
	.size	_Z16sort_keys_kernelIaLj512ELj1EN10test_utils4lessELj10EEvPKT_PS2_T2_, .Lfunc_end70-_Z16sort_keys_kernelIaLj512ELj1EN10test_utils4lessELj10EEvPKT_PS2_T2_
                                        ; -- End function
	.set _Z16sort_keys_kernelIaLj512ELj1EN10test_utils4lessELj10EEvPKT_PS2_T2_.num_vgpr, 59
	.set _Z16sort_keys_kernelIaLj512ELj1EN10test_utils4lessELj10EEvPKT_PS2_T2_.num_agpr, 0
	.set _Z16sort_keys_kernelIaLj512ELj1EN10test_utils4lessELj10EEvPKT_PS2_T2_.numbered_sgpr, 27
	.set _Z16sort_keys_kernelIaLj512ELj1EN10test_utils4lessELj10EEvPKT_PS2_T2_.num_named_barrier, 0
	.set _Z16sort_keys_kernelIaLj512ELj1EN10test_utils4lessELj10EEvPKT_PS2_T2_.private_seg_size, 0
	.set _Z16sort_keys_kernelIaLj512ELj1EN10test_utils4lessELj10EEvPKT_PS2_T2_.uses_vcc, 1
	.set _Z16sort_keys_kernelIaLj512ELj1EN10test_utils4lessELj10EEvPKT_PS2_T2_.uses_flat_scratch, 0
	.set _Z16sort_keys_kernelIaLj512ELj1EN10test_utils4lessELj10EEvPKT_PS2_T2_.has_dyn_sized_stack, 0
	.set _Z16sort_keys_kernelIaLj512ELj1EN10test_utils4lessELj10EEvPKT_PS2_T2_.has_recursion, 0
	.set _Z16sort_keys_kernelIaLj512ELj1EN10test_utils4lessELj10EEvPKT_PS2_T2_.has_indirect_call, 0
	.section	.AMDGPU.csdata,"",@progbits
; Kernel info:
; codeLenInByte = 2552
; TotalNumSgprs: 31
; NumVgprs: 59
; ScratchSize: 0
; MemoryBound: 0
; FloatMode: 240
; IeeeMode: 1
; LDSByteSize: 513 bytes/workgroup (compile time only)
; SGPRBlocks: 3
; VGPRBlocks: 14
; NumSGPRsForWavesPerEU: 31
; NumVGPRsForWavesPerEU: 59
; Occupancy: 4
; WaveLimiterHint : 0
; COMPUTE_PGM_RSRC2:SCRATCH_EN: 0
; COMPUTE_PGM_RSRC2:USER_SGPR: 6
; COMPUTE_PGM_RSRC2:TRAP_HANDLER: 0
; COMPUTE_PGM_RSRC2:TGID_X_EN: 1
; COMPUTE_PGM_RSRC2:TGID_Y_EN: 0
; COMPUTE_PGM_RSRC2:TGID_Z_EN: 0
; COMPUTE_PGM_RSRC2:TIDIG_COMP_CNT: 0
	.section	.text._Z17sort_pairs_kernelIaLj512ELj1EN10test_utils4lessELj10EEvPKT_PS2_T2_,"axG",@progbits,_Z17sort_pairs_kernelIaLj512ELj1EN10test_utils4lessELj10EEvPKT_PS2_T2_,comdat
	.protected	_Z17sort_pairs_kernelIaLj512ELj1EN10test_utils4lessELj10EEvPKT_PS2_T2_ ; -- Begin function _Z17sort_pairs_kernelIaLj512ELj1EN10test_utils4lessELj10EEvPKT_PS2_T2_
	.globl	_Z17sort_pairs_kernelIaLj512ELj1EN10test_utils4lessELj10EEvPKT_PS2_T2_
	.p2align	8
	.type	_Z17sort_pairs_kernelIaLj512ELj1EN10test_utils4lessELj10EEvPKT_PS2_T2_,@function
_Z17sort_pairs_kernelIaLj512ELj1EN10test_utils4lessELj10EEvPKT_PS2_T2_: ; @_Z17sort_pairs_kernelIaLj512ELj1EN10test_utils4lessELj10EEvPKT_PS2_T2_
; %bb.0:
	s_load_dwordx4 s[20:23], s[4:5], 0x0
	s_lshl_b32 s24, s6, 9
	v_and_b32_e32 v1, 0x1fc, v0
	v_and_b32_e32 v4, 0x1f8, v0
	v_and_b32_e32 v7, 0x1f0, v0
	s_waitcnt lgkmcnt(0)
	s_add_u32 s0, s20, s24
	s_addc_u32 s1, s21, 0
	global_load_ubyte v52, v0, s[0:1]
	v_and_b32_e32 v10, 0x1e0, v0
	v_and_b32_e32 v13, 0x1c0, v0
	;; [unrolled: 1-line block ×4, first 2 shown]
	v_or_b32_e32 v2, 2, v1
	v_add_u32_e32 v3, 4, v1
	v_or_b32_e32 v5, 4, v4
	v_add_u32_e32 v6, 8, v4
	;; [unrolled: 2-line block ×7, first 2 shown]
	v_and_b32_e32 v29, 3, v0
	v_sub_u32_e32 v27, v3, v2
	v_and_b32_e32 v32, 7, v0
	v_sub_u32_e32 v30, v6, v5
	;; [unrolled: 2-line block ×6, first 2 shown]
	v_sub_u32_e32 v45, v21, v20
	v_and_b32_e32 v23, 0x1fe, v0
	v_sub_u32_e32 v28, v29, v27
	v_sub_u32_e32 v31, v32, v30
	;; [unrolled: 1-line block ×6, first 2 shown]
	v_sub_u32_sdwa v46, v0, v45 dst_sel:DWORD dst_unused:UNUSED_PAD src0_sel:BYTE_0 src1_sel:DWORD
	v_and_b32_e32 v26, 1, v0
	v_or_b32_e32 v24, 1, v23
	v_cmp_ge_i32_e64 s[0:1], v29, v27
	v_cmp_ge_i32_e64 s[2:3], v32, v30
	;; [unrolled: 1-line block ×6, first 2 shown]
	v_cmp_ge_i32_sdwa s[12:13], v0, v45 src0_sel:BYTE_0 src1_sel:DWORD
	v_add_u32_e32 v22, -1, v26
	v_cmp_lt_i32_e32 vcc, 0, v26
	v_sub_u32_e32 v25, v24, v23
	v_cndmask_b32_e64 v27, 0, v28, s[0:1]
	v_sub_u32_e32 v28, v2, v1
	v_cndmask_b32_e64 v30, 0, v31, s[2:3]
	;; [unrolled: 2-line block ×7, first 2 shown]
	v_sub_u32_e32 v46, v20, v19
	v_mov_b32_e32 v47, 0x100
	v_cndmask_b32_e32 v22, 0, v22, vcc
	v_min_i32_e32 v25, v26, v25
	v_min_i32_e32 v28, v29, v28
	;; [unrolled: 1-line block ×7, first 2 shown]
	v_min_i32_sdwa v46, v0, v46 dst_sel:DWORD dst_unused:UNUSED_PAD src0_sel:BYTE_0 src1_sel:DWORD
	v_sub_u32_e64 v48, v0, v47 clamp
	v_min_i32_e32 v49, 0x100, v0
	s_mov_b32 s25, 0
	v_cmp_lt_i32_e32 vcc, v22, v25
	v_add_u32_e32 v26, v24, v26
	v_cmp_lt_i32_e64 s[0:1], v27, v28
	v_add_u32_e32 v29, v2, v29
	v_cmp_lt_i32_e64 s[2:3], v30, v31
	;; [unrolled: 2-line block ×7, first 2 shown]
	v_cmp_lt_i32_e64 s[14:15], v48, v49
	s_movk_i32 s26, 0x200
	s_waitcnt vmcnt(0)
	v_add_u16_e32 v53, 1, v52
	v_add_u32_sdwa v50, v20, v0 dst_sel:DWORD dst_unused:UNUSED_PAD src0_sel:DWORD src1_sel:BYTE_0
	v_add_u32_e32 v51, 0x100, v0
	s_branch .LBB71_2
.LBB71_1:                               ;   in Loop: Header=BB71_2 Depth=1
	s_or_b64 exec, exec, s[18:19]
	v_sub_u32_e32 v55, v51, v54
	ds_read_u8 v52, v54
	ds_read_u8 v56, v55
	v_cmp_le_i32_e64 s[16:17], v47, v54
	v_cmp_gt_i32_e64 s[18:19], s26, v55
	s_waitcnt lgkmcnt(0)
	s_barrier
	v_cmp_lt_i16_sdwa s[20:21], sext(v56), sext(v52) src0_sel:BYTE_0 src1_sel:BYTE_0
	s_or_b64 s[16:17], s[16:17], s[20:21]
	s_and_b64 s[16:17], s[18:19], s[16:17]
	v_cndmask_b32_e64 v54, v54, v55, s[16:17]
	ds_write_b8 v0, v53
	s_waitcnt lgkmcnt(0)
	s_barrier
	ds_read_u8 v53, v54
	s_add_i32 s25, s25, 1
	v_cndmask_b32_e64 v52, v52, v56, s[16:17]
	s_cmp_eq_u32 s25, 10
	s_cbranch_scc1 .LBB71_38
.LBB71_2:                               ; =>This Loop Header: Depth=1
                                        ;     Child Loop BB71_4 Depth 2
                                        ;     Child Loop BB71_8 Depth 2
	;; [unrolled: 1-line block ×9, first 2 shown]
	s_waitcnt lgkmcnt(0)
	s_barrier
	ds_write_b8 v0, v52
	v_mov_b32_e32 v52, v22
	s_waitcnt lgkmcnt(0)
	s_barrier
	s_and_saveexec_b64 s[18:19], vcc
	s_cbranch_execz .LBB71_6
; %bb.3:                                ;   in Loop: Header=BB71_2 Depth=1
	s_mov_b64 s[20:21], 0
	v_mov_b32_e32 v52, v22
	v_mov_b32_e32 v54, v25
.LBB71_4:                               ;   Parent Loop BB71_2 Depth=1
                                        ; =>  This Inner Loop Header: Depth=2
	v_sub_u32_e32 v55, v54, v52
	v_lshrrev_b32_e32 v55, 1, v55
	v_add_u32_e32 v55, v55, v52
	v_add_u32_e32 v56, v23, v55
	v_xad_u32 v57, v55, -1, v26
	ds_read_i8 v56, v56
	ds_read_i8 v57, v57
	v_add_u32_e32 v58, 1, v55
	s_waitcnt lgkmcnt(0)
	v_cmp_lt_i16_e64 s[16:17], v57, v56
	v_cndmask_b32_e64 v54, v54, v55, s[16:17]
	v_cndmask_b32_e64 v52, v58, v52, s[16:17]
	v_cmp_ge_i32_e64 s[16:17], v52, v54
	s_or_b64 s[20:21], s[16:17], s[20:21]
	s_andn2_b64 exec, exec, s[20:21]
	s_cbranch_execnz .LBB71_4
; %bb.5:                                ;   in Loop: Header=BB71_2 Depth=1
	s_or_b64 exec, exec, s[20:21]
.LBB71_6:                               ;   in Loop: Header=BB71_2 Depth=1
	s_or_b64 exec, exec, s[18:19]
	v_add_u32_e32 v54, v52, v23
	v_sub_u32_e32 v52, v26, v52
	ds_read_u8 v55, v54
	ds_read_u8 v56, v52
	v_cmp_le_i32_e64 s[18:19], v24, v54
	v_cmp_ge_i32_e64 s[16:17], v24, v52
	s_waitcnt lgkmcnt(0)
	s_barrier
	v_cmp_lt_i16_sdwa s[20:21], sext(v56), sext(v55) src0_sel:BYTE_0 src1_sel:BYTE_0
	s_or_b64 s[18:19], s[18:19], s[20:21]
	s_and_b64 s[16:17], s[16:17], s[18:19]
	v_cndmask_b32_e64 v52, v54, v52, s[16:17]
	ds_write_b8 v0, v53
	s_waitcnt lgkmcnt(0)
	s_barrier
	ds_read_u8 v52, v52
	v_cndmask_b32_e64 v55, v55, v56, s[16:17]
	v_mov_b32_e32 v53, v27
	s_waitcnt lgkmcnt(0)
	s_barrier
	ds_write_b8 v0, v55
	s_waitcnt lgkmcnt(0)
	s_barrier
	s_and_saveexec_b64 s[18:19], s[0:1]
	s_cbranch_execz .LBB71_10
; %bb.7:                                ;   in Loop: Header=BB71_2 Depth=1
	s_mov_b64 s[20:21], 0
	v_mov_b32_e32 v53, v27
	v_mov_b32_e32 v54, v28
.LBB71_8:                               ;   Parent Loop BB71_2 Depth=1
                                        ; =>  This Inner Loop Header: Depth=2
	v_sub_u32_e32 v55, v54, v53
	v_lshrrev_b32_e32 v55, 1, v55
	v_add_u32_e32 v55, v55, v53
	v_add_u32_e32 v56, v1, v55
	v_xad_u32 v57, v55, -1, v29
	ds_read_i8 v56, v56
	ds_read_i8 v57, v57
	v_add_u32_e32 v58, 1, v55
	s_waitcnt lgkmcnt(0)
	v_cmp_lt_i16_e64 s[16:17], v57, v56
	v_cndmask_b32_e64 v54, v54, v55, s[16:17]
	v_cndmask_b32_e64 v53, v58, v53, s[16:17]
	v_cmp_ge_i32_e64 s[16:17], v53, v54
	s_or_b64 s[20:21], s[16:17], s[20:21]
	s_andn2_b64 exec, exec, s[20:21]
	s_cbranch_execnz .LBB71_8
; %bb.9:                                ;   in Loop: Header=BB71_2 Depth=1
	s_or_b64 exec, exec, s[20:21]
.LBB71_10:                              ;   in Loop: Header=BB71_2 Depth=1
	s_or_b64 exec, exec, s[18:19]
	v_add_u32_e32 v54, v53, v1
	v_sub_u32_e32 v53, v29, v53
	ds_read_u8 v55, v54
	ds_read_u8 v56, v53
	v_cmp_le_i32_e64 s[18:19], v2, v54
	v_cmp_gt_i32_e64 s[16:17], v3, v53
	s_waitcnt lgkmcnt(0)
	s_barrier
	v_cmp_lt_i16_sdwa s[20:21], sext(v56), sext(v55) src0_sel:BYTE_0 src1_sel:BYTE_0
	s_or_b64 s[18:19], s[18:19], s[20:21]
	s_and_b64 s[16:17], s[16:17], s[18:19]
	v_cndmask_b32_e64 v53, v54, v53, s[16:17]
	ds_write_b8 v0, v52
	s_waitcnt lgkmcnt(0)
	s_barrier
	ds_read_u8 v52, v53
	v_cndmask_b32_e64 v55, v55, v56, s[16:17]
	v_mov_b32_e32 v53, v30
	s_waitcnt lgkmcnt(0)
	s_barrier
	ds_write_b8 v0, v55
	s_waitcnt lgkmcnt(0)
	s_barrier
	s_and_saveexec_b64 s[18:19], s[2:3]
	s_cbranch_execz .LBB71_14
; %bb.11:                               ;   in Loop: Header=BB71_2 Depth=1
	s_mov_b64 s[20:21], 0
	v_mov_b32_e32 v53, v30
	v_mov_b32_e32 v54, v31
.LBB71_12:                              ;   Parent Loop BB71_2 Depth=1
                                        ; =>  This Inner Loop Header: Depth=2
	v_sub_u32_e32 v55, v54, v53
	v_lshrrev_b32_e32 v55, 1, v55
	v_add_u32_e32 v55, v55, v53
	v_add_u32_e32 v56, v4, v55
	v_xad_u32 v57, v55, -1, v32
	ds_read_i8 v56, v56
	ds_read_i8 v57, v57
	v_add_u32_e32 v58, 1, v55
	s_waitcnt lgkmcnt(0)
	v_cmp_lt_i16_e64 s[16:17], v57, v56
	v_cndmask_b32_e64 v54, v54, v55, s[16:17]
	v_cndmask_b32_e64 v53, v58, v53, s[16:17]
	v_cmp_ge_i32_e64 s[16:17], v53, v54
	s_or_b64 s[20:21], s[16:17], s[20:21]
	s_andn2_b64 exec, exec, s[20:21]
	s_cbranch_execnz .LBB71_12
; %bb.13:                               ;   in Loop: Header=BB71_2 Depth=1
	s_or_b64 exec, exec, s[20:21]
.LBB71_14:                              ;   in Loop: Header=BB71_2 Depth=1
	s_or_b64 exec, exec, s[18:19]
	v_add_u32_e32 v54, v53, v4
	v_sub_u32_e32 v53, v32, v53
	ds_read_u8 v55, v54
	ds_read_u8 v56, v53
	v_cmp_le_i32_e64 s[18:19], v5, v54
	v_cmp_gt_i32_e64 s[16:17], v6, v53
	s_waitcnt lgkmcnt(0)
	s_barrier
	v_cmp_lt_i16_sdwa s[20:21], sext(v56), sext(v55) src0_sel:BYTE_0 src1_sel:BYTE_0
	s_or_b64 s[18:19], s[18:19], s[20:21]
	s_and_b64 s[16:17], s[16:17], s[18:19]
	v_cndmask_b32_e64 v53, v54, v53, s[16:17]
	ds_write_b8 v0, v52
	s_waitcnt lgkmcnt(0)
	s_barrier
	ds_read_u8 v52, v53
	v_cndmask_b32_e64 v55, v55, v56, s[16:17]
	v_mov_b32_e32 v53, v33
	s_waitcnt lgkmcnt(0)
	s_barrier
	ds_write_b8 v0, v55
	s_waitcnt lgkmcnt(0)
	s_barrier
	s_and_saveexec_b64 s[18:19], s[4:5]
	s_cbranch_execz .LBB71_18
; %bb.15:                               ;   in Loop: Header=BB71_2 Depth=1
	s_mov_b64 s[20:21], 0
	v_mov_b32_e32 v53, v33
	v_mov_b32_e32 v54, v34
.LBB71_16:                              ;   Parent Loop BB71_2 Depth=1
                                        ; =>  This Inner Loop Header: Depth=2
	v_sub_u32_e32 v55, v54, v53
	v_lshrrev_b32_e32 v55, 1, v55
	v_add_u32_e32 v55, v55, v53
	v_add_u32_e32 v56, v7, v55
	v_xad_u32 v57, v55, -1, v35
	ds_read_i8 v56, v56
	ds_read_i8 v57, v57
	v_add_u32_e32 v58, 1, v55
	s_waitcnt lgkmcnt(0)
	v_cmp_lt_i16_e64 s[16:17], v57, v56
	v_cndmask_b32_e64 v54, v54, v55, s[16:17]
	v_cndmask_b32_e64 v53, v58, v53, s[16:17]
	v_cmp_ge_i32_e64 s[16:17], v53, v54
	s_or_b64 s[20:21], s[16:17], s[20:21]
	s_andn2_b64 exec, exec, s[20:21]
	s_cbranch_execnz .LBB71_16
; %bb.17:                               ;   in Loop: Header=BB71_2 Depth=1
	s_or_b64 exec, exec, s[20:21]
.LBB71_18:                              ;   in Loop: Header=BB71_2 Depth=1
	;; [unrolled: 51-line block ×6, first 2 shown]
	s_or_b64 exec, exec, s[18:19]
	v_add_u32_e32 v54, v53, v19
	v_sub_u32_e32 v53, v50, v53
	ds_read_u8 v55, v54
	ds_read_u8 v56, v53
	v_cmp_le_i32_e64 s[18:19], v20, v54
	v_cmp_gt_i32_e64 s[16:17], v21, v53
	s_waitcnt lgkmcnt(0)
	s_barrier
	v_cmp_lt_i16_sdwa s[20:21], sext(v56), sext(v55) src0_sel:BYTE_0 src1_sel:BYTE_0
	s_or_b64 s[18:19], s[18:19], s[20:21]
	s_and_b64 s[16:17], s[16:17], s[18:19]
	v_cndmask_b32_e64 v53, v54, v53, s[16:17]
	ds_write_b8 v0, v52
	s_waitcnt lgkmcnt(0)
	s_barrier
	ds_read_u8 v53, v53
	v_cndmask_b32_e64 v55, v55, v56, s[16:17]
	v_mov_b32_e32 v54, v48
	s_waitcnt lgkmcnt(0)
	s_barrier
	ds_write_b8 v0, v55
	s_waitcnt lgkmcnt(0)
	s_barrier
	s_and_saveexec_b64 s[18:19], s[14:15]
	s_cbranch_execz .LBB71_1
; %bb.35:                               ;   in Loop: Header=BB71_2 Depth=1
	s_mov_b64 s[20:21], 0
	v_mov_b32_e32 v54, v48
	v_mov_b32_e32 v52, v49
.LBB71_36:                              ;   Parent Loop BB71_2 Depth=1
                                        ; =>  This Inner Loop Header: Depth=2
	v_sub_u32_e32 v55, v52, v54
	v_lshrrev_b32_e32 v55, 1, v55
	v_add_u32_e32 v55, v55, v54
	v_xad_u32 v56, v55, -1, v51
	ds_read_i8 v57, v55
	ds_read_i8 v56, v56
	v_add_u32_e32 v58, 1, v55
	s_waitcnt lgkmcnt(0)
	v_cmp_lt_i16_e64 s[16:17], v56, v57
	v_cndmask_b32_e64 v52, v52, v55, s[16:17]
	v_cndmask_b32_e64 v54, v58, v54, s[16:17]
	v_cmp_ge_i32_e64 s[16:17], v54, v52
	s_or_b64 s[20:21], s[16:17], s[20:21]
	s_andn2_b64 exec, exec, s[20:21]
	s_cbranch_execnz .LBB71_36
; %bb.37:                               ;   in Loop: Header=BB71_2 Depth=1
	s_or_b64 exec, exec, s[20:21]
	s_branch .LBB71_1
.LBB71_38:
	s_add_u32 s0, s22, s24
	s_addc_u32 s1, s23, 0
	v_mov_b32_e32 v1, s1
	v_add_co_u32_e32 v0, vcc, s0, v0
	s_waitcnt lgkmcnt(0)
	v_add_u16_e32 v2, v52, v53
	v_addc_co_u32_e32 v1, vcc, 0, v1, vcc
	global_store_byte v[0:1], v2, off
	s_endpgm
	.section	.rodata,"a",@progbits
	.p2align	6, 0x0
	.amdhsa_kernel _Z17sort_pairs_kernelIaLj512ELj1EN10test_utils4lessELj10EEvPKT_PS2_T2_
		.amdhsa_group_segment_fixed_size 513
		.amdhsa_private_segment_fixed_size 0
		.amdhsa_kernarg_size 20
		.amdhsa_user_sgpr_count 6
		.amdhsa_user_sgpr_private_segment_buffer 1
		.amdhsa_user_sgpr_dispatch_ptr 0
		.amdhsa_user_sgpr_queue_ptr 0
		.amdhsa_user_sgpr_kernarg_segment_ptr 1
		.amdhsa_user_sgpr_dispatch_id 0
		.amdhsa_user_sgpr_flat_scratch_init 0
		.amdhsa_user_sgpr_private_segment_size 0
		.amdhsa_uses_dynamic_stack 0
		.amdhsa_system_sgpr_private_segment_wavefront_offset 0
		.amdhsa_system_sgpr_workgroup_id_x 1
		.amdhsa_system_sgpr_workgroup_id_y 0
		.amdhsa_system_sgpr_workgroup_id_z 0
		.amdhsa_system_sgpr_workgroup_info 0
		.amdhsa_system_vgpr_workitem_id 0
		.amdhsa_next_free_vgpr 59
		.amdhsa_next_free_sgpr 27
		.amdhsa_reserve_vcc 1
		.amdhsa_reserve_flat_scratch 0
		.amdhsa_float_round_mode_32 0
		.amdhsa_float_round_mode_16_64 0
		.amdhsa_float_denorm_mode_32 3
		.amdhsa_float_denorm_mode_16_64 3
		.amdhsa_dx10_clamp 1
		.amdhsa_ieee_mode 1
		.amdhsa_fp16_overflow 0
		.amdhsa_exception_fp_ieee_invalid_op 0
		.amdhsa_exception_fp_denorm_src 0
		.amdhsa_exception_fp_ieee_div_zero 0
		.amdhsa_exception_fp_ieee_overflow 0
		.amdhsa_exception_fp_ieee_underflow 0
		.amdhsa_exception_fp_ieee_inexact 0
		.amdhsa_exception_int_div_zero 0
	.end_amdhsa_kernel
	.section	.text._Z17sort_pairs_kernelIaLj512ELj1EN10test_utils4lessELj10EEvPKT_PS2_T2_,"axG",@progbits,_Z17sort_pairs_kernelIaLj512ELj1EN10test_utils4lessELj10EEvPKT_PS2_T2_,comdat
.Lfunc_end71:
	.size	_Z17sort_pairs_kernelIaLj512ELj1EN10test_utils4lessELj10EEvPKT_PS2_T2_, .Lfunc_end71-_Z17sort_pairs_kernelIaLj512ELj1EN10test_utils4lessELj10EEvPKT_PS2_T2_
                                        ; -- End function
	.set _Z17sort_pairs_kernelIaLj512ELj1EN10test_utils4lessELj10EEvPKT_PS2_T2_.num_vgpr, 59
	.set _Z17sort_pairs_kernelIaLj512ELj1EN10test_utils4lessELj10EEvPKT_PS2_T2_.num_agpr, 0
	.set _Z17sort_pairs_kernelIaLj512ELj1EN10test_utils4lessELj10EEvPKT_PS2_T2_.numbered_sgpr, 27
	.set _Z17sort_pairs_kernelIaLj512ELj1EN10test_utils4lessELj10EEvPKT_PS2_T2_.num_named_barrier, 0
	.set _Z17sort_pairs_kernelIaLj512ELj1EN10test_utils4lessELj10EEvPKT_PS2_T2_.private_seg_size, 0
	.set _Z17sort_pairs_kernelIaLj512ELj1EN10test_utils4lessELj10EEvPKT_PS2_T2_.uses_vcc, 1
	.set _Z17sort_pairs_kernelIaLj512ELj1EN10test_utils4lessELj10EEvPKT_PS2_T2_.uses_flat_scratch, 0
	.set _Z17sort_pairs_kernelIaLj512ELj1EN10test_utils4lessELj10EEvPKT_PS2_T2_.has_dyn_sized_stack, 0
	.set _Z17sort_pairs_kernelIaLj512ELj1EN10test_utils4lessELj10EEvPKT_PS2_T2_.has_recursion, 0
	.set _Z17sort_pairs_kernelIaLj512ELj1EN10test_utils4lessELj10EEvPKT_PS2_T2_.has_indirect_call, 0
	.section	.AMDGPU.csdata,"",@progbits
; Kernel info:
; codeLenInByte = 2924
; TotalNumSgprs: 31
; NumVgprs: 59
; ScratchSize: 0
; MemoryBound: 0
; FloatMode: 240
; IeeeMode: 1
; LDSByteSize: 513 bytes/workgroup (compile time only)
; SGPRBlocks: 3
; VGPRBlocks: 14
; NumSGPRsForWavesPerEU: 31
; NumVGPRsForWavesPerEU: 59
; Occupancy: 4
; WaveLimiterHint : 0
; COMPUTE_PGM_RSRC2:SCRATCH_EN: 0
; COMPUTE_PGM_RSRC2:USER_SGPR: 6
; COMPUTE_PGM_RSRC2:TRAP_HANDLER: 0
; COMPUTE_PGM_RSRC2:TGID_X_EN: 1
; COMPUTE_PGM_RSRC2:TGID_Y_EN: 0
; COMPUTE_PGM_RSRC2:TGID_Z_EN: 0
; COMPUTE_PGM_RSRC2:TIDIG_COMP_CNT: 0
	.section	.text._Z16sort_keys_kernelIaLj512ELj2EN10test_utils4lessELj10EEvPKT_PS2_T2_,"axG",@progbits,_Z16sort_keys_kernelIaLj512ELj2EN10test_utils4lessELj10EEvPKT_PS2_T2_,comdat
	.protected	_Z16sort_keys_kernelIaLj512ELj2EN10test_utils4lessELj10EEvPKT_PS2_T2_ ; -- Begin function _Z16sort_keys_kernelIaLj512ELj2EN10test_utils4lessELj10EEvPKT_PS2_T2_
	.globl	_Z16sort_keys_kernelIaLj512ELj2EN10test_utils4lessELj10EEvPKT_PS2_T2_
	.p2align	8
	.type	_Z16sort_keys_kernelIaLj512ELj2EN10test_utils4lessELj10EEvPKT_PS2_T2_,@function
_Z16sort_keys_kernelIaLj512ELj2EN10test_utils4lessELj10EEvPKT_PS2_T2_: ; @_Z16sort_keys_kernelIaLj512ELj2EN10test_utils4lessELj10EEvPKT_PS2_T2_
; %bb.0:
	s_load_dwordx4 s[20:23], s[4:5], 0x0
	s_lshl_b32 s24, s6, 10
	v_lshlrev_b32_e32 v1, 1, v0
	v_and_b32_e32 v2, 0x3fc, v1
	v_and_b32_e32 v5, 0x3f8, v1
	s_waitcnt lgkmcnt(0)
	s_add_u32 s0, s20, s24
	s_addc_u32 s1, s21, 0
	global_load_ubyte v55, v0, s[0:1] offset:512
	global_load_ubyte v54, v0, s[0:1]
	v_and_b32_e32 v8, 0x3f0, v1
	v_and_b32_e32 v11, 0x3e0, v1
	;; [unrolled: 1-line block ×6, first 2 shown]
	v_or_b32_e32 v3, 2, v2
	v_add_u32_e32 v4, 4, v2
	v_or_b32_e32 v6, 4, v5
	v_add_u32_e32 v7, 8, v5
	;; [unrolled: 2-line block ×8, first 2 shown]
	v_and_b32_e32 v28, 2, v1
	v_sub_u32_e32 v26, v4, v3
	v_and_b32_e32 v31, 6, v1
	v_sub_u32_e32 v29, v7, v6
	;; [unrolled: 2-line block ×8, first 2 shown]
	v_sub_u32_e32 v27, v28, v26
	v_sub_u32_e32 v30, v31, v29
	;; [unrolled: 1-line block ×8, first 2 shown]
	v_cmp_ge_i32_e32 vcc, v28, v26
	v_cmp_ge_i32_e64 s[0:1], v31, v29
	v_cmp_ge_i32_e64 s[2:3], v34, v32
	;; [unrolled: 1-line block ×7, first 2 shown]
	v_cndmask_b32_e32 v26, 0, v27, vcc
	v_sub_u32_e32 v27, v3, v2
	v_cndmask_b32_e64 v29, 0, v30, s[0:1]
	v_sub_u32_e32 v30, v6, v5
	v_cndmask_b32_e64 v32, 0, v33, s[2:3]
	;; [unrolled: 2-line block ×7, first 2 shown]
	v_sub_u32_e32 v48, v24, v23
	v_mov_b32_e32 v50, 0x200
	v_min_i32_e32 v27, v28, v27
	v_min_i32_e32 v30, v31, v30
	;; [unrolled: 1-line block ×8, first 2 shown]
	v_sub_u32_e64 v51, v1, v50 clamp
	v_min_i32_e32 v52, 0x200, v1
	s_mov_b32 s25, 0
	v_cmp_lt_i32_e32 vcc, v26, v27
	v_add_u32_e32 v28, v3, v28
	v_cmp_lt_i32_e64 s[0:1], v29, v30
	v_add_u32_e32 v31, v6, v31
	v_cmp_lt_i32_e64 s[2:3], v32, v33
	;; [unrolled: 2-line block ×8, first 2 shown]
	s_mov_b32 s26, 0xc0c0004
	s_movk_i32 s27, 0x400
	v_add_u32_e32 v53, 0x200, v1
	s_branch .LBB72_2
.LBB72_1:                               ;   in Loop: Header=BB72_2 Depth=1
	s_or_b64 exec, exec, s[18:19]
	v_cmp_ge_i32_e64 s[18:19], v59, v50
	s_waitcnt lgkmcnt(0)
	v_cmp_lt_i16_sdwa s[20:21], sext(v60), sext(v58) src0_sel:BYTE_0 src1_sel:BYTE_0
	v_cndmask_b32_e64 v54, v56, v57, s[16:17]
	v_cmp_gt_i32_e64 s[16:17], s27, v55
	s_or_b64 s[18:19], s[18:19], s[20:21]
	s_and_b64 s[16:17], s[16:17], s[18:19]
	s_add_i32 s25, s25, 1
	s_cmp_eq_u32 s25, 10
	v_cndmask_b32_e64 v55, v58, v60, s[16:17]
	s_cbranch_scc1 .LBB72_74
.LBB72_2:                               ; =>This Loop Header: Depth=1
                                        ;     Child Loop BB72_4 Depth 2
                                        ;     Child Loop BB72_12 Depth 2
	;; [unrolled: 1-line block ×9, first 2 shown]
	s_waitcnt vmcnt(0)
	v_perm_b32 v56, v55, v54, s26
	v_perm_b32 v57, v54, v55, s26
	v_cmp_lt_i16_sdwa s[16:17], sext(v55), sext(v54) src0_sel:BYTE_0 src1_sel:BYTE_0
	v_cndmask_b32_e64 v54, v57, v56, s[16:17]
	s_barrier
	ds_write_b8 v1, v54
	v_lshrrev_b16_e32 v54, 8, v54
	v_mov_b32_e32 v55, v26
	ds_write_b8 v1, v54 offset:1
	s_waitcnt lgkmcnt(0)
	s_barrier
	s_and_saveexec_b64 s[18:19], vcc
	s_cbranch_execz .LBB72_6
; %bb.3:                                ;   in Loop: Header=BB72_2 Depth=1
	s_mov_b64 s[20:21], 0
	v_mov_b32_e32 v55, v26
	v_mov_b32_e32 v54, v27
.LBB72_4:                               ;   Parent Loop BB72_2 Depth=1
                                        ; =>  This Inner Loop Header: Depth=2
	v_sub_u32_e32 v56, v54, v55
	v_lshrrev_b32_e32 v56, 1, v56
	v_add_u32_e32 v56, v56, v55
	v_add_u32_e32 v57, v2, v56
	v_xad_u32 v58, v56, -1, v28
	ds_read_i8 v57, v57
	ds_read_i8 v58, v58
	v_add_u32_e32 v59, 1, v56
	s_waitcnt lgkmcnt(0)
	v_cmp_lt_i16_e64 s[16:17], v58, v57
	v_cndmask_b32_e64 v54, v54, v56, s[16:17]
	v_cndmask_b32_e64 v55, v59, v55, s[16:17]
	v_cmp_ge_i32_e64 s[16:17], v55, v54
	s_or_b64 s[20:21], s[16:17], s[20:21]
	s_andn2_b64 exec, exec, s[20:21]
	s_cbranch_execnz .LBB72_4
; %bb.5:                                ;   in Loop: Header=BB72_2 Depth=1
	s_or_b64 exec, exec, s[20:21]
.LBB72_6:                               ;   in Loop: Header=BB72_2 Depth=1
	s_or_b64 exec, exec, s[18:19]
	v_add_u32_e32 v54, v55, v2
	v_sub_u32_e32 v55, v28, v55
	ds_read_u8 v56, v54
	ds_read_u8 v57, v55
	v_cmp_le_i32_e64 s[18:19], v3, v54
	v_cmp_gt_i32_e64 s[16:17], v4, v55
	s_waitcnt lgkmcnt(1)
	v_bfe_i32 v56, v56, 0, 8
	s_waitcnt lgkmcnt(0)
	v_bfe_i32 v58, v57, 0, 8
	v_cmp_lt_i16_e64 s[20:21], v58, v56
	s_or_b64 s[18:19], s[18:19], s[20:21]
	s_and_b64 s[16:17], s[16:17], s[18:19]
	s_xor_b64 s[18:19], s[16:17], -1
                                        ; implicit-def: $vgpr57
	s_and_saveexec_b64 s[20:21], s[18:19]
	s_xor_b64 s[18:19], exec, s[20:21]
; %bb.7:                                ;   in Loop: Header=BB72_2 Depth=1
	ds_read_u8 v57, v54 offset:1
; %bb.8:                                ;   in Loop: Header=BB72_2 Depth=1
	s_or_saveexec_b64 s[18:19], s[18:19]
	v_mov_b32_e32 v59, v58
	s_xor_b64 exec, exec, s[18:19]
	s_cbranch_execz .LBB72_10
; %bb.9:                                ;   in Loop: Header=BB72_2 Depth=1
	ds_read_u8 v59, v55 offset:1
	s_waitcnt lgkmcnt(1)
	v_mov_b32_e32 v57, v56
.LBB72_10:                              ;   in Loop: Header=BB72_2 Depth=1
	s_or_b64 exec, exec, s[18:19]
	v_add_u32_e32 v60, 1, v54
	v_cndmask_b32_e64 v56, v56, v58, s[16:17]
	v_add_u32_e32 v58, 1, v55
	v_cndmask_b32_e64 v54, v60, v54, s[16:17]
	v_cndmask_b32_e64 v55, v55, v58, s[16:17]
	v_cmp_ge_i32_e64 s[18:19], v54, v3
	s_waitcnt lgkmcnt(0)
	v_cmp_lt_i16_sdwa s[20:21], sext(v59), sext(v57) src0_sel:BYTE_0 src1_sel:BYTE_0
	v_cmp_lt_i32_e64 s[16:17], v55, v4
	s_or_b64 s[18:19], s[18:19], s[20:21]
	s_and_b64 s[16:17], s[16:17], s[18:19]
	v_mov_b32_e32 v55, v29
	v_cndmask_b32_e64 v54, v57, v59, s[16:17]
	s_barrier
	ds_write_b8 v1, v56
	ds_write_b8 v1, v54 offset:1
	s_waitcnt lgkmcnt(0)
	s_barrier
	s_and_saveexec_b64 s[18:19], s[0:1]
	s_cbranch_execz .LBB72_14
; %bb.11:                               ;   in Loop: Header=BB72_2 Depth=1
	s_mov_b64 s[20:21], 0
	v_mov_b32_e32 v55, v29
	v_mov_b32_e32 v54, v30
.LBB72_12:                              ;   Parent Loop BB72_2 Depth=1
                                        ; =>  This Inner Loop Header: Depth=2
	v_sub_u32_e32 v56, v54, v55
	v_lshrrev_b32_e32 v56, 1, v56
	v_add_u32_e32 v56, v56, v55
	v_add_u32_e32 v57, v5, v56
	v_xad_u32 v58, v56, -1, v31
	ds_read_i8 v57, v57
	ds_read_i8 v58, v58
	v_add_u32_e32 v59, 1, v56
	s_waitcnt lgkmcnt(0)
	v_cmp_lt_i16_e64 s[16:17], v58, v57
	v_cndmask_b32_e64 v54, v54, v56, s[16:17]
	v_cndmask_b32_e64 v55, v59, v55, s[16:17]
	v_cmp_ge_i32_e64 s[16:17], v55, v54
	s_or_b64 s[20:21], s[16:17], s[20:21]
	s_andn2_b64 exec, exec, s[20:21]
	s_cbranch_execnz .LBB72_12
; %bb.13:                               ;   in Loop: Header=BB72_2 Depth=1
	s_or_b64 exec, exec, s[20:21]
.LBB72_14:                              ;   in Loop: Header=BB72_2 Depth=1
	s_or_b64 exec, exec, s[18:19]
	v_add_u32_e32 v54, v55, v5
	v_sub_u32_e32 v55, v31, v55
	ds_read_u8 v56, v54
	ds_read_u8 v57, v55
	v_cmp_le_i32_e64 s[18:19], v6, v54
	v_cmp_gt_i32_e64 s[16:17], v7, v55
	s_waitcnt lgkmcnt(1)
	v_bfe_i32 v56, v56, 0, 8
	s_waitcnt lgkmcnt(0)
	v_bfe_i32 v58, v57, 0, 8
	v_cmp_lt_i16_e64 s[20:21], v58, v56
	s_or_b64 s[18:19], s[18:19], s[20:21]
	s_and_b64 s[16:17], s[16:17], s[18:19]
	s_xor_b64 s[18:19], s[16:17], -1
                                        ; implicit-def: $vgpr57
	s_and_saveexec_b64 s[20:21], s[18:19]
	s_xor_b64 s[18:19], exec, s[20:21]
; %bb.15:                               ;   in Loop: Header=BB72_2 Depth=1
	ds_read_u8 v57, v54 offset:1
; %bb.16:                               ;   in Loop: Header=BB72_2 Depth=1
	s_or_saveexec_b64 s[18:19], s[18:19]
	v_mov_b32_e32 v59, v58
	s_xor_b64 exec, exec, s[18:19]
	s_cbranch_execz .LBB72_18
; %bb.17:                               ;   in Loop: Header=BB72_2 Depth=1
	ds_read_u8 v59, v55 offset:1
	s_waitcnt lgkmcnt(1)
	v_mov_b32_e32 v57, v56
.LBB72_18:                              ;   in Loop: Header=BB72_2 Depth=1
	s_or_b64 exec, exec, s[18:19]
	v_add_u32_e32 v60, 1, v54
	v_cndmask_b32_e64 v56, v56, v58, s[16:17]
	v_add_u32_e32 v58, 1, v55
	v_cndmask_b32_e64 v54, v60, v54, s[16:17]
	v_cndmask_b32_e64 v55, v55, v58, s[16:17]
	v_cmp_ge_i32_e64 s[18:19], v54, v6
	s_waitcnt lgkmcnt(0)
	v_cmp_lt_i16_sdwa s[20:21], sext(v59), sext(v57) src0_sel:BYTE_0 src1_sel:BYTE_0
	v_cmp_lt_i32_e64 s[16:17], v55, v7
	s_or_b64 s[18:19], s[18:19], s[20:21]
	s_and_b64 s[16:17], s[16:17], s[18:19]
	v_mov_b32_e32 v55, v32
	v_cndmask_b32_e64 v54, v57, v59, s[16:17]
	s_barrier
	ds_write_b8 v1, v56
	ds_write_b8 v1, v54 offset:1
	s_waitcnt lgkmcnt(0)
	s_barrier
	s_and_saveexec_b64 s[18:19], s[2:3]
	s_cbranch_execz .LBB72_22
; %bb.19:                               ;   in Loop: Header=BB72_2 Depth=1
	s_mov_b64 s[20:21], 0
	v_mov_b32_e32 v55, v32
	v_mov_b32_e32 v54, v33
.LBB72_20:                              ;   Parent Loop BB72_2 Depth=1
                                        ; =>  This Inner Loop Header: Depth=2
	v_sub_u32_e32 v56, v54, v55
	v_lshrrev_b32_e32 v56, 1, v56
	v_add_u32_e32 v56, v56, v55
	v_add_u32_e32 v57, v8, v56
	v_xad_u32 v58, v56, -1, v34
	ds_read_i8 v57, v57
	ds_read_i8 v58, v58
	v_add_u32_e32 v59, 1, v56
	s_waitcnt lgkmcnt(0)
	v_cmp_lt_i16_e64 s[16:17], v58, v57
	v_cndmask_b32_e64 v54, v54, v56, s[16:17]
	v_cndmask_b32_e64 v55, v59, v55, s[16:17]
	v_cmp_ge_i32_e64 s[16:17], v55, v54
	s_or_b64 s[20:21], s[16:17], s[20:21]
	s_andn2_b64 exec, exec, s[20:21]
	s_cbranch_execnz .LBB72_20
; %bb.21:                               ;   in Loop: Header=BB72_2 Depth=1
	s_or_b64 exec, exec, s[20:21]
.LBB72_22:                              ;   in Loop: Header=BB72_2 Depth=1
	s_or_b64 exec, exec, s[18:19]
	v_add_u32_e32 v54, v55, v8
	v_sub_u32_e32 v55, v34, v55
	ds_read_u8 v56, v54
	ds_read_u8 v57, v55
	v_cmp_le_i32_e64 s[18:19], v9, v54
	v_cmp_gt_i32_e64 s[16:17], v10, v55
	s_waitcnt lgkmcnt(1)
	v_bfe_i32 v56, v56, 0, 8
	s_waitcnt lgkmcnt(0)
	v_bfe_i32 v58, v57, 0, 8
	v_cmp_lt_i16_e64 s[20:21], v58, v56
	s_or_b64 s[18:19], s[18:19], s[20:21]
	s_and_b64 s[16:17], s[16:17], s[18:19]
	s_xor_b64 s[18:19], s[16:17], -1
                                        ; implicit-def: $vgpr57
	s_and_saveexec_b64 s[20:21], s[18:19]
	s_xor_b64 s[18:19], exec, s[20:21]
; %bb.23:                               ;   in Loop: Header=BB72_2 Depth=1
	ds_read_u8 v57, v54 offset:1
; %bb.24:                               ;   in Loop: Header=BB72_2 Depth=1
	s_or_saveexec_b64 s[18:19], s[18:19]
	v_mov_b32_e32 v59, v58
	s_xor_b64 exec, exec, s[18:19]
	s_cbranch_execz .LBB72_26
; %bb.25:                               ;   in Loop: Header=BB72_2 Depth=1
	ds_read_u8 v59, v55 offset:1
	s_waitcnt lgkmcnt(1)
	v_mov_b32_e32 v57, v56
.LBB72_26:                              ;   in Loop: Header=BB72_2 Depth=1
	s_or_b64 exec, exec, s[18:19]
	v_add_u32_e32 v60, 1, v54
	v_cndmask_b32_e64 v56, v56, v58, s[16:17]
	v_add_u32_e32 v58, 1, v55
	v_cndmask_b32_e64 v54, v60, v54, s[16:17]
	v_cndmask_b32_e64 v55, v55, v58, s[16:17]
	v_cmp_ge_i32_e64 s[18:19], v54, v9
	s_waitcnt lgkmcnt(0)
	v_cmp_lt_i16_sdwa s[20:21], sext(v59), sext(v57) src0_sel:BYTE_0 src1_sel:BYTE_0
	v_cmp_lt_i32_e64 s[16:17], v55, v10
	s_or_b64 s[18:19], s[18:19], s[20:21]
	s_and_b64 s[16:17], s[16:17], s[18:19]
	v_mov_b32_e32 v55, v35
	v_cndmask_b32_e64 v54, v57, v59, s[16:17]
	s_barrier
	ds_write_b8 v1, v56
	ds_write_b8 v1, v54 offset:1
	s_waitcnt lgkmcnt(0)
	s_barrier
	s_and_saveexec_b64 s[18:19], s[4:5]
	s_cbranch_execz .LBB72_30
; %bb.27:                               ;   in Loop: Header=BB72_2 Depth=1
	s_mov_b64 s[20:21], 0
	v_mov_b32_e32 v55, v35
	v_mov_b32_e32 v54, v36
.LBB72_28:                              ;   Parent Loop BB72_2 Depth=1
                                        ; =>  This Inner Loop Header: Depth=2
	v_sub_u32_e32 v56, v54, v55
	v_lshrrev_b32_e32 v56, 1, v56
	v_add_u32_e32 v56, v56, v55
	v_add_u32_e32 v57, v11, v56
	v_xad_u32 v58, v56, -1, v37
	ds_read_i8 v57, v57
	ds_read_i8 v58, v58
	v_add_u32_e32 v59, 1, v56
	s_waitcnt lgkmcnt(0)
	v_cmp_lt_i16_e64 s[16:17], v58, v57
	v_cndmask_b32_e64 v54, v54, v56, s[16:17]
	v_cndmask_b32_e64 v55, v59, v55, s[16:17]
	v_cmp_ge_i32_e64 s[16:17], v55, v54
	s_or_b64 s[20:21], s[16:17], s[20:21]
	s_andn2_b64 exec, exec, s[20:21]
	s_cbranch_execnz .LBB72_28
; %bb.29:                               ;   in Loop: Header=BB72_2 Depth=1
	s_or_b64 exec, exec, s[20:21]
.LBB72_30:                              ;   in Loop: Header=BB72_2 Depth=1
	s_or_b64 exec, exec, s[18:19]
	v_add_u32_e32 v54, v55, v11
	v_sub_u32_e32 v55, v37, v55
	ds_read_u8 v56, v54
	ds_read_u8 v57, v55
	v_cmp_le_i32_e64 s[18:19], v12, v54
	v_cmp_gt_i32_e64 s[16:17], v13, v55
	s_waitcnt lgkmcnt(1)
	v_bfe_i32 v56, v56, 0, 8
	s_waitcnt lgkmcnt(0)
	v_bfe_i32 v58, v57, 0, 8
	v_cmp_lt_i16_e64 s[20:21], v58, v56
	s_or_b64 s[18:19], s[18:19], s[20:21]
	s_and_b64 s[16:17], s[16:17], s[18:19]
	s_xor_b64 s[18:19], s[16:17], -1
                                        ; implicit-def: $vgpr57
	s_and_saveexec_b64 s[20:21], s[18:19]
	s_xor_b64 s[18:19], exec, s[20:21]
; %bb.31:                               ;   in Loop: Header=BB72_2 Depth=1
	ds_read_u8 v57, v54 offset:1
; %bb.32:                               ;   in Loop: Header=BB72_2 Depth=1
	s_or_saveexec_b64 s[18:19], s[18:19]
	v_mov_b32_e32 v59, v58
	s_xor_b64 exec, exec, s[18:19]
	s_cbranch_execz .LBB72_34
; %bb.33:                               ;   in Loop: Header=BB72_2 Depth=1
	ds_read_u8 v59, v55 offset:1
	s_waitcnt lgkmcnt(1)
	v_mov_b32_e32 v57, v56
.LBB72_34:                              ;   in Loop: Header=BB72_2 Depth=1
	s_or_b64 exec, exec, s[18:19]
	v_add_u32_e32 v60, 1, v54
	v_cndmask_b32_e64 v56, v56, v58, s[16:17]
	v_add_u32_e32 v58, 1, v55
	v_cndmask_b32_e64 v54, v60, v54, s[16:17]
	v_cndmask_b32_e64 v55, v55, v58, s[16:17]
	v_cmp_ge_i32_e64 s[18:19], v54, v12
	s_waitcnt lgkmcnt(0)
	v_cmp_lt_i16_sdwa s[20:21], sext(v59), sext(v57) src0_sel:BYTE_0 src1_sel:BYTE_0
	v_cmp_lt_i32_e64 s[16:17], v55, v13
	s_or_b64 s[18:19], s[18:19], s[20:21]
	s_and_b64 s[16:17], s[16:17], s[18:19]
	v_mov_b32_e32 v55, v38
	v_cndmask_b32_e64 v54, v57, v59, s[16:17]
	s_barrier
	ds_write_b8 v1, v56
	ds_write_b8 v1, v54 offset:1
	s_waitcnt lgkmcnt(0)
	s_barrier
	s_and_saveexec_b64 s[18:19], s[6:7]
	s_cbranch_execz .LBB72_38
; %bb.35:                               ;   in Loop: Header=BB72_2 Depth=1
	s_mov_b64 s[20:21], 0
	v_mov_b32_e32 v55, v38
	v_mov_b32_e32 v54, v39
.LBB72_36:                              ;   Parent Loop BB72_2 Depth=1
                                        ; =>  This Inner Loop Header: Depth=2
	v_sub_u32_e32 v56, v54, v55
	v_lshrrev_b32_e32 v56, 1, v56
	v_add_u32_e32 v56, v56, v55
	v_add_u32_e32 v57, v14, v56
	v_xad_u32 v58, v56, -1, v40
	ds_read_i8 v57, v57
	ds_read_i8 v58, v58
	v_add_u32_e32 v59, 1, v56
	s_waitcnt lgkmcnt(0)
	v_cmp_lt_i16_e64 s[16:17], v58, v57
	v_cndmask_b32_e64 v54, v54, v56, s[16:17]
	v_cndmask_b32_e64 v55, v59, v55, s[16:17]
	v_cmp_ge_i32_e64 s[16:17], v55, v54
	s_or_b64 s[20:21], s[16:17], s[20:21]
	s_andn2_b64 exec, exec, s[20:21]
	s_cbranch_execnz .LBB72_36
; %bb.37:                               ;   in Loop: Header=BB72_2 Depth=1
	s_or_b64 exec, exec, s[20:21]
.LBB72_38:                              ;   in Loop: Header=BB72_2 Depth=1
	s_or_b64 exec, exec, s[18:19]
	v_add_u32_e32 v54, v55, v14
	v_sub_u32_e32 v55, v40, v55
	ds_read_u8 v56, v54
	ds_read_u8 v57, v55
	v_cmp_le_i32_e64 s[18:19], v15, v54
	v_cmp_gt_i32_e64 s[16:17], v16, v55
	s_waitcnt lgkmcnt(1)
	v_bfe_i32 v56, v56, 0, 8
	s_waitcnt lgkmcnt(0)
	v_bfe_i32 v58, v57, 0, 8
	v_cmp_lt_i16_e64 s[20:21], v58, v56
	s_or_b64 s[18:19], s[18:19], s[20:21]
	s_and_b64 s[16:17], s[16:17], s[18:19]
	s_xor_b64 s[18:19], s[16:17], -1
                                        ; implicit-def: $vgpr57
	s_and_saveexec_b64 s[20:21], s[18:19]
	s_xor_b64 s[18:19], exec, s[20:21]
; %bb.39:                               ;   in Loop: Header=BB72_2 Depth=1
	ds_read_u8 v57, v54 offset:1
; %bb.40:                               ;   in Loop: Header=BB72_2 Depth=1
	s_or_saveexec_b64 s[18:19], s[18:19]
	v_mov_b32_e32 v59, v58
	s_xor_b64 exec, exec, s[18:19]
	s_cbranch_execz .LBB72_42
; %bb.41:                               ;   in Loop: Header=BB72_2 Depth=1
	ds_read_u8 v59, v55 offset:1
	s_waitcnt lgkmcnt(1)
	v_mov_b32_e32 v57, v56
.LBB72_42:                              ;   in Loop: Header=BB72_2 Depth=1
	s_or_b64 exec, exec, s[18:19]
	v_add_u32_e32 v60, 1, v54
	v_cndmask_b32_e64 v56, v56, v58, s[16:17]
	v_add_u32_e32 v58, 1, v55
	v_cndmask_b32_e64 v54, v60, v54, s[16:17]
	v_cndmask_b32_e64 v55, v55, v58, s[16:17]
	v_cmp_ge_i32_e64 s[18:19], v54, v15
	s_waitcnt lgkmcnt(0)
	v_cmp_lt_i16_sdwa s[20:21], sext(v59), sext(v57) src0_sel:BYTE_0 src1_sel:BYTE_0
	v_cmp_lt_i32_e64 s[16:17], v55, v16
	s_or_b64 s[18:19], s[18:19], s[20:21]
	s_and_b64 s[16:17], s[16:17], s[18:19]
	v_mov_b32_e32 v55, v41
	v_cndmask_b32_e64 v54, v57, v59, s[16:17]
	s_barrier
	ds_write_b8 v1, v56
	ds_write_b8 v1, v54 offset:1
	s_waitcnt lgkmcnt(0)
	s_barrier
	s_and_saveexec_b64 s[18:19], s[8:9]
	s_cbranch_execz .LBB72_46
; %bb.43:                               ;   in Loop: Header=BB72_2 Depth=1
	s_mov_b64 s[20:21], 0
	v_mov_b32_e32 v55, v41
	v_mov_b32_e32 v54, v42
.LBB72_44:                              ;   Parent Loop BB72_2 Depth=1
                                        ; =>  This Inner Loop Header: Depth=2
	v_sub_u32_e32 v56, v54, v55
	v_lshrrev_b32_e32 v56, 1, v56
	v_add_u32_e32 v56, v56, v55
	v_add_u32_e32 v57, v17, v56
	v_xad_u32 v58, v56, -1, v43
	ds_read_i8 v57, v57
	ds_read_i8 v58, v58
	v_add_u32_e32 v59, 1, v56
	s_waitcnt lgkmcnt(0)
	v_cmp_lt_i16_e64 s[16:17], v58, v57
	v_cndmask_b32_e64 v54, v54, v56, s[16:17]
	v_cndmask_b32_e64 v55, v59, v55, s[16:17]
	v_cmp_ge_i32_e64 s[16:17], v55, v54
	s_or_b64 s[20:21], s[16:17], s[20:21]
	s_andn2_b64 exec, exec, s[20:21]
	s_cbranch_execnz .LBB72_44
; %bb.45:                               ;   in Loop: Header=BB72_2 Depth=1
	s_or_b64 exec, exec, s[20:21]
.LBB72_46:                              ;   in Loop: Header=BB72_2 Depth=1
	s_or_b64 exec, exec, s[18:19]
	v_add_u32_e32 v54, v55, v17
	v_sub_u32_e32 v55, v43, v55
	ds_read_u8 v56, v54
	ds_read_u8 v57, v55
	v_cmp_le_i32_e64 s[18:19], v18, v54
	v_cmp_gt_i32_e64 s[16:17], v19, v55
	s_waitcnt lgkmcnt(1)
	v_bfe_i32 v56, v56, 0, 8
	s_waitcnt lgkmcnt(0)
	v_bfe_i32 v58, v57, 0, 8
	v_cmp_lt_i16_e64 s[20:21], v58, v56
	s_or_b64 s[18:19], s[18:19], s[20:21]
	s_and_b64 s[16:17], s[16:17], s[18:19]
	s_xor_b64 s[18:19], s[16:17], -1
                                        ; implicit-def: $vgpr57
	s_and_saveexec_b64 s[20:21], s[18:19]
	s_xor_b64 s[18:19], exec, s[20:21]
; %bb.47:                               ;   in Loop: Header=BB72_2 Depth=1
	ds_read_u8 v57, v54 offset:1
; %bb.48:                               ;   in Loop: Header=BB72_2 Depth=1
	s_or_saveexec_b64 s[18:19], s[18:19]
	v_mov_b32_e32 v59, v58
	s_xor_b64 exec, exec, s[18:19]
	s_cbranch_execz .LBB72_50
; %bb.49:                               ;   in Loop: Header=BB72_2 Depth=1
	ds_read_u8 v59, v55 offset:1
	s_waitcnt lgkmcnt(1)
	v_mov_b32_e32 v57, v56
.LBB72_50:                              ;   in Loop: Header=BB72_2 Depth=1
	s_or_b64 exec, exec, s[18:19]
	v_add_u32_e32 v60, 1, v54
	v_cndmask_b32_e64 v56, v56, v58, s[16:17]
	v_add_u32_e32 v58, 1, v55
	v_cndmask_b32_e64 v54, v60, v54, s[16:17]
	v_cndmask_b32_e64 v55, v55, v58, s[16:17]
	v_cmp_ge_i32_e64 s[18:19], v54, v18
	s_waitcnt lgkmcnt(0)
	v_cmp_lt_i16_sdwa s[20:21], sext(v59), sext(v57) src0_sel:BYTE_0 src1_sel:BYTE_0
	v_cmp_lt_i32_e64 s[16:17], v55, v19
	s_or_b64 s[18:19], s[18:19], s[20:21]
	s_and_b64 s[16:17], s[16:17], s[18:19]
	v_mov_b32_e32 v55, v44
	v_cndmask_b32_e64 v54, v57, v59, s[16:17]
	s_barrier
	ds_write_b8 v1, v56
	ds_write_b8 v1, v54 offset:1
	s_waitcnt lgkmcnt(0)
	s_barrier
	s_and_saveexec_b64 s[18:19], s[10:11]
	s_cbranch_execz .LBB72_54
; %bb.51:                               ;   in Loop: Header=BB72_2 Depth=1
	s_mov_b64 s[20:21], 0
	v_mov_b32_e32 v55, v44
	v_mov_b32_e32 v54, v45
.LBB72_52:                              ;   Parent Loop BB72_2 Depth=1
                                        ; =>  This Inner Loop Header: Depth=2
	v_sub_u32_e32 v56, v54, v55
	v_lshrrev_b32_e32 v56, 1, v56
	v_add_u32_e32 v56, v56, v55
	v_add_u32_e32 v57, v20, v56
	v_xad_u32 v58, v56, -1, v46
	ds_read_i8 v57, v57
	ds_read_i8 v58, v58
	v_add_u32_e32 v59, 1, v56
	s_waitcnt lgkmcnt(0)
	v_cmp_lt_i16_e64 s[16:17], v58, v57
	v_cndmask_b32_e64 v54, v54, v56, s[16:17]
	v_cndmask_b32_e64 v55, v59, v55, s[16:17]
	v_cmp_ge_i32_e64 s[16:17], v55, v54
	s_or_b64 s[20:21], s[16:17], s[20:21]
	s_andn2_b64 exec, exec, s[20:21]
	s_cbranch_execnz .LBB72_52
; %bb.53:                               ;   in Loop: Header=BB72_2 Depth=1
	s_or_b64 exec, exec, s[20:21]
.LBB72_54:                              ;   in Loop: Header=BB72_2 Depth=1
	s_or_b64 exec, exec, s[18:19]
	v_add_u32_e32 v54, v55, v20
	v_sub_u32_e32 v55, v46, v55
	ds_read_u8 v56, v54
	ds_read_u8 v57, v55
	v_cmp_le_i32_e64 s[18:19], v21, v54
	v_cmp_gt_i32_e64 s[16:17], v22, v55
	s_waitcnt lgkmcnt(1)
	v_bfe_i32 v56, v56, 0, 8
	s_waitcnt lgkmcnt(0)
	v_bfe_i32 v58, v57, 0, 8
	v_cmp_lt_i16_e64 s[20:21], v58, v56
	s_or_b64 s[18:19], s[18:19], s[20:21]
	s_and_b64 s[16:17], s[16:17], s[18:19]
	s_xor_b64 s[18:19], s[16:17], -1
                                        ; implicit-def: $vgpr57
	s_and_saveexec_b64 s[20:21], s[18:19]
	s_xor_b64 s[18:19], exec, s[20:21]
; %bb.55:                               ;   in Loop: Header=BB72_2 Depth=1
	ds_read_u8 v57, v54 offset:1
; %bb.56:                               ;   in Loop: Header=BB72_2 Depth=1
	s_or_saveexec_b64 s[18:19], s[18:19]
	v_mov_b32_e32 v59, v58
	s_xor_b64 exec, exec, s[18:19]
	s_cbranch_execz .LBB72_58
; %bb.57:                               ;   in Loop: Header=BB72_2 Depth=1
	ds_read_u8 v59, v55 offset:1
	s_waitcnt lgkmcnt(1)
	v_mov_b32_e32 v57, v56
.LBB72_58:                              ;   in Loop: Header=BB72_2 Depth=1
	s_or_b64 exec, exec, s[18:19]
	v_add_u32_e32 v60, 1, v54
	v_cndmask_b32_e64 v56, v56, v58, s[16:17]
	v_add_u32_e32 v58, 1, v55
	v_cndmask_b32_e64 v54, v60, v54, s[16:17]
	v_cndmask_b32_e64 v55, v55, v58, s[16:17]
	v_cmp_ge_i32_e64 s[18:19], v54, v21
	s_waitcnt lgkmcnt(0)
	v_cmp_lt_i16_sdwa s[20:21], sext(v59), sext(v57) src0_sel:BYTE_0 src1_sel:BYTE_0
	v_cmp_lt_i32_e64 s[16:17], v55, v22
	s_or_b64 s[18:19], s[18:19], s[20:21]
	s_and_b64 s[16:17], s[16:17], s[18:19]
	v_mov_b32_e32 v55, v47
	v_cndmask_b32_e64 v54, v57, v59, s[16:17]
	s_barrier
	ds_write_b8 v1, v56
	ds_write_b8 v1, v54 offset:1
	s_waitcnt lgkmcnt(0)
	s_barrier
	s_and_saveexec_b64 s[18:19], s[12:13]
	s_cbranch_execz .LBB72_62
; %bb.59:                               ;   in Loop: Header=BB72_2 Depth=1
	s_mov_b64 s[20:21], 0
	v_mov_b32_e32 v55, v47
	v_mov_b32_e32 v54, v48
.LBB72_60:                              ;   Parent Loop BB72_2 Depth=1
                                        ; =>  This Inner Loop Header: Depth=2
	v_sub_u32_e32 v56, v54, v55
	v_lshrrev_b32_e32 v56, 1, v56
	v_add_u32_e32 v56, v56, v55
	v_add_u32_e32 v57, v23, v56
	v_xad_u32 v58, v56, -1, v49
	ds_read_i8 v57, v57
	ds_read_i8 v58, v58
	v_add_u32_e32 v59, 1, v56
	s_waitcnt lgkmcnt(0)
	v_cmp_lt_i16_e64 s[16:17], v58, v57
	v_cndmask_b32_e64 v54, v54, v56, s[16:17]
	v_cndmask_b32_e64 v55, v59, v55, s[16:17]
	v_cmp_ge_i32_e64 s[16:17], v55, v54
	s_or_b64 s[20:21], s[16:17], s[20:21]
	s_andn2_b64 exec, exec, s[20:21]
	s_cbranch_execnz .LBB72_60
; %bb.61:                               ;   in Loop: Header=BB72_2 Depth=1
	s_or_b64 exec, exec, s[20:21]
.LBB72_62:                              ;   in Loop: Header=BB72_2 Depth=1
	s_or_b64 exec, exec, s[18:19]
	v_add_u32_e32 v54, v55, v23
	v_sub_u32_e32 v55, v49, v55
	ds_read_u8 v56, v54
	ds_read_u8 v57, v55
	v_cmp_le_i32_e64 s[18:19], v24, v54
	v_cmp_gt_i32_e64 s[16:17], v25, v55
	s_waitcnt lgkmcnt(1)
	v_bfe_i32 v56, v56, 0, 8
	s_waitcnt lgkmcnt(0)
	v_bfe_i32 v58, v57, 0, 8
	v_cmp_lt_i16_e64 s[20:21], v58, v56
	s_or_b64 s[18:19], s[18:19], s[20:21]
	s_and_b64 s[16:17], s[16:17], s[18:19]
	s_xor_b64 s[18:19], s[16:17], -1
                                        ; implicit-def: $vgpr57
	s_and_saveexec_b64 s[20:21], s[18:19]
	s_xor_b64 s[18:19], exec, s[20:21]
; %bb.63:                               ;   in Loop: Header=BB72_2 Depth=1
	ds_read_u8 v57, v54 offset:1
; %bb.64:                               ;   in Loop: Header=BB72_2 Depth=1
	s_or_saveexec_b64 s[18:19], s[18:19]
	v_mov_b32_e32 v59, v58
	s_xor_b64 exec, exec, s[18:19]
	s_cbranch_execz .LBB72_66
; %bb.65:                               ;   in Loop: Header=BB72_2 Depth=1
	ds_read_u8 v59, v55 offset:1
	s_waitcnt lgkmcnt(1)
	v_mov_b32_e32 v57, v56
.LBB72_66:                              ;   in Loop: Header=BB72_2 Depth=1
	s_or_b64 exec, exec, s[18:19]
	v_add_u32_e32 v60, 1, v54
	v_cndmask_b32_e64 v56, v56, v58, s[16:17]
	v_add_u32_e32 v58, 1, v55
	v_cndmask_b32_e64 v54, v60, v54, s[16:17]
	v_cndmask_b32_e64 v55, v55, v58, s[16:17]
	v_cmp_ge_i32_e64 s[18:19], v54, v24
	s_waitcnt lgkmcnt(0)
	v_cmp_lt_i16_sdwa s[20:21], sext(v59), sext(v57) src0_sel:BYTE_0 src1_sel:BYTE_0
	v_cmp_lt_i32_e64 s[16:17], v55, v25
	s_or_b64 s[18:19], s[18:19], s[20:21]
	s_and_b64 s[16:17], s[16:17], s[18:19]
	v_cndmask_b32_e64 v54, v57, v59, s[16:17]
	s_barrier
	ds_write_b8 v1, v56
	ds_write_b8 v1, v54 offset:1
	v_mov_b32_e32 v54, v51
	s_waitcnt lgkmcnt(0)
	s_barrier
	s_and_saveexec_b64 s[18:19], s[14:15]
	s_cbranch_execz .LBB72_70
; %bb.67:                               ;   in Loop: Header=BB72_2 Depth=1
	s_mov_b64 s[20:21], 0
	v_mov_b32_e32 v54, v51
	v_mov_b32_e32 v55, v52
.LBB72_68:                              ;   Parent Loop BB72_2 Depth=1
                                        ; =>  This Inner Loop Header: Depth=2
	v_sub_u32_e32 v56, v55, v54
	v_lshrrev_b32_e32 v56, 1, v56
	v_add_u32_e32 v56, v56, v54
	v_xad_u32 v57, v56, -1, v53
	ds_read_i8 v58, v56
	ds_read_i8 v57, v57
	v_add_u32_e32 v59, 1, v56
	s_waitcnt lgkmcnt(0)
	v_cmp_lt_i16_e64 s[16:17], v57, v58
	v_cndmask_b32_e64 v55, v55, v56, s[16:17]
	v_cndmask_b32_e64 v54, v59, v54, s[16:17]
	v_cmp_ge_i32_e64 s[16:17], v54, v55
	s_or_b64 s[20:21], s[16:17], s[20:21]
	s_andn2_b64 exec, exec, s[20:21]
	s_cbranch_execnz .LBB72_68
; %bb.69:                               ;   in Loop: Header=BB72_2 Depth=1
	s_or_b64 exec, exec, s[20:21]
.LBB72_70:                              ;   in Loop: Header=BB72_2 Depth=1
	s_or_b64 exec, exec, s[18:19]
	v_sub_u32_e32 v55, v53, v54
	ds_read_u8 v56, v54
	ds_read_u8 v57, v55
	v_cmp_le_i32_e64 s[18:19], v50, v54
	v_cmp_gt_i32_e64 s[16:17], s27, v55
                                        ; implicit-def: $vgpr58
                                        ; implicit-def: $vgpr59
	s_waitcnt lgkmcnt(1)
	v_bfe_i32 v56, v56, 0, 8
	s_waitcnt lgkmcnt(0)
	v_bfe_i32 v57, v57, 0, 8
	v_cmp_lt_i16_e64 s[20:21], v57, v56
	s_or_b64 s[18:19], s[18:19], s[20:21]
	s_and_b64 s[16:17], s[16:17], s[18:19]
	s_xor_b64 s[18:19], s[16:17], -1
	s_and_saveexec_b64 s[20:21], s[18:19]
	s_xor_b64 s[18:19], exec, s[20:21]
; %bb.71:                               ;   in Loop: Header=BB72_2 Depth=1
	ds_read_u8 v58, v54 offset:1
	v_add_u32_e32 v59, 1, v54
                                        ; implicit-def: $vgpr54
; %bb.72:                               ;   in Loop: Header=BB72_2 Depth=1
	s_or_saveexec_b64 s[18:19], s[18:19]
	v_mov_b32_e32 v60, v57
	s_xor_b64 exec, exec, s[18:19]
	s_cbranch_execz .LBB72_1
; %bb.73:                               ;   in Loop: Header=BB72_2 Depth=1
	ds_read_u8 v60, v55 offset:1
	v_add_u32_e32 v55, 1, v55
	v_mov_b32_e32 v59, v54
	s_waitcnt lgkmcnt(1)
	v_mov_b32_e32 v58, v56
	s_branch .LBB72_1
.LBB72_74:
	s_add_u32 s0, s22, s24
	s_addc_u32 s1, s23, 0
	v_mov_b32_e32 v1, s1
	v_add_co_u32_e32 v0, vcc, s0, v0
	v_addc_co_u32_e32 v1, vcc, 0, v1, vcc
	global_store_byte v[0:1], v54, off
	global_store_byte v[0:1], v55, off offset:512
	s_endpgm
	.section	.rodata,"a",@progbits
	.p2align	6, 0x0
	.amdhsa_kernel _Z16sort_keys_kernelIaLj512ELj2EN10test_utils4lessELj10EEvPKT_PS2_T2_
		.amdhsa_group_segment_fixed_size 1025
		.amdhsa_private_segment_fixed_size 0
		.amdhsa_kernarg_size 20
		.amdhsa_user_sgpr_count 6
		.amdhsa_user_sgpr_private_segment_buffer 1
		.amdhsa_user_sgpr_dispatch_ptr 0
		.amdhsa_user_sgpr_queue_ptr 0
		.amdhsa_user_sgpr_kernarg_segment_ptr 1
		.amdhsa_user_sgpr_dispatch_id 0
		.amdhsa_user_sgpr_flat_scratch_init 0
		.amdhsa_user_sgpr_private_segment_size 0
		.amdhsa_uses_dynamic_stack 0
		.amdhsa_system_sgpr_private_segment_wavefront_offset 0
		.amdhsa_system_sgpr_workgroup_id_x 1
		.amdhsa_system_sgpr_workgroup_id_y 0
		.amdhsa_system_sgpr_workgroup_id_z 0
		.amdhsa_system_sgpr_workgroup_info 0
		.amdhsa_system_vgpr_workitem_id 0
		.amdhsa_next_free_vgpr 61
		.amdhsa_next_free_sgpr 28
		.amdhsa_reserve_vcc 1
		.amdhsa_reserve_flat_scratch 0
		.amdhsa_float_round_mode_32 0
		.amdhsa_float_round_mode_16_64 0
		.amdhsa_float_denorm_mode_32 3
		.amdhsa_float_denorm_mode_16_64 3
		.amdhsa_dx10_clamp 1
		.amdhsa_ieee_mode 1
		.amdhsa_fp16_overflow 0
		.amdhsa_exception_fp_ieee_invalid_op 0
		.amdhsa_exception_fp_denorm_src 0
		.amdhsa_exception_fp_ieee_div_zero 0
		.amdhsa_exception_fp_ieee_overflow 0
		.amdhsa_exception_fp_ieee_underflow 0
		.amdhsa_exception_fp_ieee_inexact 0
		.amdhsa_exception_int_div_zero 0
	.end_amdhsa_kernel
	.section	.text._Z16sort_keys_kernelIaLj512ELj2EN10test_utils4lessELj10EEvPKT_PS2_T2_,"axG",@progbits,_Z16sort_keys_kernelIaLj512ELj2EN10test_utils4lessELj10EEvPKT_PS2_T2_,comdat
.Lfunc_end72:
	.size	_Z16sort_keys_kernelIaLj512ELj2EN10test_utils4lessELj10EEvPKT_PS2_T2_, .Lfunc_end72-_Z16sort_keys_kernelIaLj512ELj2EN10test_utils4lessELj10EEvPKT_PS2_T2_
                                        ; -- End function
	.set _Z16sort_keys_kernelIaLj512ELj2EN10test_utils4lessELj10EEvPKT_PS2_T2_.num_vgpr, 61
	.set _Z16sort_keys_kernelIaLj512ELj2EN10test_utils4lessELj10EEvPKT_PS2_T2_.num_agpr, 0
	.set _Z16sort_keys_kernelIaLj512ELj2EN10test_utils4lessELj10EEvPKT_PS2_T2_.numbered_sgpr, 28
	.set _Z16sort_keys_kernelIaLj512ELj2EN10test_utils4lessELj10EEvPKT_PS2_T2_.num_named_barrier, 0
	.set _Z16sort_keys_kernelIaLj512ELj2EN10test_utils4lessELj10EEvPKT_PS2_T2_.private_seg_size, 0
	.set _Z16sort_keys_kernelIaLj512ELj2EN10test_utils4lessELj10EEvPKT_PS2_T2_.uses_vcc, 1
	.set _Z16sort_keys_kernelIaLj512ELj2EN10test_utils4lessELj10EEvPKT_PS2_T2_.uses_flat_scratch, 0
	.set _Z16sort_keys_kernelIaLj512ELj2EN10test_utils4lessELj10EEvPKT_PS2_T2_.has_dyn_sized_stack, 0
	.set _Z16sort_keys_kernelIaLj512ELj2EN10test_utils4lessELj10EEvPKT_PS2_T2_.has_recursion, 0
	.set _Z16sort_keys_kernelIaLj512ELj2EN10test_utils4lessELj10EEvPKT_PS2_T2_.has_indirect_call, 0
	.section	.AMDGPU.csdata,"",@progbits
; Kernel info:
; codeLenInByte = 3988
; TotalNumSgprs: 32
; NumVgprs: 61
; ScratchSize: 0
; MemoryBound: 0
; FloatMode: 240
; IeeeMode: 1
; LDSByteSize: 1025 bytes/workgroup (compile time only)
; SGPRBlocks: 3
; VGPRBlocks: 15
; NumSGPRsForWavesPerEU: 32
; NumVGPRsForWavesPerEU: 61
; Occupancy: 4
; WaveLimiterHint : 1
; COMPUTE_PGM_RSRC2:SCRATCH_EN: 0
; COMPUTE_PGM_RSRC2:USER_SGPR: 6
; COMPUTE_PGM_RSRC2:TRAP_HANDLER: 0
; COMPUTE_PGM_RSRC2:TGID_X_EN: 1
; COMPUTE_PGM_RSRC2:TGID_Y_EN: 0
; COMPUTE_PGM_RSRC2:TGID_Z_EN: 0
; COMPUTE_PGM_RSRC2:TIDIG_COMP_CNT: 0
	.section	.text._Z17sort_pairs_kernelIaLj512ELj2EN10test_utils4lessELj10EEvPKT_PS2_T2_,"axG",@progbits,_Z17sort_pairs_kernelIaLj512ELj2EN10test_utils4lessELj10EEvPKT_PS2_T2_,comdat
	.protected	_Z17sort_pairs_kernelIaLj512ELj2EN10test_utils4lessELj10EEvPKT_PS2_T2_ ; -- Begin function _Z17sort_pairs_kernelIaLj512ELj2EN10test_utils4lessELj10EEvPKT_PS2_T2_
	.globl	_Z17sort_pairs_kernelIaLj512ELj2EN10test_utils4lessELj10EEvPKT_PS2_T2_
	.p2align	8
	.type	_Z17sort_pairs_kernelIaLj512ELj2EN10test_utils4lessELj10EEvPKT_PS2_T2_,@function
_Z17sort_pairs_kernelIaLj512ELj2EN10test_utils4lessELj10EEvPKT_PS2_T2_: ; @_Z17sort_pairs_kernelIaLj512ELj2EN10test_utils4lessELj10EEvPKT_PS2_T2_
; %bb.0:
	s_load_dwordx4 s[24:27], s[4:5], 0x0
	s_lshl_b32 s28, s6, 10
	v_lshlrev_b32_e32 v1, 1, v0
	v_and_b32_e32 v2, 0x3fc, v1
	v_and_b32_e32 v5, 0x3f8, v1
	s_waitcnt lgkmcnt(0)
	s_add_u32 s0, s24, s28
	s_addc_u32 s1, s25, 0
	global_load_ubyte v57, v0, s[0:1]
	global_load_ubyte v56, v0, s[0:1] offset:512
	v_and_b32_e32 v8, 0x3f0, v1
	v_and_b32_e32 v11, 0x3e0, v1
	v_and_b32_e32 v14, 0x3c0, v1
	v_and_b32_e32 v17, 0x380, v1
	v_and_b32_e32 v20, 0x300, v1
	v_and_b32_e32 v23, 0x200, v1
	v_or_b32_e32 v3, 2, v2
	v_add_u32_e32 v4, 4, v2
	v_or_b32_e32 v6, 4, v5
	v_add_u32_e32 v7, 8, v5
	v_or_b32_e32 v9, 8, v8
	v_add_u32_e32 v10, 16, v8
	v_or_b32_e32 v12, 16, v11
	v_add_u32_e32 v13, 32, v11
	v_or_b32_e32 v15, 32, v14
	v_add_u32_e32 v16, 64, v14
	v_or_b32_e32 v18, 64, v17
	v_add_u32_e32 v19, 0x80, v17
	v_or_b32_e32 v21, 0x80, v20
	v_add_u32_e32 v22, 0x100, v20
	v_or_b32_e32 v24, 0x100, v23
	v_add_u32_e32 v25, 0x200, v23
	v_and_b32_e32 v28, 2, v1
	v_sub_u32_e32 v26, v4, v3
	v_and_b32_e32 v31, 6, v1
	v_sub_u32_e32 v29, v7, v6
	v_and_b32_e32 v34, 14, v1
	v_sub_u32_e32 v32, v10, v9
	v_and_b32_e32 v37, 30, v1
	v_sub_u32_e32 v35, v13, v12
	v_and_b32_e32 v40, 62, v1
	v_sub_u32_e32 v38, v16, v15
	v_and_b32_e32 v43, 0x7e, v1
	v_sub_u32_e32 v41, v19, v18
	v_and_b32_e32 v46, 0xfe, v1
	v_sub_u32_e32 v44, v22, v21
	v_and_b32_e32 v49, 0x1fe, v1
	v_sub_u32_e32 v47, v25, v24
	v_sub_u32_e32 v27, v28, v26
	v_sub_u32_e32 v30, v31, v29
	;; [unrolled: 1-line block ×8, first 2 shown]
	v_cmp_ge_i32_e32 vcc, v28, v26
	v_cmp_ge_i32_e64 s[0:1], v31, v29
	v_cmp_ge_i32_e64 s[2:3], v34, v32
	;; [unrolled: 1-line block ×7, first 2 shown]
	v_cndmask_b32_e32 v26, 0, v27, vcc
	v_sub_u32_e32 v27, v3, v2
	v_cndmask_b32_e64 v29, 0, v30, s[0:1]
	v_sub_u32_e32 v30, v6, v5
	v_cndmask_b32_e64 v32, 0, v33, s[2:3]
	;; [unrolled: 2-line block ×7, first 2 shown]
	v_sub_u32_e32 v48, v24, v23
	v_mov_b32_e32 v50, 0x200
	v_min_i32_e32 v27, v28, v27
	v_min_i32_e32 v30, v31, v30
	;; [unrolled: 1-line block ×8, first 2 shown]
	v_sub_u32_e64 v51, v1, v50 clamp
	v_min_i32_e32 v52, 0x200, v1
	s_mov_b32 s24, 0
	v_cmp_lt_i32_e32 vcc, v26, v27
	v_add_u32_e32 v28, v3, v28
	v_cmp_lt_i32_e64 s[0:1], v29, v30
	v_add_u32_e32 v31, v6, v31
	v_cmp_lt_i32_e64 s[2:3], v32, v33
	v_add_u32_e32 v34, v9, v34
	v_cmp_lt_i32_e64 s[4:5], v35, v36
	v_add_u32_e32 v37, v12, v37
	v_cmp_lt_i32_e64 s[6:7], v38, v39
	v_add_u32_e32 v40, v15, v40
	v_cmp_lt_i32_e64 s[8:9], v41, v42
	v_add_u32_e32 v43, v18, v43
	v_cmp_lt_i32_e64 s[10:11], v44, v45
	v_add_u32_e32 v46, v21, v46
	v_cmp_lt_i32_e64 s[12:13], v47, v48
	v_add_u32_e32 v49, v24, v49
	v_cmp_lt_i32_e64 s[14:15], v51, v52
	s_mov_b32 s25, 0xc0c0004
	s_movk_i32 s29, 0x400
	s_waitcnt vmcnt(1)
	v_add_u16_e32 v54, 1, v57
	s_waitcnt vmcnt(0)
	v_add_u16_e32 v55, 1, v56
	v_add_u32_e32 v53, 0x200, v1
	s_branch .LBB73_2
.LBB73_1:                               ;   in Loop: Header=BB73_2 Depth=1
	s_or_b64 exec, exec, s[18:19]
	v_cmp_ge_i32_e64 s[20:21], v60, v50
	s_waitcnt lgkmcnt(0)
	v_cmp_lt_i16_sdwa s[22:23], sext(v63), sext(v61) src0_sel:BYTE_0 src1_sel:BYTE_0
	v_cmp_gt_i32_e64 s[18:19], s29, v59
	s_or_b64 s[20:21], s[20:21], s[22:23]
	s_and_b64 s[18:19], s[18:19], s[20:21]
	v_cndmask_b32_e64 v59, v60, v59, s[18:19]
	s_barrier
	ds_write_b8 v1, v54
	ds_write_b8 v1, v55 offset:1
	s_waitcnt lgkmcnt(0)
	s_barrier
	ds_read_u8 v54, v62
	ds_read_u8 v55, v59
	s_add_i32 s24, s24, 1
	v_cndmask_b32_e64 v56, v61, v63, s[18:19]
	s_cmp_eq_u32 s24, 10
	v_cndmask_b32_e64 v57, v57, v58, s[16:17]
	s_cbranch_scc1 .LBB73_74
.LBB73_2:                               ; =>This Loop Header: Depth=1
                                        ;     Child Loop BB73_4 Depth 2
                                        ;     Child Loop BB73_12 Depth 2
	;; [unrolled: 1-line block ×9, first 2 shown]
	v_perm_b32 v58, v56, v57, s25
	v_perm_b32 v59, v57, v56, s25
	v_cmp_lt_i16_sdwa s[16:17], sext(v56), sext(v57) src0_sel:BYTE_0 src1_sel:BYTE_0
	v_cndmask_b32_e64 v56, v59, v58, s[16:17]
	s_waitcnt lgkmcnt(0)
	s_barrier
	ds_write_b8 v1, v56
	v_lshrrev_b16_e32 v56, 8, v56
	v_mov_b32_e32 v57, v26
	ds_write_b8 v1, v56 offset:1
	s_waitcnt lgkmcnt(0)
	s_barrier
	s_and_saveexec_b64 s[20:21], vcc
	s_cbranch_execz .LBB73_6
; %bb.3:                                ;   in Loop: Header=BB73_2 Depth=1
	s_mov_b64 s[22:23], 0
	v_mov_b32_e32 v57, v26
	v_mov_b32_e32 v56, v27
.LBB73_4:                               ;   Parent Loop BB73_2 Depth=1
                                        ; =>  This Inner Loop Header: Depth=2
	v_sub_u32_e32 v58, v56, v57
	v_lshrrev_b32_e32 v58, 1, v58
	v_add_u32_e32 v58, v58, v57
	v_add_u32_e32 v59, v2, v58
	v_xad_u32 v60, v58, -1, v28
	ds_read_i8 v59, v59
	ds_read_i8 v60, v60
	v_add_u32_e32 v61, 1, v58
	s_waitcnt lgkmcnt(0)
	v_cmp_lt_i16_e64 s[18:19], v60, v59
	v_cndmask_b32_e64 v56, v56, v58, s[18:19]
	v_cndmask_b32_e64 v57, v61, v57, s[18:19]
	v_cmp_ge_i32_e64 s[18:19], v57, v56
	s_or_b64 s[22:23], s[18:19], s[22:23]
	s_andn2_b64 exec, exec, s[22:23]
	s_cbranch_execnz .LBB73_4
; %bb.5:                                ;   in Loop: Header=BB73_2 Depth=1
	s_or_b64 exec, exec, s[22:23]
.LBB73_6:                               ;   in Loop: Header=BB73_2 Depth=1
	s_or_b64 exec, exec, s[20:21]
	v_add_u32_e32 v56, v57, v2
	v_sub_u32_e32 v57, v28, v57
	ds_read_u8 v58, v56
	ds_read_u8 v60, v57
	v_cmp_le_i32_e64 s[20:21], v3, v56
	v_cmp_gt_i32_e64 s[18:19], v4, v57
	s_waitcnt lgkmcnt(1)
	v_bfe_i32 v59, v58, 0, 8
	s_waitcnt lgkmcnt(0)
	v_bfe_i32 v60, v60, 0, 8
	v_cmp_lt_i16_e64 s[22:23], v60, v59
	s_or_b64 s[20:21], s[20:21], s[22:23]
	s_and_b64 s[18:19], s[18:19], s[20:21]
	s_xor_b64 s[20:21], s[18:19], -1
                                        ; implicit-def: $vgpr58
	s_and_saveexec_b64 s[22:23], s[20:21]
	s_xor_b64 s[20:21], exec, s[22:23]
; %bb.7:                                ;   in Loop: Header=BB73_2 Depth=1
	ds_read_u8 v58, v56 offset:1
; %bb.8:                                ;   in Loop: Header=BB73_2 Depth=1
	s_or_saveexec_b64 s[20:21], s[20:21]
	v_mov_b32_e32 v61, v60
	s_xor_b64 exec, exec, s[20:21]
	s_cbranch_execz .LBB73_10
; %bb.9:                                ;   in Loop: Header=BB73_2 Depth=1
	ds_read_u8 v61, v57 offset:1
	s_waitcnt lgkmcnt(1)
	v_mov_b32_e32 v58, v59
.LBB73_10:                              ;   in Loop: Header=BB73_2 Depth=1
	s_or_b64 exec, exec, s[20:21]
	v_add_u32_e32 v62, 1, v56
	v_cndmask_b32_e64 v59, v59, v60, s[18:19]
	v_add_u32_e32 v60, 1, v57
	v_cndmask_b32_e64 v62, v62, v56, s[18:19]
	v_cndmask_b32_e64 v60, v57, v60, s[18:19]
	;; [unrolled: 1-line block ×3, first 2 shown]
	v_perm_b32 v57, v55, v54, s25
	v_perm_b32 v54, v54, v55, s25
	v_cmp_ge_i32_e64 s[18:19], v62, v3
	s_waitcnt lgkmcnt(0)
	v_cmp_lt_i16_sdwa s[20:21], sext(v61), sext(v58) src0_sel:BYTE_0 src1_sel:BYTE_0
	v_cndmask_b32_e64 v54, v54, v57, s[16:17]
	v_cmp_lt_i32_e64 s[16:17], v60, v4
	s_or_b64 s[18:19], s[18:19], s[20:21]
	s_and_b64 s[16:17], s[16:17], s[18:19]
	v_cndmask_b32_e64 v55, v62, v60, s[16:17]
	s_barrier
	ds_write_b8 v1, v54
	v_lshrrev_b16_e32 v54, 8, v54
	ds_write_b8 v1, v54 offset:1
	s_waitcnt lgkmcnt(0)
	s_barrier
	ds_read_u8 v54, v56
	ds_read_u8 v55, v55
	v_cndmask_b32_e64 v57, v58, v61, s[16:17]
	s_waitcnt lgkmcnt(0)
	s_barrier
	ds_write_b8 v1, v59
	ds_write_b8 v1, v57 offset:1
	v_mov_b32_e32 v57, v29
	s_waitcnt lgkmcnt(0)
	s_barrier
	s_and_saveexec_b64 s[18:19], s[0:1]
	s_cbranch_execz .LBB73_14
; %bb.11:                               ;   in Loop: Header=BB73_2 Depth=1
	s_mov_b64 s[20:21], 0
	v_mov_b32_e32 v57, v29
	v_mov_b32_e32 v56, v30
.LBB73_12:                              ;   Parent Loop BB73_2 Depth=1
                                        ; =>  This Inner Loop Header: Depth=2
	v_sub_u32_e32 v58, v56, v57
	v_lshrrev_b32_e32 v58, 1, v58
	v_add_u32_e32 v58, v58, v57
	v_add_u32_e32 v59, v5, v58
	v_xad_u32 v60, v58, -1, v31
	ds_read_i8 v59, v59
	ds_read_i8 v60, v60
	v_add_u32_e32 v61, 1, v58
	s_waitcnt lgkmcnt(0)
	v_cmp_lt_i16_e64 s[16:17], v60, v59
	v_cndmask_b32_e64 v56, v56, v58, s[16:17]
	v_cndmask_b32_e64 v57, v61, v57, s[16:17]
	v_cmp_ge_i32_e64 s[16:17], v57, v56
	s_or_b64 s[20:21], s[16:17], s[20:21]
	s_andn2_b64 exec, exec, s[20:21]
	s_cbranch_execnz .LBB73_12
; %bb.13:                               ;   in Loop: Header=BB73_2 Depth=1
	s_or_b64 exec, exec, s[20:21]
.LBB73_14:                              ;   in Loop: Header=BB73_2 Depth=1
	s_or_b64 exec, exec, s[18:19]
	v_add_u32_e32 v56, v57, v5
	v_sub_u32_e32 v57, v31, v57
	ds_read_u8 v58, v56
	ds_read_u8 v60, v57
	v_cmp_le_i32_e64 s[18:19], v6, v56
	v_cmp_gt_i32_e64 s[16:17], v7, v57
	s_waitcnt lgkmcnt(1)
	v_bfe_i32 v59, v58, 0, 8
	s_waitcnt lgkmcnt(0)
	v_bfe_i32 v60, v60, 0, 8
	v_cmp_lt_i16_e64 s[20:21], v60, v59
	s_or_b64 s[18:19], s[18:19], s[20:21]
	s_and_b64 s[16:17], s[16:17], s[18:19]
	s_xor_b64 s[18:19], s[16:17], -1
                                        ; implicit-def: $vgpr58
	s_and_saveexec_b64 s[20:21], s[18:19]
	s_xor_b64 s[18:19], exec, s[20:21]
; %bb.15:                               ;   in Loop: Header=BB73_2 Depth=1
	ds_read_u8 v58, v56 offset:1
; %bb.16:                               ;   in Loop: Header=BB73_2 Depth=1
	s_or_saveexec_b64 s[18:19], s[18:19]
	v_mov_b32_e32 v61, v60
	s_xor_b64 exec, exec, s[18:19]
	s_cbranch_execz .LBB73_18
; %bb.17:                               ;   in Loop: Header=BB73_2 Depth=1
	ds_read_u8 v61, v57 offset:1
	s_waitcnt lgkmcnt(1)
	v_mov_b32_e32 v58, v59
.LBB73_18:                              ;   in Loop: Header=BB73_2 Depth=1
	s_or_b64 exec, exec, s[18:19]
	v_add_u32_e32 v62, 1, v56
	v_cndmask_b32_e64 v59, v59, v60, s[16:17]
	v_add_u32_e32 v60, 1, v57
	v_cndmask_b32_e64 v62, v62, v56, s[16:17]
	v_cndmask_b32_e64 v60, v57, v60, s[16:17]
	v_cmp_ge_i32_e64 s[18:19], v62, v6
	s_waitcnt lgkmcnt(0)
	v_cmp_lt_i16_sdwa s[20:21], sext(v61), sext(v58) src0_sel:BYTE_0 src1_sel:BYTE_0
	v_cndmask_b32_e64 v56, v56, v57, s[16:17]
	v_cmp_lt_i32_e64 s[16:17], v60, v7
	s_or_b64 s[18:19], s[18:19], s[20:21]
	s_and_b64 s[16:17], s[16:17], s[18:19]
	v_cndmask_b32_e64 v57, v58, v61, s[16:17]
	v_cndmask_b32_e64 v58, v62, v60, s[16:17]
	s_barrier
	ds_write_b8 v1, v54
	ds_write_b8 v1, v55 offset:1
	s_waitcnt lgkmcnt(0)
	s_barrier
	ds_read_u8 v54, v56
	ds_read_u8 v55, v58
	s_waitcnt lgkmcnt(0)
	s_barrier
	ds_write_b8 v1, v59
	ds_write_b8 v1, v57 offset:1
	v_mov_b32_e32 v57, v32
	s_waitcnt lgkmcnt(0)
	s_barrier
	s_and_saveexec_b64 s[18:19], s[2:3]
	s_cbranch_execz .LBB73_22
; %bb.19:                               ;   in Loop: Header=BB73_2 Depth=1
	s_mov_b64 s[20:21], 0
	v_mov_b32_e32 v57, v32
	v_mov_b32_e32 v56, v33
.LBB73_20:                              ;   Parent Loop BB73_2 Depth=1
                                        ; =>  This Inner Loop Header: Depth=2
	v_sub_u32_e32 v58, v56, v57
	v_lshrrev_b32_e32 v58, 1, v58
	v_add_u32_e32 v58, v58, v57
	v_add_u32_e32 v59, v8, v58
	v_xad_u32 v60, v58, -1, v34
	ds_read_i8 v59, v59
	ds_read_i8 v60, v60
	v_add_u32_e32 v61, 1, v58
	s_waitcnt lgkmcnt(0)
	v_cmp_lt_i16_e64 s[16:17], v60, v59
	v_cndmask_b32_e64 v56, v56, v58, s[16:17]
	v_cndmask_b32_e64 v57, v61, v57, s[16:17]
	v_cmp_ge_i32_e64 s[16:17], v57, v56
	s_or_b64 s[20:21], s[16:17], s[20:21]
	s_andn2_b64 exec, exec, s[20:21]
	s_cbranch_execnz .LBB73_20
; %bb.21:                               ;   in Loop: Header=BB73_2 Depth=1
	s_or_b64 exec, exec, s[20:21]
.LBB73_22:                              ;   in Loop: Header=BB73_2 Depth=1
	s_or_b64 exec, exec, s[18:19]
	v_add_u32_e32 v56, v57, v8
	v_sub_u32_e32 v57, v34, v57
	ds_read_u8 v58, v56
	ds_read_u8 v60, v57
	v_cmp_le_i32_e64 s[18:19], v9, v56
	v_cmp_gt_i32_e64 s[16:17], v10, v57
	s_waitcnt lgkmcnt(1)
	v_bfe_i32 v59, v58, 0, 8
	s_waitcnt lgkmcnt(0)
	v_bfe_i32 v60, v60, 0, 8
	v_cmp_lt_i16_e64 s[20:21], v60, v59
	s_or_b64 s[18:19], s[18:19], s[20:21]
	s_and_b64 s[16:17], s[16:17], s[18:19]
	s_xor_b64 s[18:19], s[16:17], -1
                                        ; implicit-def: $vgpr58
	s_and_saveexec_b64 s[20:21], s[18:19]
	s_xor_b64 s[18:19], exec, s[20:21]
; %bb.23:                               ;   in Loop: Header=BB73_2 Depth=1
	ds_read_u8 v58, v56 offset:1
; %bb.24:                               ;   in Loop: Header=BB73_2 Depth=1
	s_or_saveexec_b64 s[18:19], s[18:19]
	v_mov_b32_e32 v61, v60
	s_xor_b64 exec, exec, s[18:19]
	s_cbranch_execz .LBB73_26
; %bb.25:                               ;   in Loop: Header=BB73_2 Depth=1
	ds_read_u8 v61, v57 offset:1
	s_waitcnt lgkmcnt(1)
	v_mov_b32_e32 v58, v59
.LBB73_26:                              ;   in Loop: Header=BB73_2 Depth=1
	s_or_b64 exec, exec, s[18:19]
	v_add_u32_e32 v62, 1, v56
	v_cndmask_b32_e64 v59, v59, v60, s[16:17]
	v_add_u32_e32 v60, 1, v57
	v_cndmask_b32_e64 v62, v62, v56, s[16:17]
	v_cndmask_b32_e64 v60, v57, v60, s[16:17]
	v_cmp_ge_i32_e64 s[18:19], v62, v9
	s_waitcnt lgkmcnt(0)
	v_cmp_lt_i16_sdwa s[20:21], sext(v61), sext(v58) src0_sel:BYTE_0 src1_sel:BYTE_0
	v_cndmask_b32_e64 v56, v56, v57, s[16:17]
	v_cmp_lt_i32_e64 s[16:17], v60, v10
	s_or_b64 s[18:19], s[18:19], s[20:21]
	s_and_b64 s[16:17], s[16:17], s[18:19]
	v_cndmask_b32_e64 v57, v58, v61, s[16:17]
	v_cndmask_b32_e64 v58, v62, v60, s[16:17]
	s_barrier
	ds_write_b8 v1, v54
	ds_write_b8 v1, v55 offset:1
	s_waitcnt lgkmcnt(0)
	s_barrier
	ds_read_u8 v54, v56
	ds_read_u8 v55, v58
	s_waitcnt lgkmcnt(0)
	s_barrier
	ds_write_b8 v1, v59
	ds_write_b8 v1, v57 offset:1
	v_mov_b32_e32 v57, v35
	s_waitcnt lgkmcnt(0)
	s_barrier
	s_and_saveexec_b64 s[18:19], s[4:5]
	s_cbranch_execz .LBB73_30
; %bb.27:                               ;   in Loop: Header=BB73_2 Depth=1
	s_mov_b64 s[20:21], 0
	v_mov_b32_e32 v57, v35
	v_mov_b32_e32 v56, v36
.LBB73_28:                              ;   Parent Loop BB73_2 Depth=1
                                        ; =>  This Inner Loop Header: Depth=2
	v_sub_u32_e32 v58, v56, v57
	v_lshrrev_b32_e32 v58, 1, v58
	v_add_u32_e32 v58, v58, v57
	v_add_u32_e32 v59, v11, v58
	v_xad_u32 v60, v58, -1, v37
	ds_read_i8 v59, v59
	ds_read_i8 v60, v60
	v_add_u32_e32 v61, 1, v58
	s_waitcnt lgkmcnt(0)
	v_cmp_lt_i16_e64 s[16:17], v60, v59
	v_cndmask_b32_e64 v56, v56, v58, s[16:17]
	v_cndmask_b32_e64 v57, v61, v57, s[16:17]
	v_cmp_ge_i32_e64 s[16:17], v57, v56
	s_or_b64 s[20:21], s[16:17], s[20:21]
	s_andn2_b64 exec, exec, s[20:21]
	s_cbranch_execnz .LBB73_28
; %bb.29:                               ;   in Loop: Header=BB73_2 Depth=1
	s_or_b64 exec, exec, s[20:21]
.LBB73_30:                              ;   in Loop: Header=BB73_2 Depth=1
	s_or_b64 exec, exec, s[18:19]
	v_add_u32_e32 v56, v57, v11
	v_sub_u32_e32 v57, v37, v57
	ds_read_u8 v58, v56
	ds_read_u8 v60, v57
	v_cmp_le_i32_e64 s[18:19], v12, v56
	v_cmp_gt_i32_e64 s[16:17], v13, v57
	s_waitcnt lgkmcnt(1)
	v_bfe_i32 v59, v58, 0, 8
	s_waitcnt lgkmcnt(0)
	v_bfe_i32 v60, v60, 0, 8
	v_cmp_lt_i16_e64 s[20:21], v60, v59
	s_or_b64 s[18:19], s[18:19], s[20:21]
	s_and_b64 s[16:17], s[16:17], s[18:19]
	s_xor_b64 s[18:19], s[16:17], -1
                                        ; implicit-def: $vgpr58
	s_and_saveexec_b64 s[20:21], s[18:19]
	s_xor_b64 s[18:19], exec, s[20:21]
; %bb.31:                               ;   in Loop: Header=BB73_2 Depth=1
	ds_read_u8 v58, v56 offset:1
; %bb.32:                               ;   in Loop: Header=BB73_2 Depth=1
	s_or_saveexec_b64 s[18:19], s[18:19]
	v_mov_b32_e32 v61, v60
	s_xor_b64 exec, exec, s[18:19]
	s_cbranch_execz .LBB73_34
; %bb.33:                               ;   in Loop: Header=BB73_2 Depth=1
	ds_read_u8 v61, v57 offset:1
	s_waitcnt lgkmcnt(1)
	v_mov_b32_e32 v58, v59
.LBB73_34:                              ;   in Loop: Header=BB73_2 Depth=1
	s_or_b64 exec, exec, s[18:19]
	v_add_u32_e32 v62, 1, v56
	v_cndmask_b32_e64 v59, v59, v60, s[16:17]
	v_add_u32_e32 v60, 1, v57
	v_cndmask_b32_e64 v62, v62, v56, s[16:17]
	v_cndmask_b32_e64 v60, v57, v60, s[16:17]
	v_cmp_ge_i32_e64 s[18:19], v62, v12
	s_waitcnt lgkmcnt(0)
	v_cmp_lt_i16_sdwa s[20:21], sext(v61), sext(v58) src0_sel:BYTE_0 src1_sel:BYTE_0
	v_cndmask_b32_e64 v56, v56, v57, s[16:17]
	v_cmp_lt_i32_e64 s[16:17], v60, v13
	s_or_b64 s[18:19], s[18:19], s[20:21]
	s_and_b64 s[16:17], s[16:17], s[18:19]
	v_cndmask_b32_e64 v57, v58, v61, s[16:17]
	v_cndmask_b32_e64 v58, v62, v60, s[16:17]
	s_barrier
	ds_write_b8 v1, v54
	ds_write_b8 v1, v55 offset:1
	s_waitcnt lgkmcnt(0)
	s_barrier
	ds_read_u8 v54, v56
	ds_read_u8 v55, v58
	s_waitcnt lgkmcnt(0)
	s_barrier
	ds_write_b8 v1, v59
	ds_write_b8 v1, v57 offset:1
	v_mov_b32_e32 v57, v38
	s_waitcnt lgkmcnt(0)
	s_barrier
	s_and_saveexec_b64 s[18:19], s[6:7]
	s_cbranch_execz .LBB73_38
; %bb.35:                               ;   in Loop: Header=BB73_2 Depth=1
	s_mov_b64 s[20:21], 0
	v_mov_b32_e32 v57, v38
	v_mov_b32_e32 v56, v39
.LBB73_36:                              ;   Parent Loop BB73_2 Depth=1
                                        ; =>  This Inner Loop Header: Depth=2
	v_sub_u32_e32 v58, v56, v57
	v_lshrrev_b32_e32 v58, 1, v58
	v_add_u32_e32 v58, v58, v57
	v_add_u32_e32 v59, v14, v58
	v_xad_u32 v60, v58, -1, v40
	ds_read_i8 v59, v59
	ds_read_i8 v60, v60
	v_add_u32_e32 v61, 1, v58
	s_waitcnt lgkmcnt(0)
	v_cmp_lt_i16_e64 s[16:17], v60, v59
	v_cndmask_b32_e64 v56, v56, v58, s[16:17]
	v_cndmask_b32_e64 v57, v61, v57, s[16:17]
	v_cmp_ge_i32_e64 s[16:17], v57, v56
	s_or_b64 s[20:21], s[16:17], s[20:21]
	s_andn2_b64 exec, exec, s[20:21]
	s_cbranch_execnz .LBB73_36
; %bb.37:                               ;   in Loop: Header=BB73_2 Depth=1
	s_or_b64 exec, exec, s[20:21]
.LBB73_38:                              ;   in Loop: Header=BB73_2 Depth=1
	s_or_b64 exec, exec, s[18:19]
	v_add_u32_e32 v56, v57, v14
	v_sub_u32_e32 v57, v40, v57
	ds_read_u8 v58, v56
	ds_read_u8 v60, v57
	v_cmp_le_i32_e64 s[18:19], v15, v56
	v_cmp_gt_i32_e64 s[16:17], v16, v57
	s_waitcnt lgkmcnt(1)
	v_bfe_i32 v59, v58, 0, 8
	s_waitcnt lgkmcnt(0)
	v_bfe_i32 v60, v60, 0, 8
	v_cmp_lt_i16_e64 s[20:21], v60, v59
	s_or_b64 s[18:19], s[18:19], s[20:21]
	s_and_b64 s[16:17], s[16:17], s[18:19]
	s_xor_b64 s[18:19], s[16:17], -1
                                        ; implicit-def: $vgpr58
	s_and_saveexec_b64 s[20:21], s[18:19]
	s_xor_b64 s[18:19], exec, s[20:21]
; %bb.39:                               ;   in Loop: Header=BB73_2 Depth=1
	ds_read_u8 v58, v56 offset:1
; %bb.40:                               ;   in Loop: Header=BB73_2 Depth=1
	s_or_saveexec_b64 s[18:19], s[18:19]
	v_mov_b32_e32 v61, v60
	s_xor_b64 exec, exec, s[18:19]
	s_cbranch_execz .LBB73_42
; %bb.41:                               ;   in Loop: Header=BB73_2 Depth=1
	ds_read_u8 v61, v57 offset:1
	s_waitcnt lgkmcnt(1)
	v_mov_b32_e32 v58, v59
.LBB73_42:                              ;   in Loop: Header=BB73_2 Depth=1
	s_or_b64 exec, exec, s[18:19]
	v_add_u32_e32 v62, 1, v56
	v_cndmask_b32_e64 v59, v59, v60, s[16:17]
	v_add_u32_e32 v60, 1, v57
	v_cndmask_b32_e64 v62, v62, v56, s[16:17]
	v_cndmask_b32_e64 v60, v57, v60, s[16:17]
	v_cmp_ge_i32_e64 s[18:19], v62, v15
	s_waitcnt lgkmcnt(0)
	v_cmp_lt_i16_sdwa s[20:21], sext(v61), sext(v58) src0_sel:BYTE_0 src1_sel:BYTE_0
	v_cndmask_b32_e64 v56, v56, v57, s[16:17]
	v_cmp_lt_i32_e64 s[16:17], v60, v16
	s_or_b64 s[18:19], s[18:19], s[20:21]
	s_and_b64 s[16:17], s[16:17], s[18:19]
	v_cndmask_b32_e64 v57, v58, v61, s[16:17]
	v_cndmask_b32_e64 v58, v62, v60, s[16:17]
	s_barrier
	ds_write_b8 v1, v54
	ds_write_b8 v1, v55 offset:1
	s_waitcnt lgkmcnt(0)
	s_barrier
	ds_read_u8 v54, v56
	ds_read_u8 v55, v58
	s_waitcnt lgkmcnt(0)
	s_barrier
	ds_write_b8 v1, v59
	ds_write_b8 v1, v57 offset:1
	v_mov_b32_e32 v57, v41
	s_waitcnt lgkmcnt(0)
	s_barrier
	s_and_saveexec_b64 s[18:19], s[8:9]
	s_cbranch_execz .LBB73_46
; %bb.43:                               ;   in Loop: Header=BB73_2 Depth=1
	s_mov_b64 s[20:21], 0
	v_mov_b32_e32 v57, v41
	v_mov_b32_e32 v56, v42
.LBB73_44:                              ;   Parent Loop BB73_2 Depth=1
                                        ; =>  This Inner Loop Header: Depth=2
	v_sub_u32_e32 v58, v56, v57
	v_lshrrev_b32_e32 v58, 1, v58
	v_add_u32_e32 v58, v58, v57
	v_add_u32_e32 v59, v17, v58
	v_xad_u32 v60, v58, -1, v43
	ds_read_i8 v59, v59
	ds_read_i8 v60, v60
	v_add_u32_e32 v61, 1, v58
	s_waitcnt lgkmcnt(0)
	v_cmp_lt_i16_e64 s[16:17], v60, v59
	v_cndmask_b32_e64 v56, v56, v58, s[16:17]
	v_cndmask_b32_e64 v57, v61, v57, s[16:17]
	v_cmp_ge_i32_e64 s[16:17], v57, v56
	s_or_b64 s[20:21], s[16:17], s[20:21]
	s_andn2_b64 exec, exec, s[20:21]
	s_cbranch_execnz .LBB73_44
; %bb.45:                               ;   in Loop: Header=BB73_2 Depth=1
	s_or_b64 exec, exec, s[20:21]
.LBB73_46:                              ;   in Loop: Header=BB73_2 Depth=1
	s_or_b64 exec, exec, s[18:19]
	v_add_u32_e32 v56, v57, v17
	v_sub_u32_e32 v57, v43, v57
	ds_read_u8 v58, v56
	ds_read_u8 v60, v57
	v_cmp_le_i32_e64 s[18:19], v18, v56
	v_cmp_gt_i32_e64 s[16:17], v19, v57
	s_waitcnt lgkmcnt(1)
	v_bfe_i32 v59, v58, 0, 8
	s_waitcnt lgkmcnt(0)
	v_bfe_i32 v60, v60, 0, 8
	v_cmp_lt_i16_e64 s[20:21], v60, v59
	s_or_b64 s[18:19], s[18:19], s[20:21]
	s_and_b64 s[16:17], s[16:17], s[18:19]
	s_xor_b64 s[18:19], s[16:17], -1
                                        ; implicit-def: $vgpr58
	s_and_saveexec_b64 s[20:21], s[18:19]
	s_xor_b64 s[18:19], exec, s[20:21]
; %bb.47:                               ;   in Loop: Header=BB73_2 Depth=1
	ds_read_u8 v58, v56 offset:1
; %bb.48:                               ;   in Loop: Header=BB73_2 Depth=1
	s_or_saveexec_b64 s[18:19], s[18:19]
	v_mov_b32_e32 v61, v60
	s_xor_b64 exec, exec, s[18:19]
	s_cbranch_execz .LBB73_50
; %bb.49:                               ;   in Loop: Header=BB73_2 Depth=1
	ds_read_u8 v61, v57 offset:1
	s_waitcnt lgkmcnt(1)
	v_mov_b32_e32 v58, v59
.LBB73_50:                              ;   in Loop: Header=BB73_2 Depth=1
	s_or_b64 exec, exec, s[18:19]
	v_add_u32_e32 v62, 1, v56
	v_cndmask_b32_e64 v59, v59, v60, s[16:17]
	v_add_u32_e32 v60, 1, v57
	v_cndmask_b32_e64 v62, v62, v56, s[16:17]
	v_cndmask_b32_e64 v60, v57, v60, s[16:17]
	v_cmp_ge_i32_e64 s[18:19], v62, v18
	s_waitcnt lgkmcnt(0)
	v_cmp_lt_i16_sdwa s[20:21], sext(v61), sext(v58) src0_sel:BYTE_0 src1_sel:BYTE_0
	v_cndmask_b32_e64 v56, v56, v57, s[16:17]
	v_cmp_lt_i32_e64 s[16:17], v60, v19
	s_or_b64 s[18:19], s[18:19], s[20:21]
	s_and_b64 s[16:17], s[16:17], s[18:19]
	v_cndmask_b32_e64 v57, v58, v61, s[16:17]
	v_cndmask_b32_e64 v58, v62, v60, s[16:17]
	s_barrier
	ds_write_b8 v1, v54
	ds_write_b8 v1, v55 offset:1
	s_waitcnt lgkmcnt(0)
	s_barrier
	ds_read_u8 v54, v56
	ds_read_u8 v55, v58
	s_waitcnt lgkmcnt(0)
	s_barrier
	ds_write_b8 v1, v59
	ds_write_b8 v1, v57 offset:1
	v_mov_b32_e32 v57, v44
	s_waitcnt lgkmcnt(0)
	s_barrier
	s_and_saveexec_b64 s[18:19], s[10:11]
	s_cbranch_execz .LBB73_54
; %bb.51:                               ;   in Loop: Header=BB73_2 Depth=1
	s_mov_b64 s[20:21], 0
	v_mov_b32_e32 v57, v44
	v_mov_b32_e32 v56, v45
.LBB73_52:                              ;   Parent Loop BB73_2 Depth=1
                                        ; =>  This Inner Loop Header: Depth=2
	v_sub_u32_e32 v58, v56, v57
	v_lshrrev_b32_e32 v58, 1, v58
	v_add_u32_e32 v58, v58, v57
	v_add_u32_e32 v59, v20, v58
	v_xad_u32 v60, v58, -1, v46
	ds_read_i8 v59, v59
	ds_read_i8 v60, v60
	v_add_u32_e32 v61, 1, v58
	s_waitcnt lgkmcnt(0)
	v_cmp_lt_i16_e64 s[16:17], v60, v59
	v_cndmask_b32_e64 v56, v56, v58, s[16:17]
	v_cndmask_b32_e64 v57, v61, v57, s[16:17]
	v_cmp_ge_i32_e64 s[16:17], v57, v56
	s_or_b64 s[20:21], s[16:17], s[20:21]
	s_andn2_b64 exec, exec, s[20:21]
	s_cbranch_execnz .LBB73_52
; %bb.53:                               ;   in Loop: Header=BB73_2 Depth=1
	s_or_b64 exec, exec, s[20:21]
.LBB73_54:                              ;   in Loop: Header=BB73_2 Depth=1
	s_or_b64 exec, exec, s[18:19]
	v_add_u32_e32 v56, v57, v20
	v_sub_u32_e32 v57, v46, v57
	ds_read_u8 v58, v56
	ds_read_u8 v60, v57
	v_cmp_le_i32_e64 s[18:19], v21, v56
	v_cmp_gt_i32_e64 s[16:17], v22, v57
	s_waitcnt lgkmcnt(1)
	v_bfe_i32 v59, v58, 0, 8
	s_waitcnt lgkmcnt(0)
	v_bfe_i32 v60, v60, 0, 8
	v_cmp_lt_i16_e64 s[20:21], v60, v59
	s_or_b64 s[18:19], s[18:19], s[20:21]
	s_and_b64 s[16:17], s[16:17], s[18:19]
	s_xor_b64 s[18:19], s[16:17], -1
                                        ; implicit-def: $vgpr58
	s_and_saveexec_b64 s[20:21], s[18:19]
	s_xor_b64 s[18:19], exec, s[20:21]
; %bb.55:                               ;   in Loop: Header=BB73_2 Depth=1
	ds_read_u8 v58, v56 offset:1
; %bb.56:                               ;   in Loop: Header=BB73_2 Depth=1
	s_or_saveexec_b64 s[18:19], s[18:19]
	v_mov_b32_e32 v61, v60
	s_xor_b64 exec, exec, s[18:19]
	s_cbranch_execz .LBB73_58
; %bb.57:                               ;   in Loop: Header=BB73_2 Depth=1
	ds_read_u8 v61, v57 offset:1
	s_waitcnt lgkmcnt(1)
	v_mov_b32_e32 v58, v59
.LBB73_58:                              ;   in Loop: Header=BB73_2 Depth=1
	s_or_b64 exec, exec, s[18:19]
	v_add_u32_e32 v62, 1, v56
	v_cndmask_b32_e64 v59, v59, v60, s[16:17]
	v_add_u32_e32 v60, 1, v57
	v_cndmask_b32_e64 v62, v62, v56, s[16:17]
	v_cndmask_b32_e64 v60, v57, v60, s[16:17]
	v_cmp_ge_i32_e64 s[18:19], v62, v21
	s_waitcnt lgkmcnt(0)
	v_cmp_lt_i16_sdwa s[20:21], sext(v61), sext(v58) src0_sel:BYTE_0 src1_sel:BYTE_0
	v_cndmask_b32_e64 v56, v56, v57, s[16:17]
	v_cmp_lt_i32_e64 s[16:17], v60, v22
	s_or_b64 s[18:19], s[18:19], s[20:21]
	s_and_b64 s[16:17], s[16:17], s[18:19]
	v_cndmask_b32_e64 v57, v58, v61, s[16:17]
	v_cndmask_b32_e64 v58, v62, v60, s[16:17]
	s_barrier
	ds_write_b8 v1, v54
	ds_write_b8 v1, v55 offset:1
	s_waitcnt lgkmcnt(0)
	s_barrier
	ds_read_u8 v54, v56
	ds_read_u8 v55, v58
	s_waitcnt lgkmcnt(0)
	s_barrier
	ds_write_b8 v1, v59
	ds_write_b8 v1, v57 offset:1
	v_mov_b32_e32 v57, v47
	s_waitcnt lgkmcnt(0)
	s_barrier
	s_and_saveexec_b64 s[18:19], s[12:13]
	s_cbranch_execz .LBB73_62
; %bb.59:                               ;   in Loop: Header=BB73_2 Depth=1
	s_mov_b64 s[20:21], 0
	v_mov_b32_e32 v57, v47
	v_mov_b32_e32 v56, v48
.LBB73_60:                              ;   Parent Loop BB73_2 Depth=1
                                        ; =>  This Inner Loop Header: Depth=2
	v_sub_u32_e32 v58, v56, v57
	v_lshrrev_b32_e32 v58, 1, v58
	v_add_u32_e32 v58, v58, v57
	v_add_u32_e32 v59, v23, v58
	v_xad_u32 v60, v58, -1, v49
	ds_read_i8 v59, v59
	ds_read_i8 v60, v60
	v_add_u32_e32 v61, 1, v58
	s_waitcnt lgkmcnt(0)
	v_cmp_lt_i16_e64 s[16:17], v60, v59
	v_cndmask_b32_e64 v56, v56, v58, s[16:17]
	v_cndmask_b32_e64 v57, v61, v57, s[16:17]
	v_cmp_ge_i32_e64 s[16:17], v57, v56
	s_or_b64 s[20:21], s[16:17], s[20:21]
	s_andn2_b64 exec, exec, s[20:21]
	s_cbranch_execnz .LBB73_60
; %bb.61:                               ;   in Loop: Header=BB73_2 Depth=1
	s_or_b64 exec, exec, s[20:21]
.LBB73_62:                              ;   in Loop: Header=BB73_2 Depth=1
	s_or_b64 exec, exec, s[18:19]
	v_add_u32_e32 v56, v57, v23
	v_sub_u32_e32 v57, v49, v57
	ds_read_u8 v58, v56
	ds_read_u8 v60, v57
	v_cmp_le_i32_e64 s[18:19], v24, v56
	v_cmp_gt_i32_e64 s[16:17], v25, v57
	s_waitcnt lgkmcnt(1)
	v_bfe_i32 v59, v58, 0, 8
	s_waitcnt lgkmcnt(0)
	v_bfe_i32 v60, v60, 0, 8
	v_cmp_lt_i16_e64 s[20:21], v60, v59
	s_or_b64 s[18:19], s[18:19], s[20:21]
	s_and_b64 s[16:17], s[16:17], s[18:19]
	s_xor_b64 s[18:19], s[16:17], -1
                                        ; implicit-def: $vgpr58
	s_and_saveexec_b64 s[20:21], s[18:19]
	s_xor_b64 s[18:19], exec, s[20:21]
; %bb.63:                               ;   in Loop: Header=BB73_2 Depth=1
	ds_read_u8 v58, v56 offset:1
; %bb.64:                               ;   in Loop: Header=BB73_2 Depth=1
	s_or_saveexec_b64 s[18:19], s[18:19]
	v_mov_b32_e32 v61, v60
	s_xor_b64 exec, exec, s[18:19]
	s_cbranch_execz .LBB73_66
; %bb.65:                               ;   in Loop: Header=BB73_2 Depth=1
	ds_read_u8 v61, v57 offset:1
	s_waitcnt lgkmcnt(1)
	v_mov_b32_e32 v58, v59
.LBB73_66:                              ;   in Loop: Header=BB73_2 Depth=1
	s_or_b64 exec, exec, s[18:19]
	v_add_u32_e32 v62, 1, v56
	v_cndmask_b32_e64 v59, v59, v60, s[16:17]
	v_add_u32_e32 v60, 1, v57
	v_cndmask_b32_e64 v62, v62, v56, s[16:17]
	v_cndmask_b32_e64 v60, v57, v60, s[16:17]
	v_cmp_ge_i32_e64 s[18:19], v62, v24
	s_waitcnt lgkmcnt(0)
	v_cmp_lt_i16_sdwa s[20:21], sext(v61), sext(v58) src0_sel:BYTE_0 src1_sel:BYTE_0
	v_cndmask_b32_e64 v56, v56, v57, s[16:17]
	v_cmp_lt_i32_e64 s[16:17], v60, v25
	s_or_b64 s[18:19], s[18:19], s[20:21]
	s_and_b64 s[16:17], s[16:17], s[18:19]
	v_cndmask_b32_e64 v57, v58, v61, s[16:17]
	v_cndmask_b32_e64 v58, v62, v60, s[16:17]
	s_barrier
	ds_write_b8 v1, v54
	ds_write_b8 v1, v55 offset:1
	s_waitcnt lgkmcnt(0)
	s_barrier
	ds_read_u8 v54, v56
	ds_read_u8 v55, v58
	v_mov_b32_e32 v56, v51
	s_waitcnt lgkmcnt(0)
	s_barrier
	ds_write_b8 v1, v59
	ds_write_b8 v1, v57 offset:1
	s_waitcnt lgkmcnt(0)
	s_barrier
	s_and_saveexec_b64 s[18:19], s[14:15]
	s_cbranch_execz .LBB73_70
; %bb.67:                               ;   in Loop: Header=BB73_2 Depth=1
	s_mov_b64 s[20:21], 0
	v_mov_b32_e32 v56, v51
	v_mov_b32_e32 v57, v52
.LBB73_68:                              ;   Parent Loop BB73_2 Depth=1
                                        ; =>  This Inner Loop Header: Depth=2
	v_sub_u32_e32 v58, v57, v56
	v_lshrrev_b32_e32 v58, 1, v58
	v_add_u32_e32 v58, v58, v56
	v_xad_u32 v59, v58, -1, v53
	ds_read_i8 v60, v58
	ds_read_i8 v59, v59
	v_add_u32_e32 v61, 1, v58
	s_waitcnt lgkmcnt(0)
	v_cmp_lt_i16_e64 s[16:17], v59, v60
	v_cndmask_b32_e64 v57, v57, v58, s[16:17]
	v_cndmask_b32_e64 v56, v61, v56, s[16:17]
	v_cmp_ge_i32_e64 s[16:17], v56, v57
	s_or_b64 s[20:21], s[16:17], s[20:21]
	s_andn2_b64 exec, exec, s[20:21]
	s_cbranch_execnz .LBB73_68
; %bb.69:                               ;   in Loop: Header=BB73_2 Depth=1
	s_or_b64 exec, exec, s[20:21]
.LBB73_70:                              ;   in Loop: Header=BB73_2 Depth=1
	s_or_b64 exec, exec, s[18:19]
	v_sub_u32_e32 v59, v53, v56
	ds_read_u8 v57, v56
	ds_read_u8 v58, v59
	v_cmp_le_i32_e64 s[18:19], v50, v56
	v_cmp_gt_i32_e64 s[16:17], s29, v59
                                        ; implicit-def: $vgpr61
                                        ; implicit-def: $vgpr60
	s_waitcnt lgkmcnt(1)
	v_bfe_i32 v57, v57, 0, 8
	s_waitcnt lgkmcnt(0)
	v_bfe_i32 v58, v58, 0, 8
	v_cmp_lt_i16_e64 s[20:21], v58, v57
	s_or_b64 s[18:19], s[18:19], s[20:21]
	s_and_b64 s[16:17], s[16:17], s[18:19]
	s_xor_b64 s[18:19], s[16:17], -1
	s_and_saveexec_b64 s[20:21], s[18:19]
	s_xor_b64 s[18:19], exec, s[20:21]
; %bb.71:                               ;   in Loop: Header=BB73_2 Depth=1
	ds_read_u8 v61, v56 offset:1
	v_add_u32_e32 v60, 1, v56
; %bb.72:                               ;   in Loop: Header=BB73_2 Depth=1
	s_or_saveexec_b64 s[18:19], s[18:19]
	v_mov_b32_e32 v62, v56
	v_mov_b32_e32 v63, v58
	s_xor_b64 exec, exec, s[18:19]
	s_cbranch_execz .LBB73_1
; %bb.73:                               ;   in Loop: Header=BB73_2 Depth=1
	ds_read_u8 v63, v59 offset:1
	s_waitcnt lgkmcnt(1)
	v_add_u32_e32 v61, 1, v59
	v_mov_b32_e32 v62, v59
	v_mov_b32_e32 v60, v56
	;; [unrolled: 1-line block ×4, first 2 shown]
	s_branch .LBB73_1
.LBB73_74:
	s_add_u32 s0, s26, s28
	s_addc_u32 s1, s27, 0
	v_mov_b32_e32 v1, s1
	v_add_co_u32_e32 v0, vcc, s0, v0
	s_waitcnt lgkmcnt(1)
	v_add_u16_e32 v2, v57, v54
	v_addc_co_u32_e32 v1, vcc, 0, v1, vcc
	s_waitcnt lgkmcnt(0)
	v_add_u16_e32 v3, v56, v55
	global_store_byte v[0:1], v2, off
	global_store_byte v[0:1], v3, off offset:512
	s_endpgm
	.section	.rodata,"a",@progbits
	.p2align	6, 0x0
	.amdhsa_kernel _Z17sort_pairs_kernelIaLj512ELj2EN10test_utils4lessELj10EEvPKT_PS2_T2_
		.amdhsa_group_segment_fixed_size 1025
		.amdhsa_private_segment_fixed_size 0
		.amdhsa_kernarg_size 20
		.amdhsa_user_sgpr_count 6
		.amdhsa_user_sgpr_private_segment_buffer 1
		.amdhsa_user_sgpr_dispatch_ptr 0
		.amdhsa_user_sgpr_queue_ptr 0
		.amdhsa_user_sgpr_kernarg_segment_ptr 1
		.amdhsa_user_sgpr_dispatch_id 0
		.amdhsa_user_sgpr_flat_scratch_init 0
		.amdhsa_user_sgpr_private_segment_size 0
		.amdhsa_uses_dynamic_stack 0
		.amdhsa_system_sgpr_private_segment_wavefront_offset 0
		.amdhsa_system_sgpr_workgroup_id_x 1
		.amdhsa_system_sgpr_workgroup_id_y 0
		.amdhsa_system_sgpr_workgroup_id_z 0
		.amdhsa_system_sgpr_workgroup_info 0
		.amdhsa_system_vgpr_workitem_id 0
		.amdhsa_next_free_vgpr 64
		.amdhsa_next_free_sgpr 30
		.amdhsa_reserve_vcc 1
		.amdhsa_reserve_flat_scratch 0
		.amdhsa_float_round_mode_32 0
		.amdhsa_float_round_mode_16_64 0
		.amdhsa_float_denorm_mode_32 3
		.amdhsa_float_denorm_mode_16_64 3
		.amdhsa_dx10_clamp 1
		.amdhsa_ieee_mode 1
		.amdhsa_fp16_overflow 0
		.amdhsa_exception_fp_ieee_invalid_op 0
		.amdhsa_exception_fp_denorm_src 0
		.amdhsa_exception_fp_ieee_div_zero 0
		.amdhsa_exception_fp_ieee_overflow 0
		.amdhsa_exception_fp_ieee_underflow 0
		.amdhsa_exception_fp_ieee_inexact 0
		.amdhsa_exception_int_div_zero 0
	.end_amdhsa_kernel
	.section	.text._Z17sort_pairs_kernelIaLj512ELj2EN10test_utils4lessELj10EEvPKT_PS2_T2_,"axG",@progbits,_Z17sort_pairs_kernelIaLj512ELj2EN10test_utils4lessELj10EEvPKT_PS2_T2_,comdat
.Lfunc_end73:
	.size	_Z17sort_pairs_kernelIaLj512ELj2EN10test_utils4lessELj10EEvPKT_PS2_T2_, .Lfunc_end73-_Z17sort_pairs_kernelIaLj512ELj2EN10test_utils4lessELj10EEvPKT_PS2_T2_
                                        ; -- End function
	.set _Z17sort_pairs_kernelIaLj512ELj2EN10test_utils4lessELj10EEvPKT_PS2_T2_.num_vgpr, 64
	.set _Z17sort_pairs_kernelIaLj512ELj2EN10test_utils4lessELj10EEvPKT_PS2_T2_.num_agpr, 0
	.set _Z17sort_pairs_kernelIaLj512ELj2EN10test_utils4lessELj10EEvPKT_PS2_T2_.numbered_sgpr, 30
	.set _Z17sort_pairs_kernelIaLj512ELj2EN10test_utils4lessELj10EEvPKT_PS2_T2_.num_named_barrier, 0
	.set _Z17sort_pairs_kernelIaLj512ELj2EN10test_utils4lessELj10EEvPKT_PS2_T2_.private_seg_size, 0
	.set _Z17sort_pairs_kernelIaLj512ELj2EN10test_utils4lessELj10EEvPKT_PS2_T2_.uses_vcc, 1
	.set _Z17sort_pairs_kernelIaLj512ELj2EN10test_utils4lessELj10EEvPKT_PS2_T2_.uses_flat_scratch, 0
	.set _Z17sort_pairs_kernelIaLj512ELj2EN10test_utils4lessELj10EEvPKT_PS2_T2_.has_dyn_sized_stack, 0
	.set _Z17sort_pairs_kernelIaLj512ELj2EN10test_utils4lessELj10EEvPKT_PS2_T2_.has_recursion, 0
	.set _Z17sort_pairs_kernelIaLj512ELj2EN10test_utils4lessELj10EEvPKT_PS2_T2_.has_indirect_call, 0
	.section	.AMDGPU.csdata,"",@progbits
; Kernel info:
; codeLenInByte = 4624
; TotalNumSgprs: 34
; NumVgprs: 64
; ScratchSize: 0
; MemoryBound: 0
; FloatMode: 240
; IeeeMode: 1
; LDSByteSize: 1025 bytes/workgroup (compile time only)
; SGPRBlocks: 4
; VGPRBlocks: 15
; NumSGPRsForWavesPerEU: 34
; NumVGPRsForWavesPerEU: 64
; Occupancy: 4
; WaveLimiterHint : 1
; COMPUTE_PGM_RSRC2:SCRATCH_EN: 0
; COMPUTE_PGM_RSRC2:USER_SGPR: 6
; COMPUTE_PGM_RSRC2:TRAP_HANDLER: 0
; COMPUTE_PGM_RSRC2:TGID_X_EN: 1
; COMPUTE_PGM_RSRC2:TGID_Y_EN: 0
; COMPUTE_PGM_RSRC2:TGID_Z_EN: 0
; COMPUTE_PGM_RSRC2:TIDIG_COMP_CNT: 0
	.section	.text._Z16sort_keys_kernelIaLj512ELj3EN10test_utils4lessELj10EEvPKT_PS2_T2_,"axG",@progbits,_Z16sort_keys_kernelIaLj512ELj3EN10test_utils4lessELj10EEvPKT_PS2_T2_,comdat
	.protected	_Z16sort_keys_kernelIaLj512ELj3EN10test_utils4lessELj10EEvPKT_PS2_T2_ ; -- Begin function _Z16sort_keys_kernelIaLj512ELj3EN10test_utils4lessELj10EEvPKT_PS2_T2_
	.globl	_Z16sort_keys_kernelIaLj512ELj3EN10test_utils4lessELj10EEvPKT_PS2_T2_
	.p2align	8
	.type	_Z16sort_keys_kernelIaLj512ELj3EN10test_utils4lessELj10EEvPKT_PS2_T2_,@function
_Z16sort_keys_kernelIaLj512ELj3EN10test_utils4lessELj10EEvPKT_PS2_T2_: ; @_Z16sort_keys_kernelIaLj512ELj3EN10test_utils4lessELj10EEvPKT_PS2_T2_
; %bb.0:
	s_load_dwordx4 s[20:23], s[4:5], 0x0
	s_mul_i32 s24, s6, 0x600
	v_and_b32_e32 v1, 0x1fe, v0
	v_and_b32_e32 v2, 1, v0
	;; [unrolled: 1-line block ×3, first 2 shown]
	s_waitcnt lgkmcnt(0)
	s_add_u32 s0, s20, s24
	s_addc_u32 s1, s21, 0
	global_load_ubyte v23, v0, s[0:1] offset:512
	global_load_ubyte v24, v0, s[0:1] offset:1024
	global_load_ubyte v25, v0, s[0:1]
	v_and_b32_e32 v4, 0x1f8, v0
	v_and_b32_e32 v5, 0x1f0, v0
	s_mov_b32 s0, 0xc0c0004
	v_and_b32_e32 v6, 0x1e0, v0
	v_and_b32_e32 v7, 0x1c0, v0
	v_and_b32_e32 v26, 0x180, v0
	v_mul_u32_u24_e32 v31, 3, v1
	v_cmp_eq_u32_e32 vcc, 1, v2
	v_mul_u32_u24_e32 v2, 3, v3
	v_mul_u32_u24_e32 v3, 3, v4
	v_mul_u32_u24_e32 v4, 3, v5
	v_and_b32_e32 v27, 0x100, v0
	v_mul_u32_u24_e32 v5, 3, v6
	v_mul_u32_u24_e32 v6, 3, v7
	v_min_u32_e32 v34, 0x5fd, v31
	v_min_u32_e32 v7, 0x5fa, v31
	;; [unrolled: 1-line block ×6, first 2 shown]
	v_mul_u32_u24_e32 v29, 3, v27
	v_and_b32_e32 v41, 7, v0
	v_and_b32_e32 v44, 15, v0
	v_min_u32_e32 v1, 0x600, v2
	v_min_u32_e32 v37, 0x5fa, v2
	;; [unrolled: 1-line block ×11, first 2 shown]
	v_add_u32_e32 v6, 3, v34
	v_add_u32_e32 v7, 6, v7
	;; [unrolled: 1-line block ×6, first 2 shown]
	v_min_u32_e32 v27, 0x300, v29
	v_min_u32_e32 v69, 0x480, v29
	v_and_b32_e32 v38, 3, v0
	v_and_b32_e32 v47, 31, v0
	v_and_b32_e32 v50, 63, v0
	v_cndmask_b32_e64 v35, 0, 3, vcc
	v_mul_u32_u24_e32 v39, 3, v41
	v_mul_u32_u24_e32 v42, 3, v44
	v_add_u32_e32 v8, 6, v37
	v_add_u32_e32 v9, 12, v9
	;; [unrolled: 1-line block ×6, first 2 shown]
	v_sub_u32_e32 v32, v7, v6
	v_sub_u32_e32 v52, v11, v10
	;; [unrolled: 1-line block ×3, first 2 shown]
	v_and_b32_e32 v61, 0x7f, v0
	v_add_u32_e32 v27, 0x300, v27
	v_and_b32_e32 v67, 0xff, v0
	v_add_u32_e32 v28, 0x180, v69
	v_mul_u32_u24_e32 v36, 3, v38
	v_mul_u32_u24_e32 v45, 3, v47
	;; [unrolled: 1-line block ×3, first 2 shown]
	v_sub_u32_e32 v51, v9, v8
	v_sub_u32_e32 v19, v10, v2
	;; [unrolled: 1-line block ×8, first 2 shown]
	v_mul_u32_u24_e32 v63, 3, v61
	v_mul_u32_u24_e32 v68, 3, v67
	v_sub_u32_e32 v70, v27, v28
	v_min_u32_e32 v29, 0x600, v29
	v_min_u32_e32 v31, 0x600, v31
	v_cmp_ge_i32_e32 vcc, v35, v32
	v_cmp_ge_i32_e64 s[2:3], v39, v52
	s_waitcnt vmcnt(0)
	v_perm_b32 v23, v25, v23, s0
	v_mul_u32_u24_e32 v25, 3, v26
	v_lshl_or_b32 v62, v24, 16, v23
	v_min_u32_e32 v23, 0x480, v25
	v_min_u32_e32 v64, 0x540, v25
	v_add_u32_e32 v23, 0x180, v23
	v_add_u32_e32 v24, 0xc0, v64
	v_sub_u32_e32 v65, v23, v24
	v_min_u32_e32 v25, 0x600, v25
	v_cmp_ge_i32_e64 s[4:5], v42, v53
	v_sub_u32_e32 v18, v8, v1
	v_sub_u32_e32 v21, v15, v4
	v_sub_u32_e32 v22, v17, v5
	v_sub_u32_e32 v56, v36, v51
	v_min_i32_e32 v19, v39, v19
	v_min_i32_e32 v20, v42, v20
	v_sub_u32_e32 v59, v45, v54
	v_sub_u32_e32 v60, v48, v55
	;; [unrolled: 1-line block ×6, first 2 shown]
	v_cndmask_b32_e32 v32, 0, v33, vcc
	v_sub_u32_e32 v33, v6, v31
	v_cmp_ge_i32_e64 s[0:1], v36, v51
	v_cndmask_b32_e64 v39, 0, v57, s[2:3]
	v_cndmask_b32_e64 v42, 0, v58, s[4:5]
	v_cmp_ge_i32_e64 s[6:7], v45, v54
	v_cmp_ge_i32_e64 s[8:9], v48, v55
	;; [unrolled: 1-line block ×4, first 2 shown]
	v_mul_u32_u24_e32 v57, 3, v0
	v_mov_b32_e32 v58, 0x300
	v_min_i32_e32 v18, v36, v18
	v_min_i32_e32 v21, v45, v21
	;; [unrolled: 1-line block ×6, first 2 shown]
	v_cndmask_b32_e64 v36, 0, v56, s[0:1]
	v_cndmask_b32_e64 v45, 0, v59, s[6:7]
	;; [unrolled: 1-line block ×5, first 2 shown]
	v_sub_u32_e64 v59, v57, v58 clamp
	v_min_i32_e32 v60, 0x300, v57
	s_movk_i32 s25, 0x600
	s_mov_b32 s26, 0
	v_cmp_lt_i32_e32 vcc, v32, v33
	v_add_u32_e32 v34, v34, v35
	v_add_u32_e32 v35, v6, v35
	v_cmp_lt_i32_e64 s[0:1], v36, v18
	v_mad_u32_u24 v37, v38, 3, v37
	v_mad_u32_u24 v38, v38, 3, v8
	v_cmp_lt_i32_e64 s[2:3], v39, v19
	v_mad_u32_u24 v40, v41, 3, v40
	v_mad_u32_u24 v41, v41, 3, v10
	;; [unrolled: 3-line block ×7, first 2 shown]
	v_cmp_lt_i32_e64 s[14:15], v59, v60
	s_mov_b32 s27, 0x7060405
	s_mov_b32 s28, 0x7000604
	;; [unrolled: 1-line block ×3, first 2 shown]
	v_mad_u32_u24 v61, v0, 3, v58
	s_branch .LBB74_2
.LBB74_1:                               ;   in Loop: Header=BB74_2 Depth=1
	s_or_b64 exec, exec, s[20:21]
	v_cndmask_b32_e64 v65, v65, v66, s[18:19]
	v_cmp_ge_i32_e64 s[18:19], v68, v58
	s_waitcnt lgkmcnt(0)
	v_cmp_lt_i16_sdwa s[20:21], sext(v70), sext(v63) src0_sel:BYTE_0 src1_sel:BYTE_0
	v_cndmask_b32_e64 v64, v62, v64, s[16:17]
	v_cmp_gt_i32_e64 s[16:17], s25, v67
	s_or_b64 s[18:19], s[18:19], s[20:21]
	s_and_b64 s[16:17], s[16:17], s[18:19]
	v_cndmask_b32_e64 v63, v63, v70, s[16:17]
	v_lshlrev_b16_e32 v62, 8, v65
	v_and_b32_e32 v66, 0xff, v63
	v_or_b32_sdwa v62, v64, v62 dst_sel:DWORD dst_unused:UNUSED_PAD src0_sel:BYTE_0 src1_sel:DWORD
	v_lshlrev_b32_e32 v66, 16, v66
	s_add_i32 s26, s26, 1
	s_cmp_eq_u32 s26, 10
	v_or_b32_sdwa v62, v62, v66 dst_sel:DWORD dst_unused:UNUSED_PAD src0_sel:WORD_0 src1_sel:DWORD
	s_cbranch_scc1 .LBB74_110
.LBB74_2:                               ; =>This Loop Header: Depth=1
                                        ;     Child Loop BB74_4 Depth 2
                                        ;     Child Loop BB74_16 Depth 2
	;; [unrolled: 1-line block ×9, first 2 shown]
	v_lshrrev_b32_e32 v64, 8, v62
	v_perm_b32 v63, v62, v62, s27
	v_cmp_lt_i16_sdwa s[16:17], sext(v64), sext(v62) src0_sel:BYTE_0 src1_sel:BYTE_0
	v_cndmask_b32_e64 v63, v62, v63, s[16:17]
	v_lshrrev_b32_e32 v65, 16, v63
	v_min_i16_sdwa v66, sext(v64), sext(v62) dst_sel:DWORD dst_unused:UNUSED_PAD src0_sel:BYTE_0 src1_sel:BYTE_0
	v_max_i16_sdwa v62, sext(v64), sext(v62) dst_sel:DWORD dst_unused:UNUSED_PAD src0_sel:BYTE_0 src1_sel:BYTE_0
	v_perm_b32 v64, v63, v62, s28
	v_cmp_lt_i16_sdwa s[16:17], sext(v65), v62 src0_sel:BYTE_0 src1_sel:DWORD
	v_cndmask_b32_e64 v63, v63, v64, s[16:17]
	v_min_i16_sdwa v62, sext(v65), v62 dst_sel:DWORD dst_unused:UNUSED_PAD src0_sel:BYTE_0 src1_sel:DWORD
	v_lshlrev_b16_e32 v64, 8, v66
	v_or_b32_sdwa v62, v62, v64 dst_sel:DWORD dst_unused:UNUSED_PAD src0_sel:BYTE_0 src1_sel:DWORD
	v_and_b32_e32 v62, 0xffff, v62
	v_and_or_b32 v62, v63, s29, v62
	v_cmp_lt_i16_sdwa s[16:17], sext(v65), v66 src0_sel:BYTE_0 src1_sel:DWORD
	v_cndmask_b32_e64 v62, v63, v62, s[16:17]
	v_lshrrev_b32_e32 v63, 8, v62
	s_barrier
	ds_write_b8 v57, v62
	ds_write_b8 v57, v63 offset:1
	ds_write_b8_d16_hi v57, v62 offset:2
	v_mov_b32_e32 v62, v32
	s_waitcnt lgkmcnt(0)
	s_barrier
	s_and_saveexec_b64 s[18:19], vcc
	s_cbranch_execz .LBB74_6
; %bb.3:                                ;   in Loop: Header=BB74_2 Depth=1
	s_mov_b64 s[20:21], 0
	v_mov_b32_e32 v62, v32
	v_mov_b32_e32 v63, v33
.LBB74_4:                               ;   Parent Loop BB74_2 Depth=1
                                        ; =>  This Inner Loop Header: Depth=2
	v_sub_u32_e32 v64, v63, v62
	v_lshrrev_b32_e32 v64, 1, v64
	v_add_u32_e32 v64, v64, v62
	v_add_u32_e32 v65, v31, v64
	v_xad_u32 v66, v64, -1, v34
	ds_read_i8 v65, v65
	ds_read_i8 v66, v66 offset:3
	v_add_u32_e32 v67, 1, v64
	s_waitcnt lgkmcnt(0)
	v_cmp_lt_i16_e64 s[16:17], v66, v65
	v_cndmask_b32_e64 v63, v63, v64, s[16:17]
	v_cndmask_b32_e64 v62, v67, v62, s[16:17]
	v_cmp_ge_i32_e64 s[16:17], v62, v63
	s_or_b64 s[20:21], s[16:17], s[20:21]
	s_andn2_b64 exec, exec, s[20:21]
	s_cbranch_execnz .LBB74_4
; %bb.5:                                ;   in Loop: Header=BB74_2 Depth=1
	s_or_b64 exec, exec, s[20:21]
.LBB74_6:                               ;   in Loop: Header=BB74_2 Depth=1
	s_or_b64 exec, exec, s[18:19]
	v_add_u32_e32 v65, v62, v31
	v_sub_u32_e32 v68, v34, v62
	ds_read_u8 v63, v65
	ds_read_u8 v64, v68 offset:3
	v_sub_u32_e32 v67, v35, v62
	v_cmp_le_i32_e64 s[18:19], v6, v65
	v_cmp_gt_i32_e64 s[16:17], v7, v67
	s_waitcnt lgkmcnt(1)
	v_bfe_i32 v62, v63, 0, 8
	s_waitcnt lgkmcnt(0)
	v_bfe_i32 v63, v64, 0, 8
	v_cmp_lt_i16_e64 s[20:21], v63, v62
	s_or_b64 s[18:19], s[18:19], s[20:21]
	s_and_b64 s[16:17], s[16:17], s[18:19]
	s_xor_b64 s[18:19], s[16:17], -1
                                        ; implicit-def: $vgpr64
	s_and_saveexec_b64 s[20:21], s[18:19]
	s_xor_b64 s[18:19], exec, s[20:21]
; %bb.7:                                ;   in Loop: Header=BB74_2 Depth=1
	ds_read_u8 v64, v65 offset:1
                                        ; implicit-def: $vgpr68
; %bb.8:                                ;   in Loop: Header=BB74_2 Depth=1
	s_or_saveexec_b64 s[18:19], s[18:19]
	v_mov_b32_e32 v66, v63
	s_xor_b64 exec, exec, s[18:19]
	s_cbranch_execz .LBB74_10
; %bb.9:                                ;   in Loop: Header=BB74_2 Depth=1
	ds_read_u8 v66, v68 offset:4
	s_waitcnt lgkmcnt(1)
	v_mov_b32_e32 v64, v62
.LBB74_10:                              ;   in Loop: Header=BB74_2 Depth=1
	s_or_b64 exec, exec, s[18:19]
	v_add_u32_e32 v69, 1, v65
	v_add_u32_e32 v68, 1, v67
	v_cndmask_b32_e64 v65, v69, v65, s[16:17]
	v_cndmask_b32_e64 v67, v67, v68, s[16:17]
	v_cmp_ge_i32_e64 s[20:21], v65, v6
	s_waitcnt lgkmcnt(0)
	v_cmp_lt_i16_sdwa s[30:31], sext(v66), sext(v64) src0_sel:BYTE_0 src1_sel:BYTE_0
	v_cmp_lt_i32_e64 s[18:19], v67, v7
	s_or_b64 s[20:21], s[20:21], s[30:31]
	s_and_b64 s[18:19], s[18:19], s[20:21]
	s_xor_b64 s[20:21], s[18:19], -1
                                        ; implicit-def: $vgpr68
	s_and_saveexec_b64 s[30:31], s[20:21]
	s_xor_b64 s[20:21], exec, s[30:31]
; %bb.11:                               ;   in Loop: Header=BB74_2 Depth=1
	ds_read_u8 v68, v65 offset:1
; %bb.12:                               ;   in Loop: Header=BB74_2 Depth=1
	s_or_saveexec_b64 s[20:21], s[20:21]
	v_mov_b32_e32 v69, v66
	s_xor_b64 exec, exec, s[20:21]
	s_cbranch_execz .LBB74_14
; %bb.13:                               ;   in Loop: Header=BB74_2 Depth=1
	ds_read_u8 v69, v67 offset:1
	s_waitcnt lgkmcnt(1)
	v_mov_b32_e32 v68, v64
.LBB74_14:                              ;   in Loop: Header=BB74_2 Depth=1
	s_or_b64 exec, exec, s[20:21]
	v_add_u32_e32 v70, 1, v65
	v_cndmask_b32_e64 v64, v64, v66, s[18:19]
	v_add_u32_e32 v66, 1, v67
	v_cndmask_b32_e64 v65, v70, v65, s[18:19]
	v_cndmask_b32_e64 v66, v67, v66, s[18:19]
	v_cmp_ge_i32_e64 s[18:19], v65, v6
	s_waitcnt lgkmcnt(0)
	v_cmp_lt_i16_sdwa s[20:21], sext(v69), sext(v68) src0_sel:BYTE_0 src1_sel:BYTE_0
	v_cndmask_b32_e64 v62, v62, v63, s[16:17]
	v_cmp_lt_i32_e64 s[16:17], v66, v7
	s_or_b64 s[18:19], s[18:19], s[20:21]
	s_and_b64 s[16:17], s[16:17], s[18:19]
	v_cndmask_b32_e64 v63, v68, v69, s[16:17]
	s_barrier
	ds_write_b8 v57, v62
	ds_write_b8 v57, v64 offset:1
	ds_write_b8 v57, v63 offset:2
	v_mov_b32_e32 v62, v36
	s_waitcnt lgkmcnt(0)
	s_barrier
	s_and_saveexec_b64 s[18:19], s[0:1]
	s_cbranch_execz .LBB74_18
; %bb.15:                               ;   in Loop: Header=BB74_2 Depth=1
	s_mov_b64 s[20:21], 0
	v_mov_b32_e32 v62, v36
	v_mov_b32_e32 v63, v18
.LBB74_16:                              ;   Parent Loop BB74_2 Depth=1
                                        ; =>  This Inner Loop Header: Depth=2
	v_sub_u32_e32 v64, v63, v62
	v_lshrrev_b32_e32 v64, 1, v64
	v_add_u32_e32 v64, v64, v62
	v_add_u32_e32 v65, v1, v64
	v_xad_u32 v66, v64, -1, v37
	ds_read_i8 v65, v65
	ds_read_i8 v66, v66 offset:6
	v_add_u32_e32 v67, 1, v64
	s_waitcnt lgkmcnt(0)
	v_cmp_lt_i16_e64 s[16:17], v66, v65
	v_cndmask_b32_e64 v63, v63, v64, s[16:17]
	v_cndmask_b32_e64 v62, v67, v62, s[16:17]
	v_cmp_ge_i32_e64 s[16:17], v62, v63
	s_or_b64 s[20:21], s[16:17], s[20:21]
	s_andn2_b64 exec, exec, s[20:21]
	s_cbranch_execnz .LBB74_16
; %bb.17:                               ;   in Loop: Header=BB74_2 Depth=1
	s_or_b64 exec, exec, s[20:21]
.LBB74_18:                              ;   in Loop: Header=BB74_2 Depth=1
	s_or_b64 exec, exec, s[18:19]
	v_add_u32_e32 v65, v62, v1
	v_sub_u32_e32 v68, v37, v62
	ds_read_u8 v63, v65
	ds_read_u8 v64, v68 offset:6
	v_sub_u32_e32 v67, v38, v62
	v_cmp_le_i32_e64 s[18:19], v8, v65
	v_cmp_gt_i32_e64 s[16:17], v9, v67
	s_waitcnt lgkmcnt(1)
	v_bfe_i32 v62, v63, 0, 8
	s_waitcnt lgkmcnt(0)
	v_bfe_i32 v63, v64, 0, 8
	v_cmp_lt_i16_e64 s[20:21], v63, v62
	s_or_b64 s[18:19], s[18:19], s[20:21]
	s_and_b64 s[16:17], s[16:17], s[18:19]
	s_xor_b64 s[18:19], s[16:17], -1
                                        ; implicit-def: $vgpr64
	s_and_saveexec_b64 s[20:21], s[18:19]
	s_xor_b64 s[18:19], exec, s[20:21]
; %bb.19:                               ;   in Loop: Header=BB74_2 Depth=1
	ds_read_u8 v64, v65 offset:1
                                        ; implicit-def: $vgpr68
; %bb.20:                               ;   in Loop: Header=BB74_2 Depth=1
	s_or_saveexec_b64 s[18:19], s[18:19]
	v_mov_b32_e32 v66, v63
	s_xor_b64 exec, exec, s[18:19]
	s_cbranch_execz .LBB74_22
; %bb.21:                               ;   in Loop: Header=BB74_2 Depth=1
	ds_read_u8 v66, v68 offset:7
	s_waitcnt lgkmcnt(1)
	v_mov_b32_e32 v64, v62
.LBB74_22:                              ;   in Loop: Header=BB74_2 Depth=1
	s_or_b64 exec, exec, s[18:19]
	v_add_u32_e32 v69, 1, v65
	v_add_u32_e32 v68, 1, v67
	v_cndmask_b32_e64 v65, v69, v65, s[16:17]
	v_cndmask_b32_e64 v67, v67, v68, s[16:17]
	v_cmp_ge_i32_e64 s[20:21], v65, v8
	s_waitcnt lgkmcnt(0)
	v_cmp_lt_i16_sdwa s[30:31], sext(v66), sext(v64) src0_sel:BYTE_0 src1_sel:BYTE_0
	v_cmp_lt_i32_e64 s[18:19], v67, v9
	s_or_b64 s[20:21], s[20:21], s[30:31]
	s_and_b64 s[18:19], s[18:19], s[20:21]
	s_xor_b64 s[20:21], s[18:19], -1
                                        ; implicit-def: $vgpr68
	s_and_saveexec_b64 s[30:31], s[20:21]
	s_xor_b64 s[20:21], exec, s[30:31]
; %bb.23:                               ;   in Loop: Header=BB74_2 Depth=1
	ds_read_u8 v68, v65 offset:1
; %bb.24:                               ;   in Loop: Header=BB74_2 Depth=1
	s_or_saveexec_b64 s[20:21], s[20:21]
	v_mov_b32_e32 v69, v66
	s_xor_b64 exec, exec, s[20:21]
	s_cbranch_execz .LBB74_26
; %bb.25:                               ;   in Loop: Header=BB74_2 Depth=1
	ds_read_u8 v69, v67 offset:1
	s_waitcnt lgkmcnt(1)
	v_mov_b32_e32 v68, v64
.LBB74_26:                              ;   in Loop: Header=BB74_2 Depth=1
	s_or_b64 exec, exec, s[20:21]
	v_add_u32_e32 v70, 1, v65
	v_cndmask_b32_e64 v64, v64, v66, s[18:19]
	v_add_u32_e32 v66, 1, v67
	v_cndmask_b32_e64 v65, v70, v65, s[18:19]
	v_cndmask_b32_e64 v66, v67, v66, s[18:19]
	v_cmp_ge_i32_e64 s[18:19], v65, v8
	s_waitcnt lgkmcnt(0)
	v_cmp_lt_i16_sdwa s[20:21], sext(v69), sext(v68) src0_sel:BYTE_0 src1_sel:BYTE_0
	v_cndmask_b32_e64 v62, v62, v63, s[16:17]
	v_cmp_lt_i32_e64 s[16:17], v66, v9
	s_or_b64 s[18:19], s[18:19], s[20:21]
	s_and_b64 s[16:17], s[16:17], s[18:19]
	v_cndmask_b32_e64 v63, v68, v69, s[16:17]
	s_barrier
	ds_write_b8 v57, v62
	ds_write_b8 v57, v64 offset:1
	ds_write_b8 v57, v63 offset:2
	v_mov_b32_e32 v62, v39
	s_waitcnt lgkmcnt(0)
	s_barrier
	s_and_saveexec_b64 s[18:19], s[2:3]
	s_cbranch_execz .LBB74_30
; %bb.27:                               ;   in Loop: Header=BB74_2 Depth=1
	s_mov_b64 s[20:21], 0
	v_mov_b32_e32 v62, v39
	v_mov_b32_e32 v63, v19
.LBB74_28:                              ;   Parent Loop BB74_2 Depth=1
                                        ; =>  This Inner Loop Header: Depth=2
	v_sub_u32_e32 v64, v63, v62
	v_lshrrev_b32_e32 v64, 1, v64
	v_add_u32_e32 v64, v64, v62
	v_add_u32_e32 v65, v2, v64
	v_xad_u32 v66, v64, -1, v40
	ds_read_i8 v65, v65
	ds_read_i8 v66, v66 offset:12
	v_add_u32_e32 v67, 1, v64
	s_waitcnt lgkmcnt(0)
	v_cmp_lt_i16_e64 s[16:17], v66, v65
	v_cndmask_b32_e64 v63, v63, v64, s[16:17]
	v_cndmask_b32_e64 v62, v67, v62, s[16:17]
	v_cmp_ge_i32_e64 s[16:17], v62, v63
	s_or_b64 s[20:21], s[16:17], s[20:21]
	s_andn2_b64 exec, exec, s[20:21]
	s_cbranch_execnz .LBB74_28
; %bb.29:                               ;   in Loop: Header=BB74_2 Depth=1
	s_or_b64 exec, exec, s[20:21]
.LBB74_30:                              ;   in Loop: Header=BB74_2 Depth=1
	s_or_b64 exec, exec, s[18:19]
	v_add_u32_e32 v65, v62, v2
	v_sub_u32_e32 v68, v40, v62
	ds_read_u8 v63, v65
	ds_read_u8 v64, v68 offset:12
	v_sub_u32_e32 v67, v41, v62
	v_cmp_le_i32_e64 s[18:19], v10, v65
	v_cmp_gt_i32_e64 s[16:17], v11, v67
	s_waitcnt lgkmcnt(1)
	v_bfe_i32 v62, v63, 0, 8
	s_waitcnt lgkmcnt(0)
	v_bfe_i32 v63, v64, 0, 8
	v_cmp_lt_i16_e64 s[20:21], v63, v62
	s_or_b64 s[18:19], s[18:19], s[20:21]
	s_and_b64 s[16:17], s[16:17], s[18:19]
	s_xor_b64 s[18:19], s[16:17], -1
                                        ; implicit-def: $vgpr64
	s_and_saveexec_b64 s[20:21], s[18:19]
	s_xor_b64 s[18:19], exec, s[20:21]
; %bb.31:                               ;   in Loop: Header=BB74_2 Depth=1
	ds_read_u8 v64, v65 offset:1
                                        ; implicit-def: $vgpr68
; %bb.32:                               ;   in Loop: Header=BB74_2 Depth=1
	s_or_saveexec_b64 s[18:19], s[18:19]
	v_mov_b32_e32 v66, v63
	s_xor_b64 exec, exec, s[18:19]
	s_cbranch_execz .LBB74_34
; %bb.33:                               ;   in Loop: Header=BB74_2 Depth=1
	ds_read_u8 v66, v68 offset:13
	s_waitcnt lgkmcnt(1)
	v_mov_b32_e32 v64, v62
.LBB74_34:                              ;   in Loop: Header=BB74_2 Depth=1
	s_or_b64 exec, exec, s[18:19]
	v_add_u32_e32 v69, 1, v65
	v_add_u32_e32 v68, 1, v67
	v_cndmask_b32_e64 v65, v69, v65, s[16:17]
	v_cndmask_b32_e64 v67, v67, v68, s[16:17]
	v_cmp_ge_i32_e64 s[20:21], v65, v10
	s_waitcnt lgkmcnt(0)
	v_cmp_lt_i16_sdwa s[30:31], sext(v66), sext(v64) src0_sel:BYTE_0 src1_sel:BYTE_0
	v_cmp_lt_i32_e64 s[18:19], v67, v11
	s_or_b64 s[20:21], s[20:21], s[30:31]
	s_and_b64 s[18:19], s[18:19], s[20:21]
	s_xor_b64 s[20:21], s[18:19], -1
                                        ; implicit-def: $vgpr68
	s_and_saveexec_b64 s[30:31], s[20:21]
	s_xor_b64 s[20:21], exec, s[30:31]
; %bb.35:                               ;   in Loop: Header=BB74_2 Depth=1
	ds_read_u8 v68, v65 offset:1
; %bb.36:                               ;   in Loop: Header=BB74_2 Depth=1
	s_or_saveexec_b64 s[20:21], s[20:21]
	v_mov_b32_e32 v69, v66
	s_xor_b64 exec, exec, s[20:21]
	s_cbranch_execz .LBB74_38
; %bb.37:                               ;   in Loop: Header=BB74_2 Depth=1
	ds_read_u8 v69, v67 offset:1
	s_waitcnt lgkmcnt(1)
	v_mov_b32_e32 v68, v64
.LBB74_38:                              ;   in Loop: Header=BB74_2 Depth=1
	s_or_b64 exec, exec, s[20:21]
	v_add_u32_e32 v70, 1, v65
	v_cndmask_b32_e64 v64, v64, v66, s[18:19]
	v_add_u32_e32 v66, 1, v67
	v_cndmask_b32_e64 v65, v70, v65, s[18:19]
	v_cndmask_b32_e64 v66, v67, v66, s[18:19]
	v_cmp_ge_i32_e64 s[18:19], v65, v10
	s_waitcnt lgkmcnt(0)
	v_cmp_lt_i16_sdwa s[20:21], sext(v69), sext(v68) src0_sel:BYTE_0 src1_sel:BYTE_0
	v_cndmask_b32_e64 v62, v62, v63, s[16:17]
	v_cmp_lt_i32_e64 s[16:17], v66, v11
	s_or_b64 s[18:19], s[18:19], s[20:21]
	s_and_b64 s[16:17], s[16:17], s[18:19]
	v_cndmask_b32_e64 v63, v68, v69, s[16:17]
	s_barrier
	ds_write_b8 v57, v62
	ds_write_b8 v57, v64 offset:1
	ds_write_b8 v57, v63 offset:2
	v_mov_b32_e32 v62, v42
	s_waitcnt lgkmcnt(0)
	s_barrier
	s_and_saveexec_b64 s[18:19], s[4:5]
	s_cbranch_execz .LBB74_42
; %bb.39:                               ;   in Loop: Header=BB74_2 Depth=1
	s_mov_b64 s[20:21], 0
	v_mov_b32_e32 v62, v42
	v_mov_b32_e32 v63, v20
.LBB74_40:                              ;   Parent Loop BB74_2 Depth=1
                                        ; =>  This Inner Loop Header: Depth=2
	v_sub_u32_e32 v64, v63, v62
	v_lshrrev_b32_e32 v64, 1, v64
	v_add_u32_e32 v64, v64, v62
	v_add_u32_e32 v65, v3, v64
	v_xad_u32 v66, v64, -1, v43
	ds_read_i8 v65, v65
	ds_read_i8 v66, v66 offset:24
	v_add_u32_e32 v67, 1, v64
	s_waitcnt lgkmcnt(0)
	v_cmp_lt_i16_e64 s[16:17], v66, v65
	v_cndmask_b32_e64 v63, v63, v64, s[16:17]
	v_cndmask_b32_e64 v62, v67, v62, s[16:17]
	v_cmp_ge_i32_e64 s[16:17], v62, v63
	s_or_b64 s[20:21], s[16:17], s[20:21]
	s_andn2_b64 exec, exec, s[20:21]
	s_cbranch_execnz .LBB74_40
; %bb.41:                               ;   in Loop: Header=BB74_2 Depth=1
	s_or_b64 exec, exec, s[20:21]
.LBB74_42:                              ;   in Loop: Header=BB74_2 Depth=1
	s_or_b64 exec, exec, s[18:19]
	v_add_u32_e32 v65, v62, v3
	v_sub_u32_e32 v68, v43, v62
	ds_read_u8 v63, v65
	ds_read_u8 v64, v68 offset:24
	v_sub_u32_e32 v67, v44, v62
	v_cmp_le_i32_e64 s[18:19], v13, v65
	v_cmp_gt_i32_e64 s[16:17], v12, v67
	s_waitcnt lgkmcnt(1)
	v_bfe_i32 v62, v63, 0, 8
	s_waitcnt lgkmcnt(0)
	v_bfe_i32 v63, v64, 0, 8
	v_cmp_lt_i16_e64 s[20:21], v63, v62
	s_or_b64 s[18:19], s[18:19], s[20:21]
	s_and_b64 s[16:17], s[16:17], s[18:19]
	s_xor_b64 s[18:19], s[16:17], -1
                                        ; implicit-def: $vgpr64
	s_and_saveexec_b64 s[20:21], s[18:19]
	s_xor_b64 s[18:19], exec, s[20:21]
; %bb.43:                               ;   in Loop: Header=BB74_2 Depth=1
	ds_read_u8 v64, v65 offset:1
                                        ; implicit-def: $vgpr68
; %bb.44:                               ;   in Loop: Header=BB74_2 Depth=1
	s_or_saveexec_b64 s[18:19], s[18:19]
	v_mov_b32_e32 v66, v63
	s_xor_b64 exec, exec, s[18:19]
	s_cbranch_execz .LBB74_46
; %bb.45:                               ;   in Loop: Header=BB74_2 Depth=1
	ds_read_u8 v66, v68 offset:25
	s_waitcnt lgkmcnt(1)
	v_mov_b32_e32 v64, v62
.LBB74_46:                              ;   in Loop: Header=BB74_2 Depth=1
	s_or_b64 exec, exec, s[18:19]
	v_add_u32_e32 v69, 1, v65
	v_add_u32_e32 v68, 1, v67
	v_cndmask_b32_e64 v65, v69, v65, s[16:17]
	v_cndmask_b32_e64 v67, v67, v68, s[16:17]
	v_cmp_ge_i32_e64 s[20:21], v65, v13
	s_waitcnt lgkmcnt(0)
	v_cmp_lt_i16_sdwa s[30:31], sext(v66), sext(v64) src0_sel:BYTE_0 src1_sel:BYTE_0
	v_cmp_lt_i32_e64 s[18:19], v67, v12
	s_or_b64 s[20:21], s[20:21], s[30:31]
	s_and_b64 s[18:19], s[18:19], s[20:21]
	s_xor_b64 s[20:21], s[18:19], -1
                                        ; implicit-def: $vgpr68
	s_and_saveexec_b64 s[30:31], s[20:21]
	s_xor_b64 s[20:21], exec, s[30:31]
; %bb.47:                               ;   in Loop: Header=BB74_2 Depth=1
	ds_read_u8 v68, v65 offset:1
; %bb.48:                               ;   in Loop: Header=BB74_2 Depth=1
	s_or_saveexec_b64 s[20:21], s[20:21]
	v_mov_b32_e32 v69, v66
	s_xor_b64 exec, exec, s[20:21]
	s_cbranch_execz .LBB74_50
; %bb.49:                               ;   in Loop: Header=BB74_2 Depth=1
	ds_read_u8 v69, v67 offset:1
	s_waitcnt lgkmcnt(1)
	v_mov_b32_e32 v68, v64
.LBB74_50:                              ;   in Loop: Header=BB74_2 Depth=1
	s_or_b64 exec, exec, s[20:21]
	v_add_u32_e32 v70, 1, v65
	v_cndmask_b32_e64 v64, v64, v66, s[18:19]
	v_add_u32_e32 v66, 1, v67
	v_cndmask_b32_e64 v65, v70, v65, s[18:19]
	v_cndmask_b32_e64 v66, v67, v66, s[18:19]
	v_cmp_ge_i32_e64 s[18:19], v65, v13
	s_waitcnt lgkmcnt(0)
	v_cmp_lt_i16_sdwa s[20:21], sext(v69), sext(v68) src0_sel:BYTE_0 src1_sel:BYTE_0
	v_cndmask_b32_e64 v62, v62, v63, s[16:17]
	v_cmp_lt_i32_e64 s[16:17], v66, v12
	s_or_b64 s[18:19], s[18:19], s[20:21]
	s_and_b64 s[16:17], s[16:17], s[18:19]
	v_cndmask_b32_e64 v63, v68, v69, s[16:17]
	s_barrier
	ds_write_b8 v57, v62
	ds_write_b8 v57, v64 offset:1
	ds_write_b8 v57, v63 offset:2
	v_mov_b32_e32 v62, v45
	s_waitcnt lgkmcnt(0)
	s_barrier
	s_and_saveexec_b64 s[18:19], s[6:7]
	s_cbranch_execz .LBB74_54
; %bb.51:                               ;   in Loop: Header=BB74_2 Depth=1
	s_mov_b64 s[20:21], 0
	v_mov_b32_e32 v62, v45
	v_mov_b32_e32 v63, v21
.LBB74_52:                              ;   Parent Loop BB74_2 Depth=1
                                        ; =>  This Inner Loop Header: Depth=2
	v_sub_u32_e32 v64, v63, v62
	v_lshrrev_b32_e32 v64, 1, v64
	v_add_u32_e32 v64, v64, v62
	v_add_u32_e32 v65, v4, v64
	v_xad_u32 v66, v64, -1, v46
	ds_read_i8 v65, v65
	ds_read_i8 v66, v66 offset:48
	v_add_u32_e32 v67, 1, v64
	s_waitcnt lgkmcnt(0)
	v_cmp_lt_i16_e64 s[16:17], v66, v65
	v_cndmask_b32_e64 v63, v63, v64, s[16:17]
	v_cndmask_b32_e64 v62, v67, v62, s[16:17]
	v_cmp_ge_i32_e64 s[16:17], v62, v63
	s_or_b64 s[20:21], s[16:17], s[20:21]
	s_andn2_b64 exec, exec, s[20:21]
	s_cbranch_execnz .LBB74_52
; %bb.53:                               ;   in Loop: Header=BB74_2 Depth=1
	s_or_b64 exec, exec, s[20:21]
.LBB74_54:                              ;   in Loop: Header=BB74_2 Depth=1
	s_or_b64 exec, exec, s[18:19]
	v_add_u32_e32 v65, v62, v4
	v_sub_u32_e32 v68, v46, v62
	ds_read_u8 v63, v65
	ds_read_u8 v64, v68 offset:48
	v_sub_u32_e32 v67, v47, v62
	v_cmp_le_i32_e64 s[18:19], v15, v65
	v_cmp_gt_i32_e64 s[16:17], v14, v67
	s_waitcnt lgkmcnt(1)
	v_bfe_i32 v62, v63, 0, 8
	s_waitcnt lgkmcnt(0)
	v_bfe_i32 v63, v64, 0, 8
	v_cmp_lt_i16_e64 s[20:21], v63, v62
	s_or_b64 s[18:19], s[18:19], s[20:21]
	s_and_b64 s[16:17], s[16:17], s[18:19]
	s_xor_b64 s[18:19], s[16:17], -1
                                        ; implicit-def: $vgpr64
	s_and_saveexec_b64 s[20:21], s[18:19]
	s_xor_b64 s[18:19], exec, s[20:21]
; %bb.55:                               ;   in Loop: Header=BB74_2 Depth=1
	ds_read_u8 v64, v65 offset:1
                                        ; implicit-def: $vgpr68
; %bb.56:                               ;   in Loop: Header=BB74_2 Depth=1
	s_or_saveexec_b64 s[18:19], s[18:19]
	v_mov_b32_e32 v66, v63
	s_xor_b64 exec, exec, s[18:19]
	s_cbranch_execz .LBB74_58
; %bb.57:                               ;   in Loop: Header=BB74_2 Depth=1
	ds_read_u8 v66, v68 offset:49
	s_waitcnt lgkmcnt(1)
	v_mov_b32_e32 v64, v62
.LBB74_58:                              ;   in Loop: Header=BB74_2 Depth=1
	s_or_b64 exec, exec, s[18:19]
	v_add_u32_e32 v69, 1, v65
	v_add_u32_e32 v68, 1, v67
	v_cndmask_b32_e64 v65, v69, v65, s[16:17]
	v_cndmask_b32_e64 v67, v67, v68, s[16:17]
	v_cmp_ge_i32_e64 s[20:21], v65, v15
	s_waitcnt lgkmcnt(0)
	v_cmp_lt_i16_sdwa s[30:31], sext(v66), sext(v64) src0_sel:BYTE_0 src1_sel:BYTE_0
	v_cmp_lt_i32_e64 s[18:19], v67, v14
	s_or_b64 s[20:21], s[20:21], s[30:31]
	s_and_b64 s[18:19], s[18:19], s[20:21]
	s_xor_b64 s[20:21], s[18:19], -1
                                        ; implicit-def: $vgpr68
	s_and_saveexec_b64 s[30:31], s[20:21]
	s_xor_b64 s[20:21], exec, s[30:31]
; %bb.59:                               ;   in Loop: Header=BB74_2 Depth=1
	ds_read_u8 v68, v65 offset:1
; %bb.60:                               ;   in Loop: Header=BB74_2 Depth=1
	s_or_saveexec_b64 s[20:21], s[20:21]
	v_mov_b32_e32 v69, v66
	s_xor_b64 exec, exec, s[20:21]
	s_cbranch_execz .LBB74_62
; %bb.61:                               ;   in Loop: Header=BB74_2 Depth=1
	ds_read_u8 v69, v67 offset:1
	s_waitcnt lgkmcnt(1)
	v_mov_b32_e32 v68, v64
.LBB74_62:                              ;   in Loop: Header=BB74_2 Depth=1
	s_or_b64 exec, exec, s[20:21]
	v_add_u32_e32 v70, 1, v65
	v_cndmask_b32_e64 v64, v64, v66, s[18:19]
	v_add_u32_e32 v66, 1, v67
	v_cndmask_b32_e64 v65, v70, v65, s[18:19]
	v_cndmask_b32_e64 v66, v67, v66, s[18:19]
	v_cmp_ge_i32_e64 s[18:19], v65, v15
	s_waitcnt lgkmcnt(0)
	v_cmp_lt_i16_sdwa s[20:21], sext(v69), sext(v68) src0_sel:BYTE_0 src1_sel:BYTE_0
	v_cndmask_b32_e64 v62, v62, v63, s[16:17]
	v_cmp_lt_i32_e64 s[16:17], v66, v14
	s_or_b64 s[18:19], s[18:19], s[20:21]
	s_and_b64 s[16:17], s[16:17], s[18:19]
	v_cndmask_b32_e64 v63, v68, v69, s[16:17]
	s_barrier
	ds_write_b8 v57, v62
	ds_write_b8 v57, v64 offset:1
	ds_write_b8 v57, v63 offset:2
	v_mov_b32_e32 v62, v48
	s_waitcnt lgkmcnt(0)
	s_barrier
	s_and_saveexec_b64 s[18:19], s[8:9]
	s_cbranch_execz .LBB74_66
; %bb.63:                               ;   in Loop: Header=BB74_2 Depth=1
	s_mov_b64 s[20:21], 0
	v_mov_b32_e32 v62, v48
	v_mov_b32_e32 v63, v22
.LBB74_64:                              ;   Parent Loop BB74_2 Depth=1
                                        ; =>  This Inner Loop Header: Depth=2
	v_sub_u32_e32 v64, v63, v62
	v_lshrrev_b32_e32 v64, 1, v64
	v_add_u32_e32 v64, v64, v62
	v_add_u32_e32 v65, v5, v64
	v_xad_u32 v66, v64, -1, v49
	ds_read_i8 v65, v65
	ds_read_i8 v66, v66 offset:96
	v_add_u32_e32 v67, 1, v64
	s_waitcnt lgkmcnt(0)
	v_cmp_lt_i16_e64 s[16:17], v66, v65
	v_cndmask_b32_e64 v63, v63, v64, s[16:17]
	v_cndmask_b32_e64 v62, v67, v62, s[16:17]
	v_cmp_ge_i32_e64 s[16:17], v62, v63
	s_or_b64 s[20:21], s[16:17], s[20:21]
	s_andn2_b64 exec, exec, s[20:21]
	s_cbranch_execnz .LBB74_64
; %bb.65:                               ;   in Loop: Header=BB74_2 Depth=1
	s_or_b64 exec, exec, s[20:21]
.LBB74_66:                              ;   in Loop: Header=BB74_2 Depth=1
	s_or_b64 exec, exec, s[18:19]
	v_add_u32_e32 v65, v62, v5
	v_sub_u32_e32 v68, v49, v62
	ds_read_u8 v63, v65
	ds_read_u8 v64, v68 offset:96
	v_sub_u32_e32 v67, v50, v62
	v_cmp_le_i32_e64 s[18:19], v17, v65
	v_cmp_gt_i32_e64 s[16:17], v16, v67
	s_waitcnt lgkmcnt(1)
	v_bfe_i32 v62, v63, 0, 8
	s_waitcnt lgkmcnt(0)
	v_bfe_i32 v63, v64, 0, 8
	v_cmp_lt_i16_e64 s[20:21], v63, v62
	s_or_b64 s[18:19], s[18:19], s[20:21]
	s_and_b64 s[16:17], s[16:17], s[18:19]
	s_xor_b64 s[18:19], s[16:17], -1
                                        ; implicit-def: $vgpr64
	s_and_saveexec_b64 s[20:21], s[18:19]
	s_xor_b64 s[18:19], exec, s[20:21]
; %bb.67:                               ;   in Loop: Header=BB74_2 Depth=1
	ds_read_u8 v64, v65 offset:1
                                        ; implicit-def: $vgpr68
; %bb.68:                               ;   in Loop: Header=BB74_2 Depth=1
	s_or_saveexec_b64 s[18:19], s[18:19]
	v_mov_b32_e32 v66, v63
	s_xor_b64 exec, exec, s[18:19]
	s_cbranch_execz .LBB74_70
; %bb.69:                               ;   in Loop: Header=BB74_2 Depth=1
	ds_read_u8 v66, v68 offset:97
	s_waitcnt lgkmcnt(1)
	v_mov_b32_e32 v64, v62
.LBB74_70:                              ;   in Loop: Header=BB74_2 Depth=1
	s_or_b64 exec, exec, s[18:19]
	v_add_u32_e32 v69, 1, v65
	v_add_u32_e32 v68, 1, v67
	v_cndmask_b32_e64 v65, v69, v65, s[16:17]
	v_cndmask_b32_e64 v67, v67, v68, s[16:17]
	v_cmp_ge_i32_e64 s[20:21], v65, v17
	s_waitcnt lgkmcnt(0)
	v_cmp_lt_i16_sdwa s[30:31], sext(v66), sext(v64) src0_sel:BYTE_0 src1_sel:BYTE_0
	v_cmp_lt_i32_e64 s[18:19], v67, v16
	s_or_b64 s[20:21], s[20:21], s[30:31]
	s_and_b64 s[18:19], s[18:19], s[20:21]
	s_xor_b64 s[20:21], s[18:19], -1
                                        ; implicit-def: $vgpr68
	s_and_saveexec_b64 s[30:31], s[20:21]
	s_xor_b64 s[20:21], exec, s[30:31]
; %bb.71:                               ;   in Loop: Header=BB74_2 Depth=1
	ds_read_u8 v68, v65 offset:1
; %bb.72:                               ;   in Loop: Header=BB74_2 Depth=1
	s_or_saveexec_b64 s[20:21], s[20:21]
	v_mov_b32_e32 v69, v66
	s_xor_b64 exec, exec, s[20:21]
	s_cbranch_execz .LBB74_74
; %bb.73:                               ;   in Loop: Header=BB74_2 Depth=1
	ds_read_u8 v69, v67 offset:1
	s_waitcnt lgkmcnt(1)
	v_mov_b32_e32 v68, v64
.LBB74_74:                              ;   in Loop: Header=BB74_2 Depth=1
	s_or_b64 exec, exec, s[20:21]
	v_add_u32_e32 v70, 1, v65
	v_cndmask_b32_e64 v64, v64, v66, s[18:19]
	v_add_u32_e32 v66, 1, v67
	v_cndmask_b32_e64 v65, v70, v65, s[18:19]
	v_cndmask_b32_e64 v66, v67, v66, s[18:19]
	v_cmp_ge_i32_e64 s[18:19], v65, v17
	s_waitcnt lgkmcnt(0)
	v_cmp_lt_i16_sdwa s[20:21], sext(v69), sext(v68) src0_sel:BYTE_0 src1_sel:BYTE_0
	v_cndmask_b32_e64 v62, v62, v63, s[16:17]
	v_cmp_lt_i32_e64 s[16:17], v66, v16
	s_or_b64 s[18:19], s[18:19], s[20:21]
	s_and_b64 s[16:17], s[16:17], s[18:19]
	v_cndmask_b32_e64 v63, v68, v69, s[16:17]
	s_barrier
	ds_write_b8 v57, v62
	ds_write_b8 v57, v64 offset:1
	ds_write_b8 v57, v63 offset:2
	v_mov_b32_e32 v62, v51
	s_waitcnt lgkmcnt(0)
	s_barrier
	s_and_saveexec_b64 s[18:19], s[10:11]
	s_cbranch_execz .LBB74_78
; %bb.75:                               ;   in Loop: Header=BB74_2 Depth=1
	s_mov_b64 s[20:21], 0
	v_mov_b32_e32 v62, v51
	v_mov_b32_e32 v63, v26
.LBB74_76:                              ;   Parent Loop BB74_2 Depth=1
                                        ; =>  This Inner Loop Header: Depth=2
	v_sub_u32_e32 v64, v63, v62
	v_lshrrev_b32_e32 v64, 1, v64
	v_add_u32_e32 v64, v64, v62
	v_add_u32_e32 v65, v25, v64
	v_xad_u32 v66, v64, -1, v52
	ds_read_i8 v65, v65
	ds_read_i8 v66, v66 offset:192
	v_add_u32_e32 v67, 1, v64
	s_waitcnt lgkmcnt(0)
	v_cmp_lt_i16_e64 s[16:17], v66, v65
	v_cndmask_b32_e64 v63, v63, v64, s[16:17]
	v_cndmask_b32_e64 v62, v67, v62, s[16:17]
	v_cmp_ge_i32_e64 s[16:17], v62, v63
	s_or_b64 s[20:21], s[16:17], s[20:21]
	s_andn2_b64 exec, exec, s[20:21]
	s_cbranch_execnz .LBB74_76
; %bb.77:                               ;   in Loop: Header=BB74_2 Depth=1
	s_or_b64 exec, exec, s[20:21]
.LBB74_78:                              ;   in Loop: Header=BB74_2 Depth=1
	s_or_b64 exec, exec, s[18:19]
	v_add_u32_e32 v65, v62, v25
	v_sub_u32_e32 v68, v52, v62
	ds_read_u8 v63, v65
	ds_read_u8 v64, v68 offset:192
	v_sub_u32_e32 v67, v53, v62
	v_cmp_le_i32_e64 s[18:19], v24, v65
	v_cmp_gt_i32_e64 s[16:17], v23, v67
	s_waitcnt lgkmcnt(1)
	v_bfe_i32 v62, v63, 0, 8
	s_waitcnt lgkmcnt(0)
	v_bfe_i32 v63, v64, 0, 8
	v_cmp_lt_i16_e64 s[20:21], v63, v62
	s_or_b64 s[18:19], s[18:19], s[20:21]
	s_and_b64 s[16:17], s[16:17], s[18:19]
	s_xor_b64 s[18:19], s[16:17], -1
                                        ; implicit-def: $vgpr64
	s_and_saveexec_b64 s[20:21], s[18:19]
	s_xor_b64 s[18:19], exec, s[20:21]
; %bb.79:                               ;   in Loop: Header=BB74_2 Depth=1
	ds_read_u8 v64, v65 offset:1
                                        ; implicit-def: $vgpr68
; %bb.80:                               ;   in Loop: Header=BB74_2 Depth=1
	s_or_saveexec_b64 s[18:19], s[18:19]
	v_mov_b32_e32 v66, v63
	s_xor_b64 exec, exec, s[18:19]
	s_cbranch_execz .LBB74_82
; %bb.81:                               ;   in Loop: Header=BB74_2 Depth=1
	ds_read_u8 v66, v68 offset:193
	s_waitcnt lgkmcnt(1)
	v_mov_b32_e32 v64, v62
.LBB74_82:                              ;   in Loop: Header=BB74_2 Depth=1
	s_or_b64 exec, exec, s[18:19]
	v_add_u32_e32 v69, 1, v65
	v_add_u32_e32 v68, 1, v67
	v_cndmask_b32_e64 v65, v69, v65, s[16:17]
	v_cndmask_b32_e64 v67, v67, v68, s[16:17]
	v_cmp_ge_i32_e64 s[20:21], v65, v24
	s_waitcnt lgkmcnt(0)
	v_cmp_lt_i16_sdwa s[30:31], sext(v66), sext(v64) src0_sel:BYTE_0 src1_sel:BYTE_0
	v_cmp_lt_i32_e64 s[18:19], v67, v23
	s_or_b64 s[20:21], s[20:21], s[30:31]
	s_and_b64 s[18:19], s[18:19], s[20:21]
	s_xor_b64 s[20:21], s[18:19], -1
                                        ; implicit-def: $vgpr68
	s_and_saveexec_b64 s[30:31], s[20:21]
	s_xor_b64 s[20:21], exec, s[30:31]
; %bb.83:                               ;   in Loop: Header=BB74_2 Depth=1
	ds_read_u8 v68, v65 offset:1
; %bb.84:                               ;   in Loop: Header=BB74_2 Depth=1
	s_or_saveexec_b64 s[20:21], s[20:21]
	v_mov_b32_e32 v69, v66
	s_xor_b64 exec, exec, s[20:21]
	s_cbranch_execz .LBB74_86
; %bb.85:                               ;   in Loop: Header=BB74_2 Depth=1
	ds_read_u8 v69, v67 offset:1
	s_waitcnt lgkmcnt(1)
	v_mov_b32_e32 v68, v64
.LBB74_86:                              ;   in Loop: Header=BB74_2 Depth=1
	s_or_b64 exec, exec, s[20:21]
	v_add_u32_e32 v70, 1, v65
	v_cndmask_b32_e64 v64, v64, v66, s[18:19]
	v_add_u32_e32 v66, 1, v67
	v_cndmask_b32_e64 v65, v70, v65, s[18:19]
	v_cndmask_b32_e64 v66, v67, v66, s[18:19]
	v_cmp_ge_i32_e64 s[18:19], v65, v24
	s_waitcnt lgkmcnt(0)
	v_cmp_lt_i16_sdwa s[20:21], sext(v69), sext(v68) src0_sel:BYTE_0 src1_sel:BYTE_0
	v_cndmask_b32_e64 v62, v62, v63, s[16:17]
	v_cmp_lt_i32_e64 s[16:17], v66, v23
	s_or_b64 s[18:19], s[18:19], s[20:21]
	s_and_b64 s[16:17], s[16:17], s[18:19]
	v_cndmask_b32_e64 v63, v68, v69, s[16:17]
	s_barrier
	ds_write_b8 v57, v62
	ds_write_b8 v57, v64 offset:1
	ds_write_b8 v57, v63 offset:2
	v_mov_b32_e32 v62, v54
	s_waitcnt lgkmcnt(0)
	s_barrier
	s_and_saveexec_b64 s[18:19], s[12:13]
	s_cbranch_execz .LBB74_90
; %bb.87:                               ;   in Loop: Header=BB74_2 Depth=1
	s_mov_b64 s[20:21], 0
	v_mov_b32_e32 v62, v54
	v_mov_b32_e32 v63, v30
.LBB74_88:                              ;   Parent Loop BB74_2 Depth=1
                                        ; =>  This Inner Loop Header: Depth=2
	v_sub_u32_e32 v64, v63, v62
	v_lshrrev_b32_e32 v64, 1, v64
	v_add_u32_e32 v64, v64, v62
	v_add_u32_e32 v65, v29, v64
	v_xad_u32 v66, v64, -1, v55
	ds_read_i8 v65, v65
	ds_read_i8 v66, v66 offset:384
	v_add_u32_e32 v67, 1, v64
	s_waitcnt lgkmcnt(0)
	v_cmp_lt_i16_e64 s[16:17], v66, v65
	v_cndmask_b32_e64 v63, v63, v64, s[16:17]
	v_cndmask_b32_e64 v62, v67, v62, s[16:17]
	v_cmp_ge_i32_e64 s[16:17], v62, v63
	s_or_b64 s[20:21], s[16:17], s[20:21]
	s_andn2_b64 exec, exec, s[20:21]
	s_cbranch_execnz .LBB74_88
; %bb.89:                               ;   in Loop: Header=BB74_2 Depth=1
	s_or_b64 exec, exec, s[20:21]
.LBB74_90:                              ;   in Loop: Header=BB74_2 Depth=1
	s_or_b64 exec, exec, s[18:19]
	v_add_u32_e32 v65, v62, v29
	v_sub_u32_e32 v68, v55, v62
	ds_read_u8 v63, v65
	ds_read_u8 v64, v68 offset:384
	v_sub_u32_e32 v67, v56, v62
	v_cmp_le_i32_e64 s[18:19], v28, v65
	v_cmp_gt_i32_e64 s[16:17], v27, v67
	s_waitcnt lgkmcnt(1)
	v_bfe_i32 v62, v63, 0, 8
	s_waitcnt lgkmcnt(0)
	v_bfe_i32 v63, v64, 0, 8
	v_cmp_lt_i16_e64 s[20:21], v63, v62
	s_or_b64 s[18:19], s[18:19], s[20:21]
	s_and_b64 s[16:17], s[16:17], s[18:19]
	s_xor_b64 s[18:19], s[16:17], -1
                                        ; implicit-def: $vgpr64
	s_and_saveexec_b64 s[20:21], s[18:19]
	s_xor_b64 s[18:19], exec, s[20:21]
; %bb.91:                               ;   in Loop: Header=BB74_2 Depth=1
	ds_read_u8 v64, v65 offset:1
                                        ; implicit-def: $vgpr68
; %bb.92:                               ;   in Loop: Header=BB74_2 Depth=1
	s_or_saveexec_b64 s[18:19], s[18:19]
	v_mov_b32_e32 v66, v63
	s_xor_b64 exec, exec, s[18:19]
	s_cbranch_execz .LBB74_94
; %bb.93:                               ;   in Loop: Header=BB74_2 Depth=1
	ds_read_u8 v66, v68 offset:385
	s_waitcnt lgkmcnt(1)
	v_mov_b32_e32 v64, v62
.LBB74_94:                              ;   in Loop: Header=BB74_2 Depth=1
	s_or_b64 exec, exec, s[18:19]
	v_add_u32_e32 v69, 1, v65
	v_add_u32_e32 v68, 1, v67
	v_cndmask_b32_e64 v65, v69, v65, s[16:17]
	v_cndmask_b32_e64 v67, v67, v68, s[16:17]
	v_cmp_ge_i32_e64 s[20:21], v65, v28
	s_waitcnt lgkmcnt(0)
	v_cmp_lt_i16_sdwa s[30:31], sext(v66), sext(v64) src0_sel:BYTE_0 src1_sel:BYTE_0
	v_cmp_lt_i32_e64 s[18:19], v67, v27
	s_or_b64 s[20:21], s[20:21], s[30:31]
	s_and_b64 s[18:19], s[18:19], s[20:21]
	s_xor_b64 s[20:21], s[18:19], -1
                                        ; implicit-def: $vgpr68
	s_and_saveexec_b64 s[30:31], s[20:21]
	s_xor_b64 s[20:21], exec, s[30:31]
; %bb.95:                               ;   in Loop: Header=BB74_2 Depth=1
	ds_read_u8 v68, v65 offset:1
; %bb.96:                               ;   in Loop: Header=BB74_2 Depth=1
	s_or_saveexec_b64 s[20:21], s[20:21]
	v_mov_b32_e32 v69, v66
	s_xor_b64 exec, exec, s[20:21]
	s_cbranch_execz .LBB74_98
; %bb.97:                               ;   in Loop: Header=BB74_2 Depth=1
	ds_read_u8 v69, v67 offset:1
	s_waitcnt lgkmcnt(1)
	v_mov_b32_e32 v68, v64
.LBB74_98:                              ;   in Loop: Header=BB74_2 Depth=1
	s_or_b64 exec, exec, s[20:21]
	v_add_u32_e32 v70, 1, v65
	v_cndmask_b32_e64 v64, v64, v66, s[18:19]
	v_add_u32_e32 v66, 1, v67
	v_cndmask_b32_e64 v65, v70, v65, s[18:19]
	v_cndmask_b32_e64 v66, v67, v66, s[18:19]
	v_cmp_ge_i32_e64 s[18:19], v65, v28
	s_waitcnt lgkmcnt(0)
	v_cmp_lt_i16_sdwa s[20:21], sext(v69), sext(v68) src0_sel:BYTE_0 src1_sel:BYTE_0
	v_cndmask_b32_e64 v62, v62, v63, s[16:17]
	v_cmp_lt_i32_e64 s[16:17], v66, v27
	s_or_b64 s[18:19], s[18:19], s[20:21]
	s_and_b64 s[16:17], s[16:17], s[18:19]
	v_cndmask_b32_e64 v63, v68, v69, s[16:17]
	s_barrier
	ds_write_b8 v57, v62
	ds_write_b8 v57, v64 offset:1
	ds_write_b8 v57, v63 offset:2
	v_mov_b32_e32 v63, v59
	s_waitcnt lgkmcnt(0)
	s_barrier
	s_and_saveexec_b64 s[18:19], s[14:15]
	s_cbranch_execz .LBB74_102
; %bb.99:                               ;   in Loop: Header=BB74_2 Depth=1
	s_mov_b64 s[20:21], 0
	v_mov_b32_e32 v63, v59
	v_mov_b32_e32 v62, v60
.LBB74_100:                             ;   Parent Loop BB74_2 Depth=1
                                        ; =>  This Inner Loop Header: Depth=2
	v_sub_u32_e32 v64, v62, v63
	v_lshrrev_b32_e32 v64, 1, v64
	v_add_u32_e32 v64, v64, v63
	v_xad_u32 v65, v64, -1, v57
	ds_read_i8 v66, v64
	ds_read_i8 v65, v65 offset:768
	v_add_u32_e32 v67, 1, v64
	s_waitcnt lgkmcnt(0)
	v_cmp_lt_i16_e64 s[16:17], v65, v66
	v_cndmask_b32_e64 v62, v62, v64, s[16:17]
	v_cndmask_b32_e64 v63, v67, v63, s[16:17]
	v_cmp_ge_i32_e64 s[16:17], v63, v62
	s_or_b64 s[20:21], s[16:17], s[20:21]
	s_andn2_b64 exec, exec, s[20:21]
	s_cbranch_execnz .LBB74_100
; %bb.101:                              ;   in Loop: Header=BB74_2 Depth=1
	s_or_b64 exec, exec, s[20:21]
.LBB74_102:                             ;   in Loop: Header=BB74_2 Depth=1
	s_or_b64 exec, exec, s[18:19]
	v_sub_u32_e32 v68, v57, v63
	ds_read_u8 v62, v63
	ds_read_u8 v64, v68 offset:768
	v_sub_u32_e32 v67, v61, v63
	v_cmp_le_i32_e64 s[18:19], v58, v63
	v_cmp_gt_i32_e64 s[16:17], s25, v67
	s_waitcnt lgkmcnt(1)
	v_bfe_i32 v62, v62, 0, 8
	s_waitcnt lgkmcnt(0)
	v_bfe_i32 v64, v64, 0, 8
	v_cmp_lt_i16_e64 s[20:21], v64, v62
	s_or_b64 s[18:19], s[18:19], s[20:21]
	s_and_b64 s[16:17], s[16:17], s[18:19]
	s_xor_b64 s[18:19], s[16:17], -1
                                        ; implicit-def: $vgpr65
	s_and_saveexec_b64 s[20:21], s[18:19]
	s_xor_b64 s[18:19], exec, s[20:21]
; %bb.103:                              ;   in Loop: Header=BB74_2 Depth=1
	ds_read_u8 v65, v63 offset:1
                                        ; implicit-def: $vgpr68
; %bb.104:                              ;   in Loop: Header=BB74_2 Depth=1
	s_or_saveexec_b64 s[18:19], s[18:19]
	v_mov_b32_e32 v66, v64
	s_xor_b64 exec, exec, s[18:19]
	s_cbranch_execz .LBB74_106
; %bb.105:                              ;   in Loop: Header=BB74_2 Depth=1
	ds_read_u8 v66, v68 offset:769
	s_waitcnt lgkmcnt(1)
	v_mov_b32_e32 v65, v62
.LBB74_106:                             ;   in Loop: Header=BB74_2 Depth=1
	s_or_b64 exec, exec, s[18:19]
	v_add_u32_e32 v69, 1, v63
	v_add_u32_e32 v68, 1, v67
	v_cndmask_b32_e64 v69, v69, v63, s[16:17]
	v_cndmask_b32_e64 v67, v67, v68, s[16:17]
	v_cmp_ge_i32_e64 s[20:21], v69, v58
	s_waitcnt lgkmcnt(0)
	v_cmp_lt_i16_sdwa s[30:31], sext(v66), sext(v65) src0_sel:BYTE_0 src1_sel:BYTE_0
	v_cmp_gt_i32_e64 s[18:19], s25, v67
	s_or_b64 s[20:21], s[20:21], s[30:31]
	s_and_b64 s[18:19], s[18:19], s[20:21]
	s_xor_b64 s[20:21], s[18:19], -1
                                        ; implicit-def: $vgpr63
                                        ; implicit-def: $vgpr68
	s_and_saveexec_b64 s[30:31], s[20:21]
	s_xor_b64 s[20:21], exec, s[30:31]
; %bb.107:                              ;   in Loop: Header=BB74_2 Depth=1
	ds_read_u8 v63, v69 offset:1
	v_add_u32_e32 v68, 1, v69
                                        ; implicit-def: $vgpr69
; %bb.108:                              ;   in Loop: Header=BB74_2 Depth=1
	s_or_saveexec_b64 s[20:21], s[20:21]
	v_mov_b32_e32 v70, v66
	s_xor_b64 exec, exec, s[20:21]
	s_cbranch_execz .LBB74_1
; %bb.109:                              ;   in Loop: Header=BB74_2 Depth=1
	ds_read_u8 v70, v67 offset:1
	v_add_u32_e32 v67, 1, v67
	v_mov_b32_e32 v68, v69
	s_waitcnt lgkmcnt(1)
	v_mov_b32_e32 v63, v65
	s_branch .LBB74_1
.LBB74_110:
	s_add_u32 s0, s22, s24
	s_addc_u32 s1, s23, 0
	v_mov_b32_e32 v1, s1
	v_add_co_u32_e32 v0, vcc, s0, v0
	v_addc_co_u32_e32 v1, vcc, 0, v1, vcc
	global_store_byte v[0:1], v64, off
	global_store_byte v[0:1], v65, off offset:512
	global_store_byte v[0:1], v63, off offset:1024
	s_endpgm
	.section	.rodata,"a",@progbits
	.p2align	6, 0x0
	.amdhsa_kernel _Z16sort_keys_kernelIaLj512ELj3EN10test_utils4lessELj10EEvPKT_PS2_T2_
		.amdhsa_group_segment_fixed_size 1537
		.amdhsa_private_segment_fixed_size 0
		.amdhsa_kernarg_size 20
		.amdhsa_user_sgpr_count 6
		.amdhsa_user_sgpr_private_segment_buffer 1
		.amdhsa_user_sgpr_dispatch_ptr 0
		.amdhsa_user_sgpr_queue_ptr 0
		.amdhsa_user_sgpr_kernarg_segment_ptr 1
		.amdhsa_user_sgpr_dispatch_id 0
		.amdhsa_user_sgpr_flat_scratch_init 0
		.amdhsa_user_sgpr_private_segment_size 0
		.amdhsa_uses_dynamic_stack 0
		.amdhsa_system_sgpr_private_segment_wavefront_offset 0
		.amdhsa_system_sgpr_workgroup_id_x 1
		.amdhsa_system_sgpr_workgroup_id_y 0
		.amdhsa_system_sgpr_workgroup_id_z 0
		.amdhsa_system_sgpr_workgroup_info 0
		.amdhsa_system_vgpr_workitem_id 0
		.amdhsa_next_free_vgpr 72
		.amdhsa_next_free_sgpr 32
		.amdhsa_reserve_vcc 1
		.amdhsa_reserve_flat_scratch 0
		.amdhsa_float_round_mode_32 0
		.amdhsa_float_round_mode_16_64 0
		.amdhsa_float_denorm_mode_32 3
		.amdhsa_float_denorm_mode_16_64 3
		.amdhsa_dx10_clamp 1
		.amdhsa_ieee_mode 1
		.amdhsa_fp16_overflow 0
		.amdhsa_exception_fp_ieee_invalid_op 0
		.amdhsa_exception_fp_denorm_src 0
		.amdhsa_exception_fp_ieee_div_zero 0
		.amdhsa_exception_fp_ieee_overflow 0
		.amdhsa_exception_fp_ieee_underflow 0
		.amdhsa_exception_fp_ieee_inexact 0
		.amdhsa_exception_int_div_zero 0
	.end_amdhsa_kernel
	.section	.text._Z16sort_keys_kernelIaLj512ELj3EN10test_utils4lessELj10EEvPKT_PS2_T2_,"axG",@progbits,_Z16sort_keys_kernelIaLj512ELj3EN10test_utils4lessELj10EEvPKT_PS2_T2_,comdat
.Lfunc_end74:
	.size	_Z16sort_keys_kernelIaLj512ELj3EN10test_utils4lessELj10EEvPKT_PS2_T2_, .Lfunc_end74-_Z16sort_keys_kernelIaLj512ELj3EN10test_utils4lessELj10EEvPKT_PS2_T2_
                                        ; -- End function
	.set _Z16sort_keys_kernelIaLj512ELj3EN10test_utils4lessELj10EEvPKT_PS2_T2_.num_vgpr, 72
	.set _Z16sort_keys_kernelIaLj512ELj3EN10test_utils4lessELj10EEvPKT_PS2_T2_.num_agpr, 0
	.set _Z16sort_keys_kernelIaLj512ELj3EN10test_utils4lessELj10EEvPKT_PS2_T2_.numbered_sgpr, 32
	.set _Z16sort_keys_kernelIaLj512ELj3EN10test_utils4lessELj10EEvPKT_PS2_T2_.num_named_barrier, 0
	.set _Z16sort_keys_kernelIaLj512ELj3EN10test_utils4lessELj10EEvPKT_PS2_T2_.private_seg_size, 0
	.set _Z16sort_keys_kernelIaLj512ELj3EN10test_utils4lessELj10EEvPKT_PS2_T2_.uses_vcc, 1
	.set _Z16sort_keys_kernelIaLj512ELj3EN10test_utils4lessELj10EEvPKT_PS2_T2_.uses_flat_scratch, 0
	.set _Z16sort_keys_kernelIaLj512ELj3EN10test_utils4lessELj10EEvPKT_PS2_T2_.has_dyn_sized_stack, 0
	.set _Z16sort_keys_kernelIaLj512ELj3EN10test_utils4lessELj10EEvPKT_PS2_T2_.has_recursion, 0
	.set _Z16sort_keys_kernelIaLj512ELj3EN10test_utils4lessELj10EEvPKT_PS2_T2_.has_indirect_call, 0
	.section	.AMDGPU.csdata,"",@progbits
; Kernel info:
; codeLenInByte = 5752
; TotalNumSgprs: 36
; NumVgprs: 72
; ScratchSize: 0
; MemoryBound: 0
; FloatMode: 240
; IeeeMode: 1
; LDSByteSize: 1537 bytes/workgroup (compile time only)
; SGPRBlocks: 4
; VGPRBlocks: 17
; NumSGPRsForWavesPerEU: 36
; NumVGPRsForWavesPerEU: 72
; Occupancy: 3
; WaveLimiterHint : 1
; COMPUTE_PGM_RSRC2:SCRATCH_EN: 0
; COMPUTE_PGM_RSRC2:USER_SGPR: 6
; COMPUTE_PGM_RSRC2:TRAP_HANDLER: 0
; COMPUTE_PGM_RSRC2:TGID_X_EN: 1
; COMPUTE_PGM_RSRC2:TGID_Y_EN: 0
; COMPUTE_PGM_RSRC2:TGID_Z_EN: 0
; COMPUTE_PGM_RSRC2:TIDIG_COMP_CNT: 0
	.section	.text._Z17sort_pairs_kernelIaLj512ELj3EN10test_utils4lessELj10EEvPKT_PS2_T2_,"axG",@progbits,_Z17sort_pairs_kernelIaLj512ELj3EN10test_utils4lessELj10EEvPKT_PS2_T2_,comdat
	.protected	_Z17sort_pairs_kernelIaLj512ELj3EN10test_utils4lessELj10EEvPKT_PS2_T2_ ; -- Begin function _Z17sort_pairs_kernelIaLj512ELj3EN10test_utils4lessELj10EEvPKT_PS2_T2_
	.globl	_Z17sort_pairs_kernelIaLj512ELj3EN10test_utils4lessELj10EEvPKT_PS2_T2_
	.p2align	8
	.type	_Z17sort_pairs_kernelIaLj512ELj3EN10test_utils4lessELj10EEvPKT_PS2_T2_,@function
_Z17sort_pairs_kernelIaLj512ELj3EN10test_utils4lessELj10EEvPKT_PS2_T2_: ; @_Z17sort_pairs_kernelIaLj512ELj3EN10test_utils4lessELj10EEvPKT_PS2_T2_
; %bb.0:
	s_load_dwordx4 s[28:31], s[4:5], 0x0
	s_mul_i32 s33, s6, 0x600
	v_and_b32_e32 v1, 0x1fc, v0
	v_and_b32_e32 v2, 0x1f8, v0
	;; [unrolled: 1-line block ×3, first 2 shown]
	s_waitcnt lgkmcnt(0)
	s_add_u32 s0, s28, s33
	s_addc_u32 s1, s29, 0
	global_load_ubyte v31, v0, s[0:1]
	global_load_ubyte v32, v0, s[0:1] offset:512
	global_load_ubyte v33, v0, s[0:1] offset:1024
	s_mov_b32 s28, 0xc0c0004
	v_and_b32_e32 v4, 0x1e0, v0
	v_and_b32_e32 v5, 0x1c0, v0
	;; [unrolled: 1-line block ×4, first 2 shown]
	v_mul_u32_u24_e32 v7, 3, v1
	v_mul_u32_u24_e32 v2, 3, v2
	;; [unrolled: 1-line block ×7, first 2 shown]
	v_and_b32_e32 v30, 1, v0
	v_min_u32_e32 v1, 0x600, v7
	v_min_u32_e32 v37, 0x5fa, v7
	;; [unrolled: 1-line block ×15, first 2 shown]
	v_and_b32_e32 v38, 3, v0
	v_and_b32_e32 v41, 7, v0
	;; [unrolled: 1-line block ×6, first 2 shown]
	v_add_u32_e32 v6, 6, v37
	v_add_u32_e32 v7, 12, v7
	;; [unrolled: 1-line block ×12, first 2 shown]
	v_and_b32_e32 v70, 0xff, v0
	v_add_u32_e32 v29, 6, v29
	v_cmp_eq_u32_e32 vcc, 1, v30
	v_add_u32_e32 v30, 3, v75
	v_mul_u32_u24_e32 v36, 3, v38
	v_mul_u32_u24_e32 v39, 3, v41
	;; [unrolled: 1-line block ×6, first 2 shown]
	v_min_u32_e32 v2, 0x600, v2
	v_min_u32_e32 v3, 0x600, v3
	;; [unrolled: 1-line block ×4, first 2 shown]
	v_sub_u32_e32 v54, v7, v6
	v_sub_u32_e32 v55, v9, v8
	;; [unrolled: 1-line block ×6, first 2 shown]
	v_min_u32_e32 v23, 0x600, v23
	v_mul_u32_u24_e32 v71, 3, v70
	v_cndmask_b32_e64 v35, 0, 3, vcc
	v_sub_u32_e32 v76, v29, v30
	v_sub_u32_e32 v18, v6, v1
	;; [unrolled: 1-line block ×8, first 2 shown]
	s_waitcnt vmcnt(2)
	v_add_u16_e32 v63, 1, v31
	s_waitcnt vmcnt(1)
	v_perm_b32 v24, v31, v32, s28
	s_waitcnt vmcnt(0)
	v_lshlrev_b32_e32 v25, 16, v33
	v_or_b32_e32 v65, v24, v25
	v_and_b32_e32 v25, 0x100, v0
	v_mul_u32_u24_e32 v27, 3, v25
	v_min_u32_e32 v25, 0x300, v27
	v_min_u32_e32 v72, 0x480, v27
	v_add_u32_e32 v25, 0x300, v25
	v_add_u32_e32 v26, 0x180, v72
	v_sub_u32_e32 v73, v25, v26
	v_min_u32_e32 v27, 0x600, v27
	v_min_u32_e32 v31, 0x600, v34
	v_sub_u32_e32 v66, v42, v56
	v_sub_u32_e32 v67, v45, v57
	;; [unrolled: 1-line block ×8, first 2 shown]
	v_add_u16_e32 v62, 1, v33
	v_cmp_ge_i32_e32 vcc, v35, v76
	v_sub_u32_e32 v33, v30, v31
	v_cmp_ge_i32_e64 s[0:1], v36, v54
	v_cmp_ge_i32_e64 s[2:3], v39, v55
	;; [unrolled: 1-line block ×7, first 2 shown]
	v_mul_u32_u24_e32 v57, 3, v0
	v_mov_b32_e32 v58, 0x300
	v_min_i32_e32 v18, v36, v18
	v_min_i32_e32 v19, v39, v19
	;; [unrolled: 1-line block ×7, first 2 shown]
	v_add_u16_e32 v64, 1, v32
	v_cndmask_b32_e32 v32, 0, v77, vcc
	v_min_i32_e32 v33, v35, v33
	v_cndmask_b32_e64 v36, 0, v60, s[0:1]
	v_cndmask_b32_e64 v39, 0, v61, s[2:3]
	v_cndmask_b32_e64 v42, 0, v66, s[4:5]
	v_cndmask_b32_e64 v45, 0, v67, s[6:7]
	v_cndmask_b32_e64 v48, 0, v68, s[8:9]
	v_cndmask_b32_e64 v51, 0, v69, s[10:11]
	v_cndmask_b32_e64 v54, 0, v74, s[12:13]
	v_sub_u32_e64 v59, v57, v58 clamp
	v_min_i32_e32 v60, 0x300, v57
	s_movk_i32 s29, 0x600
	s_mov_b32 s34, 0
	v_cmp_lt_i32_e32 vcc, v32, v33
	v_add_u32_e32 v34, v75, v35
	v_add_u32_e32 v35, v30, v35
	v_cmp_lt_i32_e64 s[0:1], v36, v18
	v_mad_u32_u24 v37, v38, 3, v37
	v_mad_u32_u24 v38, v38, 3, v6
	v_cmp_lt_i32_e64 s[2:3], v39, v19
	v_mad_u32_u24 v40, v41, 3, v40
	v_mad_u32_u24 v41, v41, 3, v8
	;; [unrolled: 3-line block ×7, first 2 shown]
	v_cmp_lt_i32_e64 s[14:15], v59, v60
	s_mov_b32 s35, 0x7060405
	s_mov_b32 s36, 0x7000604
	;; [unrolled: 1-line block ×5, first 2 shown]
	v_mad_u32_u24 v61, v0, 3, v58
	s_branch .LBB75_2
.LBB75_1:                               ;   in Loop: Header=BB75_2 Depth=1
	s_or_b64 exec, exec, s[20:21]
	v_cndmask_b32_e64 v67, v67, v68, s[16:17]
	v_cndmask_b32_e64 v68, v69, v70, s[18:19]
	v_cmp_ge_i32_e64 s[18:19], v72, v58
	s_waitcnt lgkmcnt(0)
	v_cmp_lt_i16_sdwa s[20:21], sext(v76), sext(v74) src0_sel:BYTE_0 src1_sel:BYTE_0
	v_cndmask_b32_e64 v65, v65, v66, s[16:17]
	v_cmp_gt_i32_e64 s[16:17], s29, v71
	s_or_b64 s[18:19], s[18:19], s[20:21]
	s_and_b64 s[16:17], s[16:17], s[18:19]
	v_cndmask_b32_e64 v71, v72, v71, s[16:17]
	s_barrier
	ds_write_b8 v57, v62
	ds_write_b8 v57, v64 offset:1
	ds_write_b8 v57, v63 offset:2
	s_waitcnt lgkmcnt(0)
	s_barrier
	ds_read_u8 v63, v65
	ds_read_u8 v64, v73
	ds_read_u8 v62, v71
	v_cndmask_b32_e64 v66, v74, v76, s[16:17]
	v_lshlrev_b16_e32 v69, 8, v68
	v_and_b32_e32 v70, 0xff, v66
	v_or_b32_sdwa v69, v67, v69 dst_sel:DWORD dst_unused:UNUSED_PAD src0_sel:BYTE_0 src1_sel:DWORD
	v_lshlrev_b32_e32 v65, 16, v70
	s_add_i32 s34, s34, 1
	s_cmp_eq_u32 s34, 10
	v_or_b32_sdwa v65, v69, v65 dst_sel:DWORD dst_unused:UNUSED_PAD src0_sel:WORD_0 src1_sel:DWORD
	s_cbranch_scc1 .LBB75_110
.LBB75_2:                               ; =>This Loop Header: Depth=1
                                        ;     Child Loop BB75_4 Depth 2
                                        ;     Child Loop BB75_16 Depth 2
	;; [unrolled: 1-line block ×9, first 2 shown]
	v_lshrrev_b32_e32 v67, 8, v65
	v_perm_b32 v66, v65, v65, s35
	v_cmp_lt_i16_sdwa s[16:17], sext(v67), sext(v65) src0_sel:BYTE_0 src1_sel:BYTE_0
	v_cndmask_b32_e64 v66, v65, v66, s[16:17]
	v_lshrrev_b32_e32 v68, 16, v66
	v_max_i16_sdwa v65, sext(v67), sext(v65) dst_sel:DWORD dst_unused:UNUSED_PAD src0_sel:BYTE_0 src1_sel:BYTE_0
	v_perm_b32 v67, v66, v65, s36
	v_cmp_lt_i16_sdwa s[18:19], sext(v68), v65 src0_sel:BYTE_0 src1_sel:DWORD
	v_cndmask_b32_e64 v66, v66, v67, s[18:19]
	v_lshlrev_b16_e32 v67, 8, v66
	v_min_i16_sdwa v65, sext(v68), v65 dst_sel:DWORD dst_unused:UNUSED_PAD src0_sel:BYTE_0 src1_sel:DWORD
	v_or_b32_sdwa v67, v65, v67 dst_sel:DWORD dst_unused:UNUSED_PAD src0_sel:BYTE_0 src1_sel:DWORD
	v_and_b32_e32 v67, 0xffff, v67
	v_and_or_b32 v67, v66, s37, v67
	v_cmp_lt_i16_sdwa s[20:21], v65, sext(v66) src0_sel:DWORD src1_sel:BYTE_0
	v_cndmask_b32_e64 v65, v66, v67, s[20:21]
	v_lshrrev_b32_e32 v66, 8, v65
	s_waitcnt lgkmcnt(0)
	s_barrier
	ds_write_b8 v57, v65
	ds_write_b8 v57, v66 offset:1
	ds_write_b8_d16_hi v57, v65 offset:2
	v_mov_b32_e32 v66, v32
	s_waitcnt lgkmcnt(0)
	s_barrier
	s_and_saveexec_b64 s[24:25], vcc
	s_cbranch_execz .LBB75_6
; %bb.3:                                ;   in Loop: Header=BB75_2 Depth=1
	s_mov_b64 s[26:27], 0
	v_mov_b32_e32 v66, v32
	v_mov_b32_e32 v65, v33
.LBB75_4:                               ;   Parent Loop BB75_2 Depth=1
                                        ; =>  This Inner Loop Header: Depth=2
	v_sub_u32_e32 v67, v65, v66
	v_lshrrev_b32_e32 v67, 1, v67
	v_add_u32_e32 v67, v67, v66
	v_add_u32_e32 v68, v31, v67
	v_xad_u32 v69, v67, -1, v34
	ds_read_i8 v68, v68
	ds_read_i8 v69, v69 offset:3
	v_add_u32_e32 v70, 1, v67
	s_waitcnt lgkmcnt(0)
	v_cmp_lt_i16_e64 s[22:23], v69, v68
	v_cndmask_b32_e64 v65, v65, v67, s[22:23]
	v_cndmask_b32_e64 v66, v70, v66, s[22:23]
	v_cmp_ge_i32_e64 s[22:23], v66, v65
	s_or_b64 s[26:27], s[22:23], s[26:27]
	s_andn2_b64 exec, exec, s[26:27]
	s_cbranch_execnz .LBB75_4
; %bb.5:                                ;   in Loop: Header=BB75_2 Depth=1
	s_or_b64 exec, exec, s[26:27]
.LBB75_6:                               ;   in Loop: Header=BB75_2 Depth=1
	s_or_b64 exec, exec, s[24:25]
	v_add_u32_e32 v65, v66, v31
	v_sub_u32_e32 v70, v34, v66
	ds_read_u8 v67, v65
	ds_read_u8 v68, v70 offset:3
	v_sub_u32_e32 v66, v35, v66
	v_cmp_le_i32_e64 s[24:25], v30, v65
	v_cmp_gt_i32_e64 s[22:23], v29, v66
	s_waitcnt lgkmcnt(1)
	v_bfe_i32 v67, v67, 0, 8
	s_waitcnt lgkmcnt(0)
	v_bfe_i32 v68, v68, 0, 8
	v_cmp_lt_i16_e64 s[26:27], v68, v67
	s_or_b64 s[24:25], s[24:25], s[26:27]
	s_and_b64 s[22:23], s[22:23], s[24:25]
	s_xor_b64 s[24:25], s[22:23], -1
                                        ; implicit-def: $vgpr69
	s_and_saveexec_b64 s[26:27], s[24:25]
	s_xor_b64 s[24:25], exec, s[26:27]
; %bb.7:                                ;   in Loop: Header=BB75_2 Depth=1
	ds_read_u8 v69, v65 offset:1
                                        ; implicit-def: $vgpr70
; %bb.8:                                ;   in Loop: Header=BB75_2 Depth=1
	s_or_saveexec_b64 s[24:25], s[24:25]
	v_mov_b32_e32 v71, v68
	s_xor_b64 exec, exec, s[24:25]
	s_cbranch_execz .LBB75_10
; %bb.9:                                ;   in Loop: Header=BB75_2 Depth=1
	ds_read_u8 v71, v70 offset:4
	s_waitcnt lgkmcnt(1)
	v_mov_b32_e32 v69, v67
.LBB75_10:                              ;   in Loop: Header=BB75_2 Depth=1
	s_or_b64 exec, exec, s[24:25]
	v_add_u32_e32 v73, 1, v65
	v_add_u32_e32 v70, 1, v66
	v_cndmask_b32_e64 v73, v73, v65, s[22:23]
	v_cndmask_b32_e64 v72, v66, v70, s[22:23]
	v_cmp_ge_i32_e64 s[26:27], v73, v30
	s_waitcnt lgkmcnt(0)
	v_cmp_lt_i16_sdwa s[40:41], sext(v71), sext(v69) src0_sel:BYTE_0 src1_sel:BYTE_0
	v_cmp_lt_i32_e64 s[24:25], v72, v29
	s_or_b64 s[26:27], s[26:27], s[40:41]
	s_and_b64 s[24:25], s[24:25], s[26:27]
	s_xor_b64 s[26:27], s[24:25], -1
                                        ; implicit-def: $vgpr70
	s_and_saveexec_b64 s[40:41], s[26:27]
	s_xor_b64 s[26:27], exec, s[40:41]
; %bb.11:                               ;   in Loop: Header=BB75_2 Depth=1
	ds_read_u8 v70, v73 offset:1
; %bb.12:                               ;   in Loop: Header=BB75_2 Depth=1
	s_or_saveexec_b64 s[26:27], s[26:27]
	v_mov_b32_e32 v74, v71
	s_xor_b64 exec, exec, s[26:27]
	s_cbranch_execz .LBB75_14
; %bb.13:                               ;   in Loop: Header=BB75_2 Depth=1
	ds_read_u8 v74, v72 offset:1
	s_waitcnt lgkmcnt(1)
	v_mov_b32_e32 v70, v69
.LBB75_14:                              ;   in Loop: Header=BB75_2 Depth=1
	s_or_b64 exec, exec, s[26:27]
	v_cndmask_b32_e64 v65, v65, v66, s[22:23]
	v_perm_b32 v66, v64, v63, s28
	v_perm_b32 v63, v63, v64, s28
	v_and_b32_e32 v64, 0xff, v62
	v_cndmask_b32_e64 v63, v63, v66, s[16:17]
	v_lshlrev_b32_e32 v64, 16, v64
	v_lshrrev_b16_e32 v66, 8, v63
	v_or_b32_e32 v64, v63, v64
	v_perm_b32 v62, v63, v62, s28
	v_lshlrev_b32_e32 v63, 16, v66
	v_or_b32_e32 v62, v62, v63
	v_cndmask_b32_e64 v62, v64, v62, s[18:19]
	v_add_u32_e32 v75, 1, v73
	v_perm_b32 v63, 0, v62, s38
	v_cndmask_b32_e64 v69, v69, v71, s[24:25]
	v_add_u32_e32 v71, 1, v72
	v_cndmask_b32_e64 v75, v75, v73, s[24:25]
	v_and_or_b32 v63, v62, s39, v63
	v_cndmask_b32_e64 v71, v72, v71, s[24:25]
	v_cndmask_b32_e64 v62, v62, v63, s[20:21]
	v_cmp_ge_i32_e64 s[18:19], v75, v30
	s_waitcnt lgkmcnt(0)
	v_cmp_lt_i16_sdwa s[20:21], sext(v74), sext(v70) src0_sel:BYTE_0 src1_sel:BYTE_0
	v_cmp_lt_i32_e64 s[16:17], v71, v29
	s_or_b64 s[18:19], s[18:19], s[20:21]
	s_and_b64 s[16:17], s[16:17], s[18:19]
	v_cndmask_b32_e64 v63, v75, v71, s[16:17]
	v_lshrrev_b32_e32 v64, 8, v62
	v_cndmask_b32_e64 v72, v73, v72, s[24:25]
	s_barrier
	ds_write_b8 v57, v62
	ds_write_b8 v57, v64 offset:1
	ds_write_b8_d16_hi v57, v62 offset:2
	s_waitcnt lgkmcnt(0)
	s_barrier
	ds_read_u8 v62, v65
	ds_read_u8 v63, v63
	;; [unrolled: 1-line block ×3, first 2 shown]
	v_cndmask_b32_e64 v67, v67, v68, s[22:23]
	v_cndmask_b32_e64 v66, v70, v74, s[16:17]
	s_waitcnt lgkmcnt(0)
	s_barrier
	ds_write_b8 v57, v67
	ds_write_b8 v57, v69 offset:1
	ds_write_b8 v57, v66 offset:2
	v_mov_b32_e32 v66, v36
	s_waitcnt lgkmcnt(0)
	s_barrier
	s_and_saveexec_b64 s[18:19], s[0:1]
	s_cbranch_execz .LBB75_18
; %bb.15:                               ;   in Loop: Header=BB75_2 Depth=1
	s_mov_b64 s[20:21], 0
	v_mov_b32_e32 v66, v36
	v_mov_b32_e32 v65, v18
.LBB75_16:                              ;   Parent Loop BB75_2 Depth=1
                                        ; =>  This Inner Loop Header: Depth=2
	v_sub_u32_e32 v67, v65, v66
	v_lshrrev_b32_e32 v67, 1, v67
	v_add_u32_e32 v67, v67, v66
	v_add_u32_e32 v68, v1, v67
	v_xad_u32 v69, v67, -1, v37
	ds_read_i8 v68, v68
	ds_read_i8 v69, v69 offset:6
	v_add_u32_e32 v70, 1, v67
	s_waitcnt lgkmcnt(0)
	v_cmp_lt_i16_e64 s[16:17], v69, v68
	v_cndmask_b32_e64 v65, v65, v67, s[16:17]
	v_cndmask_b32_e64 v66, v70, v66, s[16:17]
	v_cmp_ge_i32_e64 s[16:17], v66, v65
	s_or_b64 s[20:21], s[16:17], s[20:21]
	s_andn2_b64 exec, exec, s[20:21]
	s_cbranch_execnz .LBB75_16
; %bb.17:                               ;   in Loop: Header=BB75_2 Depth=1
	s_or_b64 exec, exec, s[20:21]
.LBB75_18:                              ;   in Loop: Header=BB75_2 Depth=1
	s_or_b64 exec, exec, s[18:19]
	v_add_u32_e32 v65, v66, v1
	v_sub_u32_e32 v71, v37, v66
	ds_read_u8 v67, v65
	ds_read_u8 v68, v71 offset:6
	v_sub_u32_e32 v66, v38, v66
	v_cmp_le_i32_e64 s[18:19], v6, v65
	v_cmp_gt_i32_e64 s[16:17], v7, v66
	s_waitcnt lgkmcnt(1)
	v_bfe_i32 v67, v67, 0, 8
	s_waitcnt lgkmcnt(0)
	v_bfe_i32 v68, v68, 0, 8
	v_cmp_lt_i16_e64 s[20:21], v68, v67
	s_or_b64 s[18:19], s[18:19], s[20:21]
	s_and_b64 s[16:17], s[16:17], s[18:19]
	s_xor_b64 s[18:19], s[16:17], -1
                                        ; implicit-def: $vgpr69
	s_and_saveexec_b64 s[20:21], s[18:19]
	s_xor_b64 s[18:19], exec, s[20:21]
; %bb.19:                               ;   in Loop: Header=BB75_2 Depth=1
	ds_read_u8 v69, v65 offset:1
                                        ; implicit-def: $vgpr71
; %bb.20:                               ;   in Loop: Header=BB75_2 Depth=1
	s_or_saveexec_b64 s[18:19], s[18:19]
	v_mov_b32_e32 v70, v68
	s_xor_b64 exec, exec, s[18:19]
	s_cbranch_execz .LBB75_22
; %bb.21:                               ;   in Loop: Header=BB75_2 Depth=1
	ds_read_u8 v70, v71 offset:7
	s_waitcnt lgkmcnt(1)
	v_mov_b32_e32 v69, v67
.LBB75_22:                              ;   in Loop: Header=BB75_2 Depth=1
	s_or_b64 exec, exec, s[18:19]
	v_add_u32_e32 v72, 1, v65
	v_add_u32_e32 v71, 1, v66
	v_cndmask_b32_e64 v72, v72, v65, s[16:17]
	v_cndmask_b32_e64 v71, v66, v71, s[16:17]
	v_cmp_ge_i32_e64 s[20:21], v72, v6
	s_waitcnt lgkmcnt(0)
	v_cmp_lt_i16_sdwa s[22:23], sext(v70), sext(v69) src0_sel:BYTE_0 src1_sel:BYTE_0
	v_cmp_lt_i32_e64 s[18:19], v71, v7
	s_or_b64 s[20:21], s[20:21], s[22:23]
	s_and_b64 s[18:19], s[18:19], s[20:21]
	s_xor_b64 s[20:21], s[18:19], -1
                                        ; implicit-def: $vgpr73
	s_and_saveexec_b64 s[22:23], s[20:21]
	s_xor_b64 s[20:21], exec, s[22:23]
; %bb.23:                               ;   in Loop: Header=BB75_2 Depth=1
	ds_read_u8 v73, v72 offset:1
; %bb.24:                               ;   in Loop: Header=BB75_2 Depth=1
	s_or_saveexec_b64 s[20:21], s[20:21]
	v_mov_b32_e32 v74, v70
	s_xor_b64 exec, exec, s[20:21]
	s_cbranch_execz .LBB75_26
; %bb.25:                               ;   in Loop: Header=BB75_2 Depth=1
	ds_read_u8 v74, v71 offset:1
	s_waitcnt lgkmcnt(1)
	v_mov_b32_e32 v73, v69
.LBB75_26:                              ;   in Loop: Header=BB75_2 Depth=1
	s_or_b64 exec, exec, s[20:21]
	v_add_u32_e32 v75, 1, v72
	v_cndmask_b32_e64 v69, v69, v70, s[18:19]
	v_add_u32_e32 v70, 1, v71
	v_cndmask_b32_e64 v75, v75, v72, s[18:19]
	v_cndmask_b32_e64 v70, v71, v70, s[18:19]
	;; [unrolled: 1-line block ×3, first 2 shown]
	v_cmp_ge_i32_e64 s[18:19], v75, v6
	s_waitcnt lgkmcnt(0)
	v_cmp_lt_i16_sdwa s[20:21], sext(v74), sext(v73) src0_sel:BYTE_0 src1_sel:BYTE_0
	v_cndmask_b32_e64 v67, v67, v68, s[16:17]
	v_cndmask_b32_e64 v65, v65, v66, s[16:17]
	v_cmp_lt_i32_e64 s[16:17], v70, v7
	s_or_b64 s[18:19], s[18:19], s[20:21]
	s_and_b64 s[16:17], s[16:17], s[18:19]
	v_cndmask_b32_e64 v68, v75, v70, s[16:17]
	s_barrier
	ds_write_b8 v57, v62
	ds_write_b8 v57, v64 offset:1
	ds_write_b8 v57, v63 offset:2
	s_waitcnt lgkmcnt(0)
	s_barrier
	ds_read_u8 v62, v65
	ds_read_u8 v63, v68
	;; [unrolled: 1-line block ×3, first 2 shown]
	v_cndmask_b32_e64 v66, v73, v74, s[16:17]
	s_waitcnt lgkmcnt(0)
	s_barrier
	ds_write_b8 v57, v67
	ds_write_b8 v57, v69 offset:1
	ds_write_b8 v57, v66 offset:2
	v_mov_b32_e32 v66, v39
	s_waitcnt lgkmcnt(0)
	s_barrier
	s_and_saveexec_b64 s[18:19], s[2:3]
	s_cbranch_execz .LBB75_30
; %bb.27:                               ;   in Loop: Header=BB75_2 Depth=1
	s_mov_b64 s[20:21], 0
	v_mov_b32_e32 v66, v39
	v_mov_b32_e32 v65, v19
.LBB75_28:                              ;   Parent Loop BB75_2 Depth=1
                                        ; =>  This Inner Loop Header: Depth=2
	v_sub_u32_e32 v67, v65, v66
	v_lshrrev_b32_e32 v67, 1, v67
	v_add_u32_e32 v67, v67, v66
	v_add_u32_e32 v68, v2, v67
	v_xad_u32 v69, v67, -1, v40
	ds_read_i8 v68, v68
	ds_read_i8 v69, v69 offset:12
	v_add_u32_e32 v70, 1, v67
	s_waitcnt lgkmcnt(0)
	v_cmp_lt_i16_e64 s[16:17], v69, v68
	v_cndmask_b32_e64 v65, v65, v67, s[16:17]
	v_cndmask_b32_e64 v66, v70, v66, s[16:17]
	v_cmp_ge_i32_e64 s[16:17], v66, v65
	s_or_b64 s[20:21], s[16:17], s[20:21]
	s_andn2_b64 exec, exec, s[20:21]
	s_cbranch_execnz .LBB75_28
; %bb.29:                               ;   in Loop: Header=BB75_2 Depth=1
	s_or_b64 exec, exec, s[20:21]
.LBB75_30:                              ;   in Loop: Header=BB75_2 Depth=1
	s_or_b64 exec, exec, s[18:19]
	v_add_u32_e32 v65, v66, v2
	v_sub_u32_e32 v71, v40, v66
	ds_read_u8 v67, v65
	ds_read_u8 v68, v71 offset:12
	v_sub_u32_e32 v66, v41, v66
	v_cmp_le_i32_e64 s[18:19], v8, v65
	v_cmp_gt_i32_e64 s[16:17], v9, v66
	s_waitcnt lgkmcnt(1)
	v_bfe_i32 v67, v67, 0, 8
	s_waitcnt lgkmcnt(0)
	v_bfe_i32 v68, v68, 0, 8
	v_cmp_lt_i16_e64 s[20:21], v68, v67
	s_or_b64 s[18:19], s[18:19], s[20:21]
	s_and_b64 s[16:17], s[16:17], s[18:19]
	s_xor_b64 s[18:19], s[16:17], -1
                                        ; implicit-def: $vgpr69
	s_and_saveexec_b64 s[20:21], s[18:19]
	s_xor_b64 s[18:19], exec, s[20:21]
; %bb.31:                               ;   in Loop: Header=BB75_2 Depth=1
	ds_read_u8 v69, v65 offset:1
                                        ; implicit-def: $vgpr71
; %bb.32:                               ;   in Loop: Header=BB75_2 Depth=1
	s_or_saveexec_b64 s[18:19], s[18:19]
	v_mov_b32_e32 v70, v68
	s_xor_b64 exec, exec, s[18:19]
	s_cbranch_execz .LBB75_34
; %bb.33:                               ;   in Loop: Header=BB75_2 Depth=1
	ds_read_u8 v70, v71 offset:13
	s_waitcnt lgkmcnt(1)
	v_mov_b32_e32 v69, v67
.LBB75_34:                              ;   in Loop: Header=BB75_2 Depth=1
	s_or_b64 exec, exec, s[18:19]
	v_add_u32_e32 v72, 1, v65
	v_add_u32_e32 v71, 1, v66
	v_cndmask_b32_e64 v72, v72, v65, s[16:17]
	v_cndmask_b32_e64 v71, v66, v71, s[16:17]
	v_cmp_ge_i32_e64 s[20:21], v72, v8
	s_waitcnt lgkmcnt(0)
	v_cmp_lt_i16_sdwa s[22:23], sext(v70), sext(v69) src0_sel:BYTE_0 src1_sel:BYTE_0
	v_cmp_lt_i32_e64 s[18:19], v71, v9
	s_or_b64 s[20:21], s[20:21], s[22:23]
	s_and_b64 s[18:19], s[18:19], s[20:21]
	s_xor_b64 s[20:21], s[18:19], -1
                                        ; implicit-def: $vgpr73
	s_and_saveexec_b64 s[22:23], s[20:21]
	s_xor_b64 s[20:21], exec, s[22:23]
; %bb.35:                               ;   in Loop: Header=BB75_2 Depth=1
	ds_read_u8 v73, v72 offset:1
; %bb.36:                               ;   in Loop: Header=BB75_2 Depth=1
	s_or_saveexec_b64 s[20:21], s[20:21]
	v_mov_b32_e32 v74, v70
	s_xor_b64 exec, exec, s[20:21]
	s_cbranch_execz .LBB75_38
; %bb.37:                               ;   in Loop: Header=BB75_2 Depth=1
	ds_read_u8 v74, v71 offset:1
	s_waitcnt lgkmcnt(1)
	v_mov_b32_e32 v73, v69
.LBB75_38:                              ;   in Loop: Header=BB75_2 Depth=1
	s_or_b64 exec, exec, s[20:21]
	v_add_u32_e32 v75, 1, v72
	v_cndmask_b32_e64 v69, v69, v70, s[18:19]
	v_add_u32_e32 v70, 1, v71
	v_cndmask_b32_e64 v75, v75, v72, s[18:19]
	v_cndmask_b32_e64 v70, v71, v70, s[18:19]
	;; [unrolled: 1-line block ×3, first 2 shown]
	v_cmp_ge_i32_e64 s[18:19], v75, v8
	s_waitcnt lgkmcnt(0)
	v_cmp_lt_i16_sdwa s[20:21], sext(v74), sext(v73) src0_sel:BYTE_0 src1_sel:BYTE_0
	v_cndmask_b32_e64 v67, v67, v68, s[16:17]
	v_cndmask_b32_e64 v65, v65, v66, s[16:17]
	v_cmp_lt_i32_e64 s[16:17], v70, v9
	s_or_b64 s[18:19], s[18:19], s[20:21]
	s_and_b64 s[16:17], s[16:17], s[18:19]
	v_cndmask_b32_e64 v68, v75, v70, s[16:17]
	s_barrier
	ds_write_b8 v57, v62
	ds_write_b8 v57, v64 offset:1
	ds_write_b8 v57, v63 offset:2
	s_waitcnt lgkmcnt(0)
	s_barrier
	ds_read_u8 v62, v65
	ds_read_u8 v63, v68
	;; [unrolled: 1-line block ×3, first 2 shown]
	v_cndmask_b32_e64 v66, v73, v74, s[16:17]
	s_waitcnt lgkmcnt(0)
	s_barrier
	ds_write_b8 v57, v67
	ds_write_b8 v57, v69 offset:1
	ds_write_b8 v57, v66 offset:2
	v_mov_b32_e32 v66, v42
	s_waitcnt lgkmcnt(0)
	s_barrier
	s_and_saveexec_b64 s[18:19], s[4:5]
	s_cbranch_execz .LBB75_42
; %bb.39:                               ;   in Loop: Header=BB75_2 Depth=1
	s_mov_b64 s[20:21], 0
	v_mov_b32_e32 v66, v42
	v_mov_b32_e32 v65, v20
.LBB75_40:                              ;   Parent Loop BB75_2 Depth=1
                                        ; =>  This Inner Loop Header: Depth=2
	v_sub_u32_e32 v67, v65, v66
	v_lshrrev_b32_e32 v67, 1, v67
	v_add_u32_e32 v67, v67, v66
	v_add_u32_e32 v68, v3, v67
	v_xad_u32 v69, v67, -1, v43
	ds_read_i8 v68, v68
	ds_read_i8 v69, v69 offset:24
	v_add_u32_e32 v70, 1, v67
	s_waitcnt lgkmcnt(0)
	v_cmp_lt_i16_e64 s[16:17], v69, v68
	v_cndmask_b32_e64 v65, v65, v67, s[16:17]
	v_cndmask_b32_e64 v66, v70, v66, s[16:17]
	v_cmp_ge_i32_e64 s[16:17], v66, v65
	s_or_b64 s[20:21], s[16:17], s[20:21]
	s_andn2_b64 exec, exec, s[20:21]
	s_cbranch_execnz .LBB75_40
; %bb.41:                               ;   in Loop: Header=BB75_2 Depth=1
	s_or_b64 exec, exec, s[20:21]
.LBB75_42:                              ;   in Loop: Header=BB75_2 Depth=1
	s_or_b64 exec, exec, s[18:19]
	v_add_u32_e32 v65, v66, v3
	v_sub_u32_e32 v71, v43, v66
	ds_read_u8 v67, v65
	ds_read_u8 v68, v71 offset:24
	v_sub_u32_e32 v66, v44, v66
	v_cmp_le_i32_e64 s[18:19], v11, v65
	v_cmp_gt_i32_e64 s[16:17], v10, v66
	s_waitcnt lgkmcnt(1)
	v_bfe_i32 v67, v67, 0, 8
	s_waitcnt lgkmcnt(0)
	v_bfe_i32 v68, v68, 0, 8
	v_cmp_lt_i16_e64 s[20:21], v68, v67
	s_or_b64 s[18:19], s[18:19], s[20:21]
	s_and_b64 s[16:17], s[16:17], s[18:19]
	s_xor_b64 s[18:19], s[16:17], -1
                                        ; implicit-def: $vgpr69
	s_and_saveexec_b64 s[20:21], s[18:19]
	s_xor_b64 s[18:19], exec, s[20:21]
; %bb.43:                               ;   in Loop: Header=BB75_2 Depth=1
	ds_read_u8 v69, v65 offset:1
                                        ; implicit-def: $vgpr71
; %bb.44:                               ;   in Loop: Header=BB75_2 Depth=1
	s_or_saveexec_b64 s[18:19], s[18:19]
	v_mov_b32_e32 v70, v68
	s_xor_b64 exec, exec, s[18:19]
	s_cbranch_execz .LBB75_46
; %bb.45:                               ;   in Loop: Header=BB75_2 Depth=1
	ds_read_u8 v70, v71 offset:25
	s_waitcnt lgkmcnt(1)
	v_mov_b32_e32 v69, v67
.LBB75_46:                              ;   in Loop: Header=BB75_2 Depth=1
	s_or_b64 exec, exec, s[18:19]
	v_add_u32_e32 v72, 1, v65
	v_add_u32_e32 v71, 1, v66
	v_cndmask_b32_e64 v72, v72, v65, s[16:17]
	v_cndmask_b32_e64 v71, v66, v71, s[16:17]
	v_cmp_ge_i32_e64 s[20:21], v72, v11
	s_waitcnt lgkmcnt(0)
	v_cmp_lt_i16_sdwa s[22:23], sext(v70), sext(v69) src0_sel:BYTE_0 src1_sel:BYTE_0
	v_cmp_lt_i32_e64 s[18:19], v71, v10
	s_or_b64 s[20:21], s[20:21], s[22:23]
	s_and_b64 s[18:19], s[18:19], s[20:21]
	s_xor_b64 s[20:21], s[18:19], -1
                                        ; implicit-def: $vgpr73
	s_and_saveexec_b64 s[22:23], s[20:21]
	s_xor_b64 s[20:21], exec, s[22:23]
; %bb.47:                               ;   in Loop: Header=BB75_2 Depth=1
	ds_read_u8 v73, v72 offset:1
; %bb.48:                               ;   in Loop: Header=BB75_2 Depth=1
	s_or_saveexec_b64 s[20:21], s[20:21]
	v_mov_b32_e32 v74, v70
	s_xor_b64 exec, exec, s[20:21]
	s_cbranch_execz .LBB75_50
; %bb.49:                               ;   in Loop: Header=BB75_2 Depth=1
	ds_read_u8 v74, v71 offset:1
	s_waitcnt lgkmcnt(1)
	v_mov_b32_e32 v73, v69
.LBB75_50:                              ;   in Loop: Header=BB75_2 Depth=1
	s_or_b64 exec, exec, s[20:21]
	v_add_u32_e32 v75, 1, v72
	v_cndmask_b32_e64 v69, v69, v70, s[18:19]
	v_add_u32_e32 v70, 1, v71
	v_cndmask_b32_e64 v75, v75, v72, s[18:19]
	v_cndmask_b32_e64 v70, v71, v70, s[18:19]
	;; [unrolled: 1-line block ×3, first 2 shown]
	v_cmp_ge_i32_e64 s[18:19], v75, v11
	s_waitcnt lgkmcnt(0)
	v_cmp_lt_i16_sdwa s[20:21], sext(v74), sext(v73) src0_sel:BYTE_0 src1_sel:BYTE_0
	v_cndmask_b32_e64 v67, v67, v68, s[16:17]
	v_cndmask_b32_e64 v65, v65, v66, s[16:17]
	v_cmp_lt_i32_e64 s[16:17], v70, v10
	s_or_b64 s[18:19], s[18:19], s[20:21]
	s_and_b64 s[16:17], s[16:17], s[18:19]
	v_cndmask_b32_e64 v68, v75, v70, s[16:17]
	s_barrier
	ds_write_b8 v57, v62
	ds_write_b8 v57, v64 offset:1
	ds_write_b8 v57, v63 offset:2
	s_waitcnt lgkmcnt(0)
	s_barrier
	ds_read_u8 v62, v65
	ds_read_u8 v63, v68
	;; [unrolled: 1-line block ×3, first 2 shown]
	v_cndmask_b32_e64 v66, v73, v74, s[16:17]
	s_waitcnt lgkmcnt(0)
	s_barrier
	ds_write_b8 v57, v67
	ds_write_b8 v57, v69 offset:1
	ds_write_b8 v57, v66 offset:2
	v_mov_b32_e32 v66, v45
	s_waitcnt lgkmcnt(0)
	s_barrier
	s_and_saveexec_b64 s[18:19], s[6:7]
	s_cbranch_execz .LBB75_54
; %bb.51:                               ;   in Loop: Header=BB75_2 Depth=1
	s_mov_b64 s[20:21], 0
	v_mov_b32_e32 v66, v45
	v_mov_b32_e32 v65, v21
.LBB75_52:                              ;   Parent Loop BB75_2 Depth=1
                                        ; =>  This Inner Loop Header: Depth=2
	v_sub_u32_e32 v67, v65, v66
	v_lshrrev_b32_e32 v67, 1, v67
	v_add_u32_e32 v67, v67, v66
	v_add_u32_e32 v68, v4, v67
	v_xad_u32 v69, v67, -1, v46
	ds_read_i8 v68, v68
	ds_read_i8 v69, v69 offset:48
	v_add_u32_e32 v70, 1, v67
	s_waitcnt lgkmcnt(0)
	v_cmp_lt_i16_e64 s[16:17], v69, v68
	v_cndmask_b32_e64 v65, v65, v67, s[16:17]
	v_cndmask_b32_e64 v66, v70, v66, s[16:17]
	v_cmp_ge_i32_e64 s[16:17], v66, v65
	s_or_b64 s[20:21], s[16:17], s[20:21]
	s_andn2_b64 exec, exec, s[20:21]
	s_cbranch_execnz .LBB75_52
; %bb.53:                               ;   in Loop: Header=BB75_2 Depth=1
	s_or_b64 exec, exec, s[20:21]
.LBB75_54:                              ;   in Loop: Header=BB75_2 Depth=1
	s_or_b64 exec, exec, s[18:19]
	v_add_u32_e32 v65, v66, v4
	v_sub_u32_e32 v71, v46, v66
	ds_read_u8 v67, v65
	ds_read_u8 v68, v71 offset:48
	v_sub_u32_e32 v66, v47, v66
	v_cmp_le_i32_e64 s[18:19], v13, v65
	v_cmp_gt_i32_e64 s[16:17], v12, v66
	s_waitcnt lgkmcnt(1)
	v_bfe_i32 v67, v67, 0, 8
	s_waitcnt lgkmcnt(0)
	v_bfe_i32 v68, v68, 0, 8
	v_cmp_lt_i16_e64 s[20:21], v68, v67
	s_or_b64 s[18:19], s[18:19], s[20:21]
	s_and_b64 s[16:17], s[16:17], s[18:19]
	s_xor_b64 s[18:19], s[16:17], -1
                                        ; implicit-def: $vgpr69
	s_and_saveexec_b64 s[20:21], s[18:19]
	s_xor_b64 s[18:19], exec, s[20:21]
; %bb.55:                               ;   in Loop: Header=BB75_2 Depth=1
	ds_read_u8 v69, v65 offset:1
                                        ; implicit-def: $vgpr71
; %bb.56:                               ;   in Loop: Header=BB75_2 Depth=1
	s_or_saveexec_b64 s[18:19], s[18:19]
	v_mov_b32_e32 v70, v68
	s_xor_b64 exec, exec, s[18:19]
	s_cbranch_execz .LBB75_58
; %bb.57:                               ;   in Loop: Header=BB75_2 Depth=1
	ds_read_u8 v70, v71 offset:49
	s_waitcnt lgkmcnt(1)
	v_mov_b32_e32 v69, v67
.LBB75_58:                              ;   in Loop: Header=BB75_2 Depth=1
	s_or_b64 exec, exec, s[18:19]
	v_add_u32_e32 v72, 1, v65
	v_add_u32_e32 v71, 1, v66
	v_cndmask_b32_e64 v72, v72, v65, s[16:17]
	v_cndmask_b32_e64 v71, v66, v71, s[16:17]
	v_cmp_ge_i32_e64 s[20:21], v72, v13
	s_waitcnt lgkmcnt(0)
	v_cmp_lt_i16_sdwa s[22:23], sext(v70), sext(v69) src0_sel:BYTE_0 src1_sel:BYTE_0
	v_cmp_lt_i32_e64 s[18:19], v71, v12
	s_or_b64 s[20:21], s[20:21], s[22:23]
	s_and_b64 s[18:19], s[18:19], s[20:21]
	s_xor_b64 s[20:21], s[18:19], -1
                                        ; implicit-def: $vgpr73
	s_and_saveexec_b64 s[22:23], s[20:21]
	s_xor_b64 s[20:21], exec, s[22:23]
; %bb.59:                               ;   in Loop: Header=BB75_2 Depth=1
	ds_read_u8 v73, v72 offset:1
; %bb.60:                               ;   in Loop: Header=BB75_2 Depth=1
	s_or_saveexec_b64 s[20:21], s[20:21]
	v_mov_b32_e32 v74, v70
	s_xor_b64 exec, exec, s[20:21]
	s_cbranch_execz .LBB75_62
; %bb.61:                               ;   in Loop: Header=BB75_2 Depth=1
	ds_read_u8 v74, v71 offset:1
	s_waitcnt lgkmcnt(1)
	v_mov_b32_e32 v73, v69
.LBB75_62:                              ;   in Loop: Header=BB75_2 Depth=1
	s_or_b64 exec, exec, s[20:21]
	v_add_u32_e32 v75, 1, v72
	v_cndmask_b32_e64 v69, v69, v70, s[18:19]
	v_add_u32_e32 v70, 1, v71
	v_cndmask_b32_e64 v75, v75, v72, s[18:19]
	v_cndmask_b32_e64 v70, v71, v70, s[18:19]
	;; [unrolled: 1-line block ×3, first 2 shown]
	v_cmp_ge_i32_e64 s[18:19], v75, v13
	s_waitcnt lgkmcnt(0)
	v_cmp_lt_i16_sdwa s[20:21], sext(v74), sext(v73) src0_sel:BYTE_0 src1_sel:BYTE_0
	v_cndmask_b32_e64 v67, v67, v68, s[16:17]
	v_cndmask_b32_e64 v65, v65, v66, s[16:17]
	v_cmp_lt_i32_e64 s[16:17], v70, v12
	s_or_b64 s[18:19], s[18:19], s[20:21]
	s_and_b64 s[16:17], s[16:17], s[18:19]
	v_cndmask_b32_e64 v68, v75, v70, s[16:17]
	s_barrier
	ds_write_b8 v57, v62
	ds_write_b8 v57, v64 offset:1
	ds_write_b8 v57, v63 offset:2
	s_waitcnt lgkmcnt(0)
	s_barrier
	ds_read_u8 v62, v65
	ds_read_u8 v63, v68
	;; [unrolled: 1-line block ×3, first 2 shown]
	v_cndmask_b32_e64 v66, v73, v74, s[16:17]
	s_waitcnt lgkmcnt(0)
	s_barrier
	ds_write_b8 v57, v67
	ds_write_b8 v57, v69 offset:1
	ds_write_b8 v57, v66 offset:2
	v_mov_b32_e32 v66, v48
	s_waitcnt lgkmcnt(0)
	s_barrier
	s_and_saveexec_b64 s[18:19], s[8:9]
	s_cbranch_execz .LBB75_66
; %bb.63:                               ;   in Loop: Header=BB75_2 Depth=1
	s_mov_b64 s[20:21], 0
	v_mov_b32_e32 v66, v48
	v_mov_b32_e32 v65, v22
.LBB75_64:                              ;   Parent Loop BB75_2 Depth=1
                                        ; =>  This Inner Loop Header: Depth=2
	v_sub_u32_e32 v67, v65, v66
	v_lshrrev_b32_e32 v67, 1, v67
	v_add_u32_e32 v67, v67, v66
	v_add_u32_e32 v68, v5, v67
	v_xad_u32 v69, v67, -1, v49
	ds_read_i8 v68, v68
	ds_read_i8 v69, v69 offset:96
	v_add_u32_e32 v70, 1, v67
	s_waitcnt lgkmcnt(0)
	v_cmp_lt_i16_e64 s[16:17], v69, v68
	v_cndmask_b32_e64 v65, v65, v67, s[16:17]
	v_cndmask_b32_e64 v66, v70, v66, s[16:17]
	v_cmp_ge_i32_e64 s[16:17], v66, v65
	s_or_b64 s[20:21], s[16:17], s[20:21]
	s_andn2_b64 exec, exec, s[20:21]
	s_cbranch_execnz .LBB75_64
; %bb.65:                               ;   in Loop: Header=BB75_2 Depth=1
	s_or_b64 exec, exec, s[20:21]
.LBB75_66:                              ;   in Loop: Header=BB75_2 Depth=1
	s_or_b64 exec, exec, s[18:19]
	v_add_u32_e32 v65, v66, v5
	v_sub_u32_e32 v71, v49, v66
	ds_read_u8 v67, v65
	ds_read_u8 v68, v71 offset:96
	v_sub_u32_e32 v66, v50, v66
	v_cmp_le_i32_e64 s[18:19], v15, v65
	v_cmp_gt_i32_e64 s[16:17], v14, v66
	s_waitcnt lgkmcnt(1)
	v_bfe_i32 v67, v67, 0, 8
	s_waitcnt lgkmcnt(0)
	v_bfe_i32 v68, v68, 0, 8
	v_cmp_lt_i16_e64 s[20:21], v68, v67
	s_or_b64 s[18:19], s[18:19], s[20:21]
	s_and_b64 s[16:17], s[16:17], s[18:19]
	s_xor_b64 s[18:19], s[16:17], -1
                                        ; implicit-def: $vgpr69
	s_and_saveexec_b64 s[20:21], s[18:19]
	s_xor_b64 s[18:19], exec, s[20:21]
; %bb.67:                               ;   in Loop: Header=BB75_2 Depth=1
	ds_read_u8 v69, v65 offset:1
                                        ; implicit-def: $vgpr71
; %bb.68:                               ;   in Loop: Header=BB75_2 Depth=1
	s_or_saveexec_b64 s[18:19], s[18:19]
	v_mov_b32_e32 v70, v68
	s_xor_b64 exec, exec, s[18:19]
	s_cbranch_execz .LBB75_70
; %bb.69:                               ;   in Loop: Header=BB75_2 Depth=1
	ds_read_u8 v70, v71 offset:97
	s_waitcnt lgkmcnt(1)
	v_mov_b32_e32 v69, v67
.LBB75_70:                              ;   in Loop: Header=BB75_2 Depth=1
	s_or_b64 exec, exec, s[18:19]
	v_add_u32_e32 v72, 1, v65
	v_add_u32_e32 v71, 1, v66
	v_cndmask_b32_e64 v72, v72, v65, s[16:17]
	v_cndmask_b32_e64 v71, v66, v71, s[16:17]
	v_cmp_ge_i32_e64 s[20:21], v72, v15
	s_waitcnt lgkmcnt(0)
	v_cmp_lt_i16_sdwa s[22:23], sext(v70), sext(v69) src0_sel:BYTE_0 src1_sel:BYTE_0
	v_cmp_lt_i32_e64 s[18:19], v71, v14
	s_or_b64 s[20:21], s[20:21], s[22:23]
	s_and_b64 s[18:19], s[18:19], s[20:21]
	s_xor_b64 s[20:21], s[18:19], -1
                                        ; implicit-def: $vgpr73
	s_and_saveexec_b64 s[22:23], s[20:21]
	s_xor_b64 s[20:21], exec, s[22:23]
; %bb.71:                               ;   in Loop: Header=BB75_2 Depth=1
	ds_read_u8 v73, v72 offset:1
; %bb.72:                               ;   in Loop: Header=BB75_2 Depth=1
	s_or_saveexec_b64 s[20:21], s[20:21]
	v_mov_b32_e32 v74, v70
	s_xor_b64 exec, exec, s[20:21]
	s_cbranch_execz .LBB75_74
; %bb.73:                               ;   in Loop: Header=BB75_2 Depth=1
	ds_read_u8 v74, v71 offset:1
	s_waitcnt lgkmcnt(1)
	v_mov_b32_e32 v73, v69
.LBB75_74:                              ;   in Loop: Header=BB75_2 Depth=1
	s_or_b64 exec, exec, s[20:21]
	v_add_u32_e32 v75, 1, v72
	v_cndmask_b32_e64 v69, v69, v70, s[18:19]
	v_add_u32_e32 v70, 1, v71
	v_cndmask_b32_e64 v75, v75, v72, s[18:19]
	v_cndmask_b32_e64 v70, v71, v70, s[18:19]
	;; [unrolled: 1-line block ×3, first 2 shown]
	v_cmp_ge_i32_e64 s[18:19], v75, v15
	s_waitcnt lgkmcnt(0)
	v_cmp_lt_i16_sdwa s[20:21], sext(v74), sext(v73) src0_sel:BYTE_0 src1_sel:BYTE_0
	v_cndmask_b32_e64 v67, v67, v68, s[16:17]
	v_cndmask_b32_e64 v65, v65, v66, s[16:17]
	v_cmp_lt_i32_e64 s[16:17], v70, v14
	s_or_b64 s[18:19], s[18:19], s[20:21]
	s_and_b64 s[16:17], s[16:17], s[18:19]
	v_cndmask_b32_e64 v68, v75, v70, s[16:17]
	s_barrier
	ds_write_b8 v57, v62
	ds_write_b8 v57, v64 offset:1
	ds_write_b8 v57, v63 offset:2
	s_waitcnt lgkmcnt(0)
	s_barrier
	ds_read_u8 v62, v65
	ds_read_u8 v63, v68
	ds_read_u8 v64, v71
	v_cndmask_b32_e64 v66, v73, v74, s[16:17]
	s_waitcnt lgkmcnt(0)
	s_barrier
	ds_write_b8 v57, v67
	ds_write_b8 v57, v69 offset:1
	ds_write_b8 v57, v66 offset:2
	v_mov_b32_e32 v66, v51
	s_waitcnt lgkmcnt(0)
	s_barrier
	s_and_saveexec_b64 s[18:19], s[10:11]
	s_cbranch_execz .LBB75_78
; %bb.75:                               ;   in Loop: Header=BB75_2 Depth=1
	s_mov_b64 s[20:21], 0
	v_mov_b32_e32 v66, v51
	v_mov_b32_e32 v65, v24
.LBB75_76:                              ;   Parent Loop BB75_2 Depth=1
                                        ; =>  This Inner Loop Header: Depth=2
	v_sub_u32_e32 v67, v65, v66
	v_lshrrev_b32_e32 v67, 1, v67
	v_add_u32_e32 v67, v67, v66
	v_add_u32_e32 v68, v23, v67
	v_xad_u32 v69, v67, -1, v52
	ds_read_i8 v68, v68
	ds_read_i8 v69, v69 offset:192
	v_add_u32_e32 v70, 1, v67
	s_waitcnt lgkmcnt(0)
	v_cmp_lt_i16_e64 s[16:17], v69, v68
	v_cndmask_b32_e64 v65, v65, v67, s[16:17]
	v_cndmask_b32_e64 v66, v70, v66, s[16:17]
	v_cmp_ge_i32_e64 s[16:17], v66, v65
	s_or_b64 s[20:21], s[16:17], s[20:21]
	s_andn2_b64 exec, exec, s[20:21]
	s_cbranch_execnz .LBB75_76
; %bb.77:                               ;   in Loop: Header=BB75_2 Depth=1
	s_or_b64 exec, exec, s[20:21]
.LBB75_78:                              ;   in Loop: Header=BB75_2 Depth=1
	s_or_b64 exec, exec, s[18:19]
	v_add_u32_e32 v65, v66, v23
	v_sub_u32_e32 v71, v52, v66
	ds_read_u8 v67, v65
	ds_read_u8 v68, v71 offset:192
	v_sub_u32_e32 v66, v53, v66
	v_cmp_le_i32_e64 s[18:19], v17, v65
	v_cmp_gt_i32_e64 s[16:17], v16, v66
	s_waitcnt lgkmcnt(1)
	v_bfe_i32 v67, v67, 0, 8
	s_waitcnt lgkmcnt(0)
	v_bfe_i32 v68, v68, 0, 8
	v_cmp_lt_i16_e64 s[20:21], v68, v67
	s_or_b64 s[18:19], s[18:19], s[20:21]
	s_and_b64 s[16:17], s[16:17], s[18:19]
	s_xor_b64 s[18:19], s[16:17], -1
                                        ; implicit-def: $vgpr69
	s_and_saveexec_b64 s[20:21], s[18:19]
	s_xor_b64 s[18:19], exec, s[20:21]
; %bb.79:                               ;   in Loop: Header=BB75_2 Depth=1
	ds_read_u8 v69, v65 offset:1
                                        ; implicit-def: $vgpr71
; %bb.80:                               ;   in Loop: Header=BB75_2 Depth=1
	s_or_saveexec_b64 s[18:19], s[18:19]
	v_mov_b32_e32 v70, v68
	s_xor_b64 exec, exec, s[18:19]
	s_cbranch_execz .LBB75_82
; %bb.81:                               ;   in Loop: Header=BB75_2 Depth=1
	ds_read_u8 v70, v71 offset:193
	s_waitcnt lgkmcnt(1)
	v_mov_b32_e32 v69, v67
.LBB75_82:                              ;   in Loop: Header=BB75_2 Depth=1
	s_or_b64 exec, exec, s[18:19]
	v_add_u32_e32 v72, 1, v65
	v_add_u32_e32 v71, 1, v66
	v_cndmask_b32_e64 v72, v72, v65, s[16:17]
	v_cndmask_b32_e64 v71, v66, v71, s[16:17]
	v_cmp_ge_i32_e64 s[20:21], v72, v17
	s_waitcnt lgkmcnt(0)
	v_cmp_lt_i16_sdwa s[22:23], sext(v70), sext(v69) src0_sel:BYTE_0 src1_sel:BYTE_0
	v_cmp_lt_i32_e64 s[18:19], v71, v16
	s_or_b64 s[20:21], s[20:21], s[22:23]
	s_and_b64 s[18:19], s[18:19], s[20:21]
	s_xor_b64 s[20:21], s[18:19], -1
                                        ; implicit-def: $vgpr73
	s_and_saveexec_b64 s[22:23], s[20:21]
	s_xor_b64 s[20:21], exec, s[22:23]
; %bb.83:                               ;   in Loop: Header=BB75_2 Depth=1
	ds_read_u8 v73, v72 offset:1
; %bb.84:                               ;   in Loop: Header=BB75_2 Depth=1
	s_or_saveexec_b64 s[20:21], s[20:21]
	v_mov_b32_e32 v74, v70
	s_xor_b64 exec, exec, s[20:21]
	s_cbranch_execz .LBB75_86
; %bb.85:                               ;   in Loop: Header=BB75_2 Depth=1
	ds_read_u8 v74, v71 offset:1
	s_waitcnt lgkmcnt(1)
	v_mov_b32_e32 v73, v69
.LBB75_86:                              ;   in Loop: Header=BB75_2 Depth=1
	s_or_b64 exec, exec, s[20:21]
	v_add_u32_e32 v75, 1, v72
	v_cndmask_b32_e64 v69, v69, v70, s[18:19]
	v_add_u32_e32 v70, 1, v71
	v_cndmask_b32_e64 v75, v75, v72, s[18:19]
	v_cndmask_b32_e64 v70, v71, v70, s[18:19]
	;; [unrolled: 1-line block ×3, first 2 shown]
	v_cmp_ge_i32_e64 s[18:19], v75, v17
	s_waitcnt lgkmcnt(0)
	v_cmp_lt_i16_sdwa s[20:21], sext(v74), sext(v73) src0_sel:BYTE_0 src1_sel:BYTE_0
	v_cndmask_b32_e64 v67, v67, v68, s[16:17]
	v_cndmask_b32_e64 v65, v65, v66, s[16:17]
	v_cmp_lt_i32_e64 s[16:17], v70, v16
	s_or_b64 s[18:19], s[18:19], s[20:21]
	s_and_b64 s[16:17], s[16:17], s[18:19]
	v_cndmask_b32_e64 v68, v75, v70, s[16:17]
	s_barrier
	ds_write_b8 v57, v62
	ds_write_b8 v57, v64 offset:1
	ds_write_b8 v57, v63 offset:2
	s_waitcnt lgkmcnt(0)
	s_barrier
	ds_read_u8 v62, v65
	ds_read_u8 v63, v68
	;; [unrolled: 1-line block ×3, first 2 shown]
	v_cndmask_b32_e64 v66, v73, v74, s[16:17]
	s_waitcnt lgkmcnt(0)
	s_barrier
	ds_write_b8 v57, v67
	ds_write_b8 v57, v69 offset:1
	ds_write_b8 v57, v66 offset:2
	v_mov_b32_e32 v66, v54
	s_waitcnt lgkmcnt(0)
	s_barrier
	s_and_saveexec_b64 s[18:19], s[12:13]
	s_cbranch_execz .LBB75_90
; %bb.87:                               ;   in Loop: Header=BB75_2 Depth=1
	s_mov_b64 s[20:21], 0
	v_mov_b32_e32 v66, v54
	v_mov_b32_e32 v65, v28
.LBB75_88:                              ;   Parent Loop BB75_2 Depth=1
                                        ; =>  This Inner Loop Header: Depth=2
	v_sub_u32_e32 v67, v65, v66
	v_lshrrev_b32_e32 v67, 1, v67
	v_add_u32_e32 v67, v67, v66
	v_add_u32_e32 v68, v27, v67
	v_xad_u32 v69, v67, -1, v55
	ds_read_i8 v68, v68
	ds_read_i8 v69, v69 offset:384
	v_add_u32_e32 v70, 1, v67
	s_waitcnt lgkmcnt(0)
	v_cmp_lt_i16_e64 s[16:17], v69, v68
	v_cndmask_b32_e64 v65, v65, v67, s[16:17]
	v_cndmask_b32_e64 v66, v70, v66, s[16:17]
	v_cmp_ge_i32_e64 s[16:17], v66, v65
	s_or_b64 s[20:21], s[16:17], s[20:21]
	s_andn2_b64 exec, exec, s[20:21]
	s_cbranch_execnz .LBB75_88
; %bb.89:                               ;   in Loop: Header=BB75_2 Depth=1
	s_or_b64 exec, exec, s[20:21]
.LBB75_90:                              ;   in Loop: Header=BB75_2 Depth=1
	s_or_b64 exec, exec, s[18:19]
	v_add_u32_e32 v65, v66, v27
	v_sub_u32_e32 v71, v55, v66
	ds_read_u8 v67, v65
	ds_read_u8 v68, v71 offset:384
	v_sub_u32_e32 v66, v56, v66
	v_cmp_le_i32_e64 s[18:19], v26, v65
	v_cmp_gt_i32_e64 s[16:17], v25, v66
	s_waitcnt lgkmcnt(1)
	v_bfe_i32 v67, v67, 0, 8
	s_waitcnt lgkmcnt(0)
	v_bfe_i32 v68, v68, 0, 8
	v_cmp_lt_i16_e64 s[20:21], v68, v67
	s_or_b64 s[18:19], s[18:19], s[20:21]
	s_and_b64 s[16:17], s[16:17], s[18:19]
	s_xor_b64 s[18:19], s[16:17], -1
                                        ; implicit-def: $vgpr69
	s_and_saveexec_b64 s[20:21], s[18:19]
	s_xor_b64 s[18:19], exec, s[20:21]
; %bb.91:                               ;   in Loop: Header=BB75_2 Depth=1
	ds_read_u8 v69, v65 offset:1
                                        ; implicit-def: $vgpr71
; %bb.92:                               ;   in Loop: Header=BB75_2 Depth=1
	s_or_saveexec_b64 s[18:19], s[18:19]
	v_mov_b32_e32 v70, v68
	s_xor_b64 exec, exec, s[18:19]
	s_cbranch_execz .LBB75_94
; %bb.93:                               ;   in Loop: Header=BB75_2 Depth=1
	ds_read_u8 v70, v71 offset:385
	s_waitcnt lgkmcnt(1)
	v_mov_b32_e32 v69, v67
.LBB75_94:                              ;   in Loop: Header=BB75_2 Depth=1
	s_or_b64 exec, exec, s[18:19]
	v_add_u32_e32 v72, 1, v65
	v_add_u32_e32 v71, 1, v66
	v_cndmask_b32_e64 v72, v72, v65, s[16:17]
	v_cndmask_b32_e64 v71, v66, v71, s[16:17]
	v_cmp_ge_i32_e64 s[20:21], v72, v26
	s_waitcnt lgkmcnt(0)
	v_cmp_lt_i16_sdwa s[22:23], sext(v70), sext(v69) src0_sel:BYTE_0 src1_sel:BYTE_0
	v_cmp_lt_i32_e64 s[18:19], v71, v25
	s_or_b64 s[20:21], s[20:21], s[22:23]
	s_and_b64 s[18:19], s[18:19], s[20:21]
	s_xor_b64 s[20:21], s[18:19], -1
                                        ; implicit-def: $vgpr73
	s_and_saveexec_b64 s[22:23], s[20:21]
	s_xor_b64 s[20:21], exec, s[22:23]
; %bb.95:                               ;   in Loop: Header=BB75_2 Depth=1
	ds_read_u8 v73, v72 offset:1
; %bb.96:                               ;   in Loop: Header=BB75_2 Depth=1
	s_or_saveexec_b64 s[20:21], s[20:21]
	v_mov_b32_e32 v74, v70
	s_xor_b64 exec, exec, s[20:21]
	s_cbranch_execz .LBB75_98
; %bb.97:                               ;   in Loop: Header=BB75_2 Depth=1
	ds_read_u8 v74, v71 offset:1
	s_waitcnt lgkmcnt(1)
	v_mov_b32_e32 v73, v69
.LBB75_98:                              ;   in Loop: Header=BB75_2 Depth=1
	s_or_b64 exec, exec, s[20:21]
	v_add_u32_e32 v75, 1, v72
	v_cndmask_b32_e64 v69, v69, v70, s[18:19]
	v_add_u32_e32 v70, 1, v71
	v_cndmask_b32_e64 v75, v75, v72, s[18:19]
	v_cndmask_b32_e64 v70, v71, v70, s[18:19]
	;; [unrolled: 1-line block ×3, first 2 shown]
	v_cmp_ge_i32_e64 s[18:19], v75, v26
	s_waitcnt lgkmcnt(0)
	v_cmp_lt_i16_sdwa s[20:21], sext(v74), sext(v73) src0_sel:BYTE_0 src1_sel:BYTE_0
	v_cndmask_b32_e64 v67, v67, v68, s[16:17]
	v_cndmask_b32_e64 v65, v65, v66, s[16:17]
	v_cmp_lt_i32_e64 s[16:17], v70, v25
	s_or_b64 s[18:19], s[18:19], s[20:21]
	s_and_b64 s[16:17], s[16:17], s[18:19]
	v_cndmask_b32_e64 v68, v75, v70, s[16:17]
	s_barrier
	ds_write_b8 v57, v62
	ds_write_b8 v57, v64 offset:1
	ds_write_b8 v57, v63 offset:2
	s_waitcnt lgkmcnt(0)
	s_barrier
	ds_read_u8 v62, v65
	ds_read_u8 v63, v68
	;; [unrolled: 1-line block ×3, first 2 shown]
	v_mov_b32_e32 v65, v59
	v_cndmask_b32_e64 v66, v73, v74, s[16:17]
	s_waitcnt lgkmcnt(0)
	s_barrier
	ds_write_b8 v57, v67
	ds_write_b8 v57, v69 offset:1
	ds_write_b8 v57, v66 offset:2
	s_waitcnt lgkmcnt(0)
	s_barrier
	s_and_saveexec_b64 s[18:19], s[14:15]
	s_cbranch_execz .LBB75_102
; %bb.99:                               ;   in Loop: Header=BB75_2 Depth=1
	s_mov_b64 s[20:21], 0
	v_mov_b32_e32 v65, v59
	v_mov_b32_e32 v66, v60
.LBB75_100:                             ;   Parent Loop BB75_2 Depth=1
                                        ; =>  This Inner Loop Header: Depth=2
	v_sub_u32_e32 v67, v66, v65
	v_lshrrev_b32_e32 v67, 1, v67
	v_add_u32_e32 v67, v67, v65
	v_xad_u32 v68, v67, -1, v57
	ds_read_i8 v69, v67
	ds_read_i8 v68, v68 offset:768
	v_add_u32_e32 v70, 1, v67
	s_waitcnt lgkmcnt(0)
	v_cmp_lt_i16_e64 s[16:17], v68, v69
	v_cndmask_b32_e64 v66, v66, v67, s[16:17]
	v_cndmask_b32_e64 v65, v70, v65, s[16:17]
	v_cmp_ge_i32_e64 s[16:17], v65, v66
	s_or_b64 s[20:21], s[16:17], s[20:21]
	s_andn2_b64 exec, exec, s[20:21]
	s_cbranch_execnz .LBB75_100
; %bb.101:                              ;   in Loop: Header=BB75_2 Depth=1
	s_or_b64 exec, exec, s[20:21]
.LBB75_102:                             ;   in Loop: Header=BB75_2 Depth=1
	s_or_b64 exec, exec, s[18:19]
	v_sub_u32_e32 v71, v57, v65
	ds_read_u8 v67, v65
	ds_read_u8 v68, v71 offset:768
	v_sub_u32_e32 v66, v61, v65
	v_cmp_le_i32_e64 s[18:19], v58, v65
	v_cmp_gt_i32_e64 s[16:17], s29, v66
	s_waitcnt lgkmcnt(1)
	v_bfe_i32 v67, v67, 0, 8
	s_waitcnt lgkmcnt(0)
	v_bfe_i32 v68, v68, 0, 8
	v_cmp_lt_i16_e64 s[20:21], v68, v67
	s_or_b64 s[18:19], s[18:19], s[20:21]
	s_and_b64 s[16:17], s[16:17], s[18:19]
	s_xor_b64 s[18:19], s[16:17], -1
                                        ; implicit-def: $vgpr69
	s_and_saveexec_b64 s[20:21], s[18:19]
	s_xor_b64 s[18:19], exec, s[20:21]
; %bb.103:                              ;   in Loop: Header=BB75_2 Depth=1
	ds_read_u8 v69, v65 offset:1
                                        ; implicit-def: $vgpr71
; %bb.104:                              ;   in Loop: Header=BB75_2 Depth=1
	s_or_saveexec_b64 s[18:19], s[18:19]
	v_mov_b32_e32 v70, v68
	s_xor_b64 exec, exec, s[18:19]
	s_cbranch_execz .LBB75_106
; %bb.105:                              ;   in Loop: Header=BB75_2 Depth=1
	ds_read_u8 v70, v71 offset:769
	s_waitcnt lgkmcnt(1)
	v_mov_b32_e32 v69, v67
.LBB75_106:                             ;   in Loop: Header=BB75_2 Depth=1
	s_or_b64 exec, exec, s[18:19]
	v_add_u32_e32 v72, 1, v65
	v_add_u32_e32 v71, 1, v66
	v_cndmask_b32_e64 v75, v72, v65, s[16:17]
	v_cndmask_b32_e64 v71, v66, v71, s[16:17]
	v_cmp_ge_i32_e64 s[20:21], v75, v58
	s_waitcnt lgkmcnt(0)
	v_cmp_lt_i16_sdwa s[22:23], sext(v70), sext(v69) src0_sel:BYTE_0 src1_sel:BYTE_0
	v_cmp_gt_i32_e64 s[18:19], s29, v71
	s_or_b64 s[20:21], s[20:21], s[22:23]
	s_and_b64 s[18:19], s[18:19], s[20:21]
	s_xor_b64 s[20:21], s[18:19], -1
                                        ; implicit-def: $vgpr74
                                        ; implicit-def: $vgpr72
	s_and_saveexec_b64 s[22:23], s[20:21]
	s_xor_b64 s[20:21], exec, s[22:23]
; %bb.107:                              ;   in Loop: Header=BB75_2 Depth=1
	ds_read_u8 v74, v75 offset:1
	v_add_u32_e32 v72, 1, v75
; %bb.108:                              ;   in Loop: Header=BB75_2 Depth=1
	s_or_saveexec_b64 s[20:21], s[20:21]
	v_mov_b32_e32 v73, v75
	v_mov_b32_e32 v76, v70
	s_xor_b64 exec, exec, s[20:21]
	s_cbranch_execz .LBB75_1
; %bb.109:                              ;   in Loop: Header=BB75_2 Depth=1
	ds_read_u8 v76, v71 offset:1
	s_waitcnt lgkmcnt(1)
	v_add_u32_e32 v74, 1, v71
	v_mov_b32_e32 v73, v71
	v_mov_b32_e32 v72, v75
	;; [unrolled: 1-line block ×4, first 2 shown]
	s_branch .LBB75_1
.LBB75_110:
	s_add_u32 s0, s30, s33
	s_addc_u32 s1, s31, 0
	v_mov_b32_e32 v1, s1
	v_add_co_u32_e32 v0, vcc, s0, v0
	s_waitcnt lgkmcnt(2)
	v_add_u16_e32 v2, v67, v63
	v_addc_co_u32_e32 v1, vcc, 0, v1, vcc
	s_waitcnt lgkmcnt(1)
	v_add_u16_e32 v3, v68, v64
	s_waitcnt lgkmcnt(0)
	v_add_u16_e32 v4, v66, v62
	global_store_byte v[0:1], v2, off
	global_store_byte v[0:1], v3, off offset:512
	global_store_byte v[0:1], v4, off offset:1024
	s_endpgm
	.section	.rodata,"a",@progbits
	.p2align	6, 0x0
	.amdhsa_kernel _Z17sort_pairs_kernelIaLj512ELj3EN10test_utils4lessELj10EEvPKT_PS2_T2_
		.amdhsa_group_segment_fixed_size 1537
		.amdhsa_private_segment_fixed_size 0
		.amdhsa_kernarg_size 20
		.amdhsa_user_sgpr_count 6
		.amdhsa_user_sgpr_private_segment_buffer 1
		.amdhsa_user_sgpr_dispatch_ptr 0
		.amdhsa_user_sgpr_queue_ptr 0
		.amdhsa_user_sgpr_kernarg_segment_ptr 1
		.amdhsa_user_sgpr_dispatch_id 0
		.amdhsa_user_sgpr_flat_scratch_init 0
		.amdhsa_user_sgpr_private_segment_size 0
		.amdhsa_uses_dynamic_stack 0
		.amdhsa_system_sgpr_private_segment_wavefront_offset 0
		.amdhsa_system_sgpr_workgroup_id_x 1
		.amdhsa_system_sgpr_workgroup_id_y 0
		.amdhsa_system_sgpr_workgroup_id_z 0
		.amdhsa_system_sgpr_workgroup_info 0
		.amdhsa_system_vgpr_workitem_id 0
		.amdhsa_next_free_vgpr 78
		.amdhsa_next_free_sgpr 42
		.amdhsa_reserve_vcc 1
		.amdhsa_reserve_flat_scratch 0
		.amdhsa_float_round_mode_32 0
		.amdhsa_float_round_mode_16_64 0
		.amdhsa_float_denorm_mode_32 3
		.amdhsa_float_denorm_mode_16_64 3
		.amdhsa_dx10_clamp 1
		.amdhsa_ieee_mode 1
		.amdhsa_fp16_overflow 0
		.amdhsa_exception_fp_ieee_invalid_op 0
		.amdhsa_exception_fp_denorm_src 0
		.amdhsa_exception_fp_ieee_div_zero 0
		.amdhsa_exception_fp_ieee_overflow 0
		.amdhsa_exception_fp_ieee_underflow 0
		.amdhsa_exception_fp_ieee_inexact 0
		.amdhsa_exception_int_div_zero 0
	.end_amdhsa_kernel
	.section	.text._Z17sort_pairs_kernelIaLj512ELj3EN10test_utils4lessELj10EEvPKT_PS2_T2_,"axG",@progbits,_Z17sort_pairs_kernelIaLj512ELj3EN10test_utils4lessELj10EEvPKT_PS2_T2_,comdat
.Lfunc_end75:
	.size	_Z17sort_pairs_kernelIaLj512ELj3EN10test_utils4lessELj10EEvPKT_PS2_T2_, .Lfunc_end75-_Z17sort_pairs_kernelIaLj512ELj3EN10test_utils4lessELj10EEvPKT_PS2_T2_
                                        ; -- End function
	.set _Z17sort_pairs_kernelIaLj512ELj3EN10test_utils4lessELj10EEvPKT_PS2_T2_.num_vgpr, 78
	.set _Z17sort_pairs_kernelIaLj512ELj3EN10test_utils4lessELj10EEvPKT_PS2_T2_.num_agpr, 0
	.set _Z17sort_pairs_kernelIaLj512ELj3EN10test_utils4lessELj10EEvPKT_PS2_T2_.numbered_sgpr, 42
	.set _Z17sort_pairs_kernelIaLj512ELj3EN10test_utils4lessELj10EEvPKT_PS2_T2_.num_named_barrier, 0
	.set _Z17sort_pairs_kernelIaLj512ELj3EN10test_utils4lessELj10EEvPKT_PS2_T2_.private_seg_size, 0
	.set _Z17sort_pairs_kernelIaLj512ELj3EN10test_utils4lessELj10EEvPKT_PS2_T2_.uses_vcc, 1
	.set _Z17sort_pairs_kernelIaLj512ELj3EN10test_utils4lessELj10EEvPKT_PS2_T2_.uses_flat_scratch, 0
	.set _Z17sort_pairs_kernelIaLj512ELj3EN10test_utils4lessELj10EEvPKT_PS2_T2_.has_dyn_sized_stack, 0
	.set _Z17sort_pairs_kernelIaLj512ELj3EN10test_utils4lessELj10EEvPKT_PS2_T2_.has_recursion, 0
	.set _Z17sort_pairs_kernelIaLj512ELj3EN10test_utils4lessELj10EEvPKT_PS2_T2_.has_indirect_call, 0
	.section	.AMDGPU.csdata,"",@progbits
; Kernel info:
; codeLenInByte = 6696
; TotalNumSgprs: 46
; NumVgprs: 78
; ScratchSize: 0
; MemoryBound: 0
; FloatMode: 240
; IeeeMode: 1
; LDSByteSize: 1537 bytes/workgroup (compile time only)
; SGPRBlocks: 5
; VGPRBlocks: 19
; NumSGPRsForWavesPerEU: 46
; NumVGPRsForWavesPerEU: 78
; Occupancy: 3
; WaveLimiterHint : 1
; COMPUTE_PGM_RSRC2:SCRATCH_EN: 0
; COMPUTE_PGM_RSRC2:USER_SGPR: 6
; COMPUTE_PGM_RSRC2:TRAP_HANDLER: 0
; COMPUTE_PGM_RSRC2:TGID_X_EN: 1
; COMPUTE_PGM_RSRC2:TGID_Y_EN: 0
; COMPUTE_PGM_RSRC2:TGID_Z_EN: 0
; COMPUTE_PGM_RSRC2:TIDIG_COMP_CNT: 0
	.section	.text._Z16sort_keys_kernelIaLj512ELj4EN10test_utils4lessELj10EEvPKT_PS2_T2_,"axG",@progbits,_Z16sort_keys_kernelIaLj512ELj4EN10test_utils4lessELj10EEvPKT_PS2_T2_,comdat
	.protected	_Z16sort_keys_kernelIaLj512ELj4EN10test_utils4lessELj10EEvPKT_PS2_T2_ ; -- Begin function _Z16sort_keys_kernelIaLj512ELj4EN10test_utils4lessELj10EEvPKT_PS2_T2_
	.globl	_Z16sort_keys_kernelIaLj512ELj4EN10test_utils4lessELj10EEvPKT_PS2_T2_
	.p2align	8
	.type	_Z16sort_keys_kernelIaLj512ELj4EN10test_utils4lessELj10EEvPKT_PS2_T2_,@function
_Z16sort_keys_kernelIaLj512ELj4EN10test_utils4lessELj10EEvPKT_PS2_T2_: ; @_Z16sort_keys_kernelIaLj512ELj4EN10test_utils4lessELj10EEvPKT_PS2_T2_
; %bb.0:
	s_load_dwordx4 s[24:27], s[4:5], 0x0
	s_lshl_b32 s28, s6, 11
	v_lshlrev_b32_e32 v1, 2, v0
	v_and_b32_e32 v2, 0x7f8, v1
	v_and_b32_e32 v3, 0x7f0, v1
	s_waitcnt lgkmcnt(0)
	s_add_u32 s0, s24, s28
	s_addc_u32 s1, s25, 0
	global_load_ubyte v38, v0, s[0:1] offset:512
	global_load_ubyte v39, v0, s[0:1] offset:1024
	;; [unrolled: 1-line block ×3, first 2 shown]
	global_load_ubyte v41, v0, s[0:1]
	v_or_b32_e32 v10, 4, v2
	v_add_u32_e32 v11, 8, v2
	v_and_b32_e32 v34, 4, v1
	v_and_b32_e32 v4, 0x7e0, v1
	v_or_b32_e32 v12, 8, v3
	v_add_u32_e32 v13, 16, v3
	v_sub_u32_e32 v44, v11, v10
	s_mov_b32 s6, 0xc0c0004
	v_and_b32_e32 v35, 12, v1
	v_and_b32_e32 v5, 0x7c0, v1
	;; [unrolled: 1-line block ×6, first 2 shown]
	v_or_b32_e32 v14, 16, v4
	v_add_u32_e32 v15, 32, v4
	v_sub_u32_e32 v45, v13, v12
	v_sub_u32_e32 v30, v10, v2
	;; [unrolled: 1-line block ×3, first 2 shown]
	v_cmp_ge_i32_e32 vcc, v34, v44
	v_and_b32_e32 v36, 28, v1
	v_or_b32_e32 v16, 32, v5
	v_add_u32_e32 v17, 64, v5
	v_or_b32_e32 v18, 64, v6
	v_add_u32_e32 v19, 0x80, v6
	;; [unrolled: 2-line block ×5, first 2 shown]
	v_sub_u32_e32 v47, v15, v14
	v_add_u32_e32 v26, v10, v34
	v_sub_u32_e32 v31, v12, v3
	v_sub_u32_e32 v55, v35, v45
	v_min_i32_e32 v30, v34, v30
	v_cndmask_b32_e32 v34, 0, v54, vcc
	v_cmp_ge_i32_e32 vcc, v35, v45
	v_and_b32_e32 v37, 60, v1
	v_and_b32_e32 v42, 0x7c, v1
	;; [unrolled: 1-line block ×5, first 2 shown]
	v_sub_u32_e32 v48, v17, v16
	v_sub_u32_e32 v50, v19, v18
	;; [unrolled: 1-line block ×5, first 2 shown]
	v_add_u32_e32 v27, v12, v35
	v_sub_u32_e32 v32, v14, v4
	v_sub_u32_e32 v56, v36, v47
	v_min_i32_e32 v31, v35, v31
	v_cndmask_b32_e32 v35, 0, v55, vcc
	v_cmp_ge_i32_e32 vcc, v36, v47
	v_add_u32_e32 v28, v14, v36
	v_sub_u32_e32 v33, v16, v5
	v_sub_u32_e32 v57, v37, v48
	;; [unrolled: 1-line block ×6, first 2 shown]
	v_min_i32_e32 v32, v36, v32
	v_cndmask_b32_e32 v36, 0, v56, vcc
	v_cmp_ge_i32_e32 vcc, v37, v48
	v_cmp_ge_i32_e64 s[8:9], v43, v51
	v_cmp_ge_i32_e64 s[10:11], v46, v52
	v_sub_u32_e32 v45, v22, v8
	v_cmp_ge_i32_e64 s[12:13], v49, v53
	v_sub_u32_e32 v48, v24, v9
	v_add_u32_e32 v29, v16, v37
	v_min_i32_e32 v33, v37, v33
	v_cndmask_b32_e32 v37, 0, v57, vcc
	v_cndmask_b32_e64 v44, 0, v60, s[10:11]
	v_min_i32_e32 v45, v46, v45
	v_cndmask_b32_e64 v47, 0, v61, s[12:13]
	v_min_i32_e32 v48, v49, v48
	v_min_i32_e32 v52, 0x400, v1
	s_mov_b32 s24, 0
	s_waitcnt vmcnt(1)
	v_perm_b32 v39, v39, v40, s6
	s_waitcnt vmcnt(0)
	v_perm_b32 v38, v41, v38, s6
	v_lshl_or_b32 v54, v39, 16, v38
	v_sub_u32_e32 v39, v18, v6
	v_cmp_ge_i32_e64 s[6:7], v42, v50
	v_min_i32_e32 v39, v42, v39
	v_add_u32_e32 v40, v18, v42
	v_sub_u32_e32 v42, v20, v7
	v_mov_b32_e32 v50, 0x400
	v_cndmask_b32_e64 v38, 0, v58, s[6:7]
	v_cndmask_b32_e64 v41, 0, v59, s[8:9]
	v_min_i32_e32 v42, v43, v42
	v_sub_u32_e64 v51, v1, v50 clamp
	v_cmp_lt_i32_e32 vcc, v34, v30
	v_cmp_lt_i32_e64 s[0:1], v35, v31
	v_cmp_lt_i32_e64 s[2:3], v36, v32
	v_cmp_lt_i32_e64 s[4:5], v37, v33
	v_cmp_lt_i32_e64 s[6:7], v38, v39
	v_cmp_lt_i32_e64 s[8:9], v41, v42
	v_add_u32_e32 v43, v20, v43
	v_cmp_lt_i32_e64 s[10:11], v44, v45
	v_add_u32_e32 v46, v22, v46
	v_cmp_lt_i32_e64 s[12:13], v47, v48
	;; [unrolled: 2-line block ×3, first 2 shown]
	s_mov_b32 s25, 0x7060405
	s_mov_b32 s29, 0xc0c0001
	;; [unrolled: 1-line block ×5, first 2 shown]
	s_movk_i32 s34, 0x800
	v_add_u32_e32 v53, 0x400, v1
	s_branch .LBB76_2
.LBB76_1:                               ;   in Loop: Header=BB76_2 Depth=1
	s_or_b64 exec, exec, s[22:23]
	v_cndmask_b32_e64 v56, v56, v57, s[18:19]
	v_cndmask_b32_e64 v57, v58, v59, s[20:21]
	v_cmp_ge_i32_e64 s[18:19], v62, v50
	s_waitcnt lgkmcnt(0)
	v_cmp_lt_i16_sdwa s[20:21], sext(v64), sext(v61) src0_sel:BYTE_0 src1_sel:BYTE_0
	v_cndmask_b32_e64 v55, v54, v55, s[16:17]
	v_cmp_gt_i32_e64 s[16:17], s34, v60
	s_or_b64 s[18:19], s[18:19], s[20:21]
	s_and_b64 s[16:17], s[16:17], s[18:19]
	v_cndmask_b32_e64 v58, v61, v64, s[16:17]
	v_lshlrev_b16_e32 v54, 8, v56
	v_lshlrev_b16_e32 v59, 8, v58
	v_or_b32_sdwa v54, v55, v54 dst_sel:DWORD dst_unused:UNUSED_PAD src0_sel:BYTE_0 src1_sel:DWORD
	v_or_b32_sdwa v59, v57, v59 dst_sel:WORD_1 dst_unused:UNUSED_PAD src0_sel:BYTE_0 src1_sel:DWORD
	s_add_i32 s24, s24, 1
	s_cmp_eq_u32 s24, 10
	v_or_b32_sdwa v54, v54, v59 dst_sel:DWORD dst_unused:UNUSED_PAD src0_sel:WORD_0 src1_sel:DWORD
	s_cbranch_scc1 .LBB76_146
.LBB76_2:                               ; =>This Loop Header: Depth=1
                                        ;     Child Loop BB76_4 Depth 2
                                        ;     Child Loop BB76_20 Depth 2
	;; [unrolled: 1-line block ×9, first 2 shown]
	v_lshrrev_b32_e32 v56, 8, v54
	v_perm_b32 v55, v54, v54, s25
	v_cmp_lt_i16_sdwa s[16:17], sext(v56), sext(v54) src0_sel:BYTE_0 src1_sel:BYTE_0
	v_cndmask_b32_e64 v55, v54, v55, s[16:17]
	v_lshrrev_b32_e32 v57, 16, v55
	v_perm_b32 v58, 0, v57, s29
	v_min_i16_sdwa v59, sext(v56), sext(v54) dst_sel:DWORD dst_unused:UNUSED_PAD src0_sel:BYTE_0 src1_sel:BYTE_0
	v_max_i16_sdwa v54, sext(v56), sext(v54) dst_sel:DWORD dst_unused:UNUSED_PAD src0_sel:BYTE_0 src1_sel:BYTE_0
	v_lshrrev_b32_e32 v56, 24, v55
	v_lshlrev_b32_e32 v58, 16, v58
	v_and_or_b32 v58, v55, s30, v58
	v_cmp_lt_i16_sdwa s[16:17], sext(v56), sext(v57) src0_sel:BYTE_0 src1_sel:BYTE_0
	v_cndmask_b32_e64 v55, v55, v58, s[16:17]
	v_max_i16_sdwa v58, sext(v56), sext(v57) dst_sel:DWORD dst_unused:UNUSED_PAD src0_sel:BYTE_0 src1_sel:BYTE_0
	v_min_i16_sdwa v56, sext(v56), sext(v57) dst_sel:DWORD dst_unused:UNUSED_PAD src0_sel:BYTE_0 src1_sel:BYTE_0
	v_lshlrev_b16_e32 v57, 8, v56
	v_or_b32_sdwa v57, v55, v57 dst_sel:DWORD dst_unused:UNUSED_PAD src0_sel:BYTE_0 src1_sel:DWORD
	v_and_b32_e32 v57, 0xffff, v57
	v_perm_b32 v60, v54, v55, s31
	v_lshl_or_b32 v57, v60, 16, v57
	v_cmp_lt_i16_e64 s[16:17], v56, v54
	v_cndmask_b32_e64 v55, v55, v57, s[16:17]
	v_min_i16_e32 v57, v56, v54
	v_lshlrev_b16_e32 v60, 8, v59
	v_or_b32_sdwa v60, v57, v60 dst_sel:DWORD dst_unused:UNUSED_PAD src0_sel:BYTE_0 src1_sel:DWORD
	v_and_b32_e32 v60, 0xffff, v60
	v_max_i16_e32 v61, v56, v54
	v_cmp_lt_i16_e64 s[16:17], v56, v59
	v_and_or_b32 v60, v55, s33, v60
	v_cndmask_b32_e64 v56, v57, v59, s[16:17]
	v_lshlrev_b16_e32 v57, 8, v61
	v_cndmask_b32_e64 v55, v55, v60, s[16:17]
	v_or_b32_sdwa v57, v58, v57 dst_sel:WORD_1 dst_unused:UNUSED_PAD src0_sel:BYTE_0 src1_sel:DWORD
	v_and_or_b32 v57, v55, s30, v57
	v_cmp_gt_i16_e64 s[16:17], v54, v58
	v_cndmask_b32_e64 v54, v55, v57, s[16:17]
	v_cndmask_b32_e64 v55, v61, v58, s[16:17]
	v_lshlrev_b16_e32 v57, 8, v55
	v_or_b32_sdwa v57, v54, v57 dst_sel:DWORD dst_unused:UNUSED_PAD src0_sel:BYTE_0 src1_sel:DWORD
	v_and_b32_e32 v57, 0xffff, v57
	v_perm_b32 v58, v56, v54, s31
	v_lshl_or_b32 v57, v58, 16, v57
	v_cmp_lt_i16_e64 s[16:17], v55, v56
	v_cndmask_b32_e64 v54, v54, v57, s[16:17]
	s_barrier
	ds_write_b32 v1, v54
	v_mov_b32_e32 v54, v34
	s_waitcnt lgkmcnt(0)
	s_barrier
	s_and_saveexec_b64 s[18:19], vcc
	s_cbranch_execz .LBB76_6
; %bb.3:                                ;   in Loop: Header=BB76_2 Depth=1
	s_mov_b64 s[20:21], 0
	v_mov_b32_e32 v54, v34
	v_mov_b32_e32 v55, v30
.LBB76_4:                               ;   Parent Loop BB76_2 Depth=1
                                        ; =>  This Inner Loop Header: Depth=2
	v_sub_u32_e32 v56, v55, v54
	v_lshrrev_b32_e32 v56, 1, v56
	v_add_u32_e32 v56, v56, v54
	v_add_u32_e32 v57, v2, v56
	v_xad_u32 v58, v56, -1, v26
	ds_read_i8 v57, v57
	ds_read_i8 v58, v58
	v_add_u32_e32 v59, 1, v56
	s_waitcnt lgkmcnt(0)
	v_cmp_lt_i16_e64 s[16:17], v58, v57
	v_cndmask_b32_e64 v55, v55, v56, s[16:17]
	v_cndmask_b32_e64 v54, v59, v54, s[16:17]
	v_cmp_ge_i32_e64 s[16:17], v54, v55
	s_or_b64 s[20:21], s[16:17], s[20:21]
	s_andn2_b64 exec, exec, s[20:21]
	s_cbranch_execnz .LBB76_4
; %bb.5:                                ;   in Loop: Header=BB76_2 Depth=1
	s_or_b64 exec, exec, s[20:21]
.LBB76_6:                               ;   in Loop: Header=BB76_2 Depth=1
	s_or_b64 exec, exec, s[18:19]
	v_add_u32_e32 v58, v54, v2
	v_sub_u32_e32 v59, v26, v54
	ds_read_u8 v54, v58
	ds_read_u8 v55, v59
	v_cmp_le_i32_e64 s[18:19], v10, v58
	v_cmp_gt_i32_e64 s[16:17], v11, v59
                                        ; implicit-def: $vgpr56
	s_waitcnt lgkmcnt(1)
	v_bfe_i32 v54, v54, 0, 8
	s_waitcnt lgkmcnt(0)
	v_bfe_i32 v55, v55, 0, 8
	v_cmp_lt_i16_e64 s[20:21], v55, v54
	s_or_b64 s[18:19], s[18:19], s[20:21]
	s_and_b64 s[16:17], s[16:17], s[18:19]
	s_xor_b64 s[18:19], s[16:17], -1
	s_and_saveexec_b64 s[20:21], s[18:19]
	s_xor_b64 s[18:19], exec, s[20:21]
; %bb.7:                                ;   in Loop: Header=BB76_2 Depth=1
	ds_read_u8 v56, v58 offset:1
; %bb.8:                                ;   in Loop: Header=BB76_2 Depth=1
	s_or_saveexec_b64 s[18:19], s[18:19]
	v_mov_b32_e32 v57, v55
	s_xor_b64 exec, exec, s[18:19]
	s_cbranch_execz .LBB76_10
; %bb.9:                                ;   in Loop: Header=BB76_2 Depth=1
	ds_read_u8 v57, v59 offset:1
	s_waitcnt lgkmcnt(1)
	v_mov_b32_e32 v56, v54
.LBB76_10:                              ;   in Loop: Header=BB76_2 Depth=1
	s_or_b64 exec, exec, s[18:19]
	v_add_u32_e32 v61, 1, v58
	v_add_u32_e32 v60, 1, v59
	v_cndmask_b32_e64 v61, v61, v58, s[16:17]
	v_cndmask_b32_e64 v60, v59, v60, s[16:17]
	v_cmp_ge_i32_e64 s[20:21], v61, v10
	s_waitcnt lgkmcnt(0)
	v_cmp_lt_i16_sdwa s[22:23], sext(v57), sext(v56) src0_sel:BYTE_0 src1_sel:BYTE_0
	v_cmp_lt_i32_e64 s[18:19], v60, v11
	s_or_b64 s[20:21], s[20:21], s[22:23]
	s_and_b64 s[18:19], s[18:19], s[20:21]
	s_xor_b64 s[20:21], s[18:19], -1
                                        ; implicit-def: $vgpr58
	s_and_saveexec_b64 s[22:23], s[20:21]
	s_xor_b64 s[20:21], exec, s[22:23]
; %bb.11:                               ;   in Loop: Header=BB76_2 Depth=1
	ds_read_u8 v58, v61 offset:1
; %bb.12:                               ;   in Loop: Header=BB76_2 Depth=1
	s_or_saveexec_b64 s[20:21], s[20:21]
	v_mov_b32_e32 v59, v57
	s_xor_b64 exec, exec, s[20:21]
	s_cbranch_execz .LBB76_14
; %bb.13:                               ;   in Loop: Header=BB76_2 Depth=1
	ds_read_u8 v59, v60 offset:1
	s_waitcnt lgkmcnt(1)
	v_mov_b32_e32 v58, v56
.LBB76_14:                              ;   in Loop: Header=BB76_2 Depth=1
	s_or_b64 exec, exec, s[20:21]
	v_add_u32_e32 v63, 1, v61
	v_add_u32_e32 v62, 1, v60
	v_cndmask_b32_e64 v61, v63, v61, s[18:19]
	v_cndmask_b32_e64 v60, v60, v62, s[18:19]
	v_cmp_ge_i32_e64 s[22:23], v61, v10
	s_waitcnt lgkmcnt(0)
	v_cmp_lt_i16_sdwa s[36:37], sext(v59), sext(v58) src0_sel:BYTE_0 src1_sel:BYTE_0
	v_cmp_lt_i32_e64 s[20:21], v60, v11
	s_or_b64 s[22:23], s[22:23], s[36:37]
	s_and_b64 s[20:21], s[20:21], s[22:23]
	s_xor_b64 s[22:23], s[20:21], -1
                                        ; implicit-def: $vgpr62
	s_and_saveexec_b64 s[36:37], s[22:23]
	s_xor_b64 s[22:23], exec, s[36:37]
; %bb.15:                               ;   in Loop: Header=BB76_2 Depth=1
	ds_read_u8 v62, v61 offset:1
; %bb.16:                               ;   in Loop: Header=BB76_2 Depth=1
	s_or_saveexec_b64 s[22:23], s[22:23]
	v_mov_b32_e32 v63, v59
	s_xor_b64 exec, exec, s[22:23]
	s_cbranch_execz .LBB76_18
; %bb.17:                               ;   in Loop: Header=BB76_2 Depth=1
	ds_read_u8 v63, v60 offset:1
	s_waitcnt lgkmcnt(1)
	v_mov_b32_e32 v62, v58
.LBB76_18:                              ;   in Loop: Header=BB76_2 Depth=1
	s_or_b64 exec, exec, s[22:23]
	v_cndmask_b32_e64 v58, v58, v59, s[20:21]
	v_add_u32_e32 v59, 1, v60
	v_add_u32_e32 v64, 1, v61
	v_cndmask_b32_e64 v59, v60, v59, s[20:21]
	v_cndmask_b32_e64 v60, v64, v61, s[20:21]
	;; [unrolled: 1-line block ×3, first 2 shown]
	v_cmp_ge_i32_e64 s[18:19], v60, v10
	s_waitcnt lgkmcnt(0)
	v_cmp_lt_i16_sdwa s[20:21], sext(v63), sext(v62) src0_sel:BYTE_0 src1_sel:BYTE_0
	v_cndmask_b32_e64 v54, v54, v55, s[16:17]
	v_cmp_lt_i32_e64 s[16:17], v59, v11
	s_or_b64 s[18:19], s[18:19], s[20:21]
	s_and_b64 s[16:17], s[16:17], s[18:19]
	v_cndmask_b32_e64 v55, v62, v63, s[16:17]
	s_barrier
	ds_write_b8 v1, v54
	ds_write_b8 v1, v56 offset:1
	ds_write_b8 v1, v58 offset:2
	;; [unrolled: 1-line block ×3, first 2 shown]
	v_mov_b32_e32 v54, v35
	s_waitcnt lgkmcnt(0)
	s_barrier
	s_and_saveexec_b64 s[18:19], s[0:1]
	s_cbranch_execz .LBB76_22
; %bb.19:                               ;   in Loop: Header=BB76_2 Depth=1
	s_mov_b64 s[20:21], 0
	v_mov_b32_e32 v54, v35
	v_mov_b32_e32 v55, v31
.LBB76_20:                              ;   Parent Loop BB76_2 Depth=1
                                        ; =>  This Inner Loop Header: Depth=2
	v_sub_u32_e32 v56, v55, v54
	v_lshrrev_b32_e32 v56, 1, v56
	v_add_u32_e32 v56, v56, v54
	v_add_u32_e32 v57, v3, v56
	v_xad_u32 v58, v56, -1, v27
	ds_read_i8 v57, v57
	ds_read_i8 v58, v58
	v_add_u32_e32 v59, 1, v56
	s_waitcnt lgkmcnt(0)
	v_cmp_lt_i16_e64 s[16:17], v58, v57
	v_cndmask_b32_e64 v55, v55, v56, s[16:17]
	v_cndmask_b32_e64 v54, v59, v54, s[16:17]
	v_cmp_ge_i32_e64 s[16:17], v54, v55
	s_or_b64 s[20:21], s[16:17], s[20:21]
	s_andn2_b64 exec, exec, s[20:21]
	s_cbranch_execnz .LBB76_20
; %bb.21:                               ;   in Loop: Header=BB76_2 Depth=1
	s_or_b64 exec, exec, s[20:21]
.LBB76_22:                              ;   in Loop: Header=BB76_2 Depth=1
	s_or_b64 exec, exec, s[18:19]
	v_add_u32_e32 v58, v54, v3
	v_sub_u32_e32 v59, v27, v54
	ds_read_u8 v54, v58
	ds_read_u8 v55, v59
	v_cmp_le_i32_e64 s[18:19], v12, v58
	v_cmp_gt_i32_e64 s[16:17], v13, v59
                                        ; implicit-def: $vgpr56
	s_waitcnt lgkmcnt(1)
	v_bfe_i32 v54, v54, 0, 8
	s_waitcnt lgkmcnt(0)
	v_bfe_i32 v55, v55, 0, 8
	v_cmp_lt_i16_e64 s[20:21], v55, v54
	s_or_b64 s[18:19], s[18:19], s[20:21]
	s_and_b64 s[16:17], s[16:17], s[18:19]
	s_xor_b64 s[18:19], s[16:17], -1
	s_and_saveexec_b64 s[20:21], s[18:19]
	s_xor_b64 s[18:19], exec, s[20:21]
; %bb.23:                               ;   in Loop: Header=BB76_2 Depth=1
	ds_read_u8 v56, v58 offset:1
; %bb.24:                               ;   in Loop: Header=BB76_2 Depth=1
	s_or_saveexec_b64 s[18:19], s[18:19]
	v_mov_b32_e32 v57, v55
	s_xor_b64 exec, exec, s[18:19]
	s_cbranch_execz .LBB76_26
; %bb.25:                               ;   in Loop: Header=BB76_2 Depth=1
	ds_read_u8 v57, v59 offset:1
	s_waitcnt lgkmcnt(1)
	v_mov_b32_e32 v56, v54
.LBB76_26:                              ;   in Loop: Header=BB76_2 Depth=1
	s_or_b64 exec, exec, s[18:19]
	v_add_u32_e32 v61, 1, v58
	v_add_u32_e32 v60, 1, v59
	v_cndmask_b32_e64 v61, v61, v58, s[16:17]
	v_cndmask_b32_e64 v60, v59, v60, s[16:17]
	v_cmp_ge_i32_e64 s[20:21], v61, v12
	s_waitcnt lgkmcnt(0)
	v_cmp_lt_i16_sdwa s[22:23], sext(v57), sext(v56) src0_sel:BYTE_0 src1_sel:BYTE_0
	v_cmp_lt_i32_e64 s[18:19], v60, v13
	s_or_b64 s[20:21], s[20:21], s[22:23]
	s_and_b64 s[18:19], s[18:19], s[20:21]
	s_xor_b64 s[20:21], s[18:19], -1
                                        ; implicit-def: $vgpr58
	s_and_saveexec_b64 s[22:23], s[20:21]
	s_xor_b64 s[20:21], exec, s[22:23]
; %bb.27:                               ;   in Loop: Header=BB76_2 Depth=1
	ds_read_u8 v58, v61 offset:1
; %bb.28:                               ;   in Loop: Header=BB76_2 Depth=1
	s_or_saveexec_b64 s[20:21], s[20:21]
	v_mov_b32_e32 v59, v57
	s_xor_b64 exec, exec, s[20:21]
	s_cbranch_execz .LBB76_30
; %bb.29:                               ;   in Loop: Header=BB76_2 Depth=1
	ds_read_u8 v59, v60 offset:1
	s_waitcnt lgkmcnt(1)
	v_mov_b32_e32 v58, v56
.LBB76_30:                              ;   in Loop: Header=BB76_2 Depth=1
	s_or_b64 exec, exec, s[20:21]
	v_add_u32_e32 v63, 1, v61
	v_add_u32_e32 v62, 1, v60
	v_cndmask_b32_e64 v61, v63, v61, s[18:19]
	v_cndmask_b32_e64 v60, v60, v62, s[18:19]
	v_cmp_ge_i32_e64 s[22:23], v61, v12
	s_waitcnt lgkmcnt(0)
	v_cmp_lt_i16_sdwa s[36:37], sext(v59), sext(v58) src0_sel:BYTE_0 src1_sel:BYTE_0
	v_cmp_lt_i32_e64 s[20:21], v60, v13
	s_or_b64 s[22:23], s[22:23], s[36:37]
	s_and_b64 s[20:21], s[20:21], s[22:23]
	s_xor_b64 s[22:23], s[20:21], -1
                                        ; implicit-def: $vgpr62
	s_and_saveexec_b64 s[36:37], s[22:23]
	s_xor_b64 s[22:23], exec, s[36:37]
; %bb.31:                               ;   in Loop: Header=BB76_2 Depth=1
	ds_read_u8 v62, v61 offset:1
; %bb.32:                               ;   in Loop: Header=BB76_2 Depth=1
	s_or_saveexec_b64 s[22:23], s[22:23]
	v_mov_b32_e32 v63, v59
	s_xor_b64 exec, exec, s[22:23]
	s_cbranch_execz .LBB76_34
; %bb.33:                               ;   in Loop: Header=BB76_2 Depth=1
	ds_read_u8 v63, v60 offset:1
	s_waitcnt lgkmcnt(1)
	v_mov_b32_e32 v62, v58
.LBB76_34:                              ;   in Loop: Header=BB76_2 Depth=1
	s_or_b64 exec, exec, s[22:23]
	v_cndmask_b32_e64 v58, v58, v59, s[20:21]
	v_add_u32_e32 v59, 1, v60
	v_add_u32_e32 v64, 1, v61
	v_cndmask_b32_e64 v59, v60, v59, s[20:21]
	v_cndmask_b32_e64 v60, v64, v61, s[20:21]
	;; [unrolled: 1-line block ×3, first 2 shown]
	v_cmp_ge_i32_e64 s[18:19], v60, v12
	s_waitcnt lgkmcnt(0)
	v_cmp_lt_i16_sdwa s[20:21], sext(v63), sext(v62) src0_sel:BYTE_0 src1_sel:BYTE_0
	v_cndmask_b32_e64 v54, v54, v55, s[16:17]
	v_cmp_lt_i32_e64 s[16:17], v59, v13
	s_or_b64 s[18:19], s[18:19], s[20:21]
	s_and_b64 s[16:17], s[16:17], s[18:19]
	v_cndmask_b32_e64 v55, v62, v63, s[16:17]
	s_barrier
	ds_write_b8 v1, v54
	ds_write_b8 v1, v56 offset:1
	ds_write_b8 v1, v58 offset:2
	;; [unrolled: 1-line block ×3, first 2 shown]
	v_mov_b32_e32 v54, v36
	s_waitcnt lgkmcnt(0)
	s_barrier
	s_and_saveexec_b64 s[18:19], s[2:3]
	s_cbranch_execz .LBB76_38
; %bb.35:                               ;   in Loop: Header=BB76_2 Depth=1
	s_mov_b64 s[20:21], 0
	v_mov_b32_e32 v54, v36
	v_mov_b32_e32 v55, v32
.LBB76_36:                              ;   Parent Loop BB76_2 Depth=1
                                        ; =>  This Inner Loop Header: Depth=2
	v_sub_u32_e32 v56, v55, v54
	v_lshrrev_b32_e32 v56, 1, v56
	v_add_u32_e32 v56, v56, v54
	v_add_u32_e32 v57, v4, v56
	v_xad_u32 v58, v56, -1, v28
	ds_read_i8 v57, v57
	ds_read_i8 v58, v58
	v_add_u32_e32 v59, 1, v56
	s_waitcnt lgkmcnt(0)
	v_cmp_lt_i16_e64 s[16:17], v58, v57
	v_cndmask_b32_e64 v55, v55, v56, s[16:17]
	v_cndmask_b32_e64 v54, v59, v54, s[16:17]
	v_cmp_ge_i32_e64 s[16:17], v54, v55
	s_or_b64 s[20:21], s[16:17], s[20:21]
	s_andn2_b64 exec, exec, s[20:21]
	s_cbranch_execnz .LBB76_36
; %bb.37:                               ;   in Loop: Header=BB76_2 Depth=1
	s_or_b64 exec, exec, s[20:21]
.LBB76_38:                              ;   in Loop: Header=BB76_2 Depth=1
	s_or_b64 exec, exec, s[18:19]
	v_add_u32_e32 v58, v54, v4
	v_sub_u32_e32 v59, v28, v54
	ds_read_u8 v54, v58
	ds_read_u8 v55, v59
	v_cmp_le_i32_e64 s[18:19], v14, v58
	v_cmp_gt_i32_e64 s[16:17], v15, v59
                                        ; implicit-def: $vgpr56
	s_waitcnt lgkmcnt(1)
	v_bfe_i32 v54, v54, 0, 8
	s_waitcnt lgkmcnt(0)
	v_bfe_i32 v55, v55, 0, 8
	v_cmp_lt_i16_e64 s[20:21], v55, v54
	s_or_b64 s[18:19], s[18:19], s[20:21]
	s_and_b64 s[16:17], s[16:17], s[18:19]
	s_xor_b64 s[18:19], s[16:17], -1
	s_and_saveexec_b64 s[20:21], s[18:19]
	s_xor_b64 s[18:19], exec, s[20:21]
; %bb.39:                               ;   in Loop: Header=BB76_2 Depth=1
	ds_read_u8 v56, v58 offset:1
; %bb.40:                               ;   in Loop: Header=BB76_2 Depth=1
	s_or_saveexec_b64 s[18:19], s[18:19]
	v_mov_b32_e32 v57, v55
	s_xor_b64 exec, exec, s[18:19]
	s_cbranch_execz .LBB76_42
; %bb.41:                               ;   in Loop: Header=BB76_2 Depth=1
	ds_read_u8 v57, v59 offset:1
	s_waitcnt lgkmcnt(1)
	v_mov_b32_e32 v56, v54
.LBB76_42:                              ;   in Loop: Header=BB76_2 Depth=1
	s_or_b64 exec, exec, s[18:19]
	v_add_u32_e32 v61, 1, v58
	v_add_u32_e32 v60, 1, v59
	v_cndmask_b32_e64 v61, v61, v58, s[16:17]
	v_cndmask_b32_e64 v60, v59, v60, s[16:17]
	v_cmp_ge_i32_e64 s[20:21], v61, v14
	s_waitcnt lgkmcnt(0)
	v_cmp_lt_i16_sdwa s[22:23], sext(v57), sext(v56) src0_sel:BYTE_0 src1_sel:BYTE_0
	v_cmp_lt_i32_e64 s[18:19], v60, v15
	s_or_b64 s[20:21], s[20:21], s[22:23]
	s_and_b64 s[18:19], s[18:19], s[20:21]
	s_xor_b64 s[20:21], s[18:19], -1
                                        ; implicit-def: $vgpr58
	s_and_saveexec_b64 s[22:23], s[20:21]
	s_xor_b64 s[20:21], exec, s[22:23]
; %bb.43:                               ;   in Loop: Header=BB76_2 Depth=1
	ds_read_u8 v58, v61 offset:1
; %bb.44:                               ;   in Loop: Header=BB76_2 Depth=1
	s_or_saveexec_b64 s[20:21], s[20:21]
	v_mov_b32_e32 v59, v57
	s_xor_b64 exec, exec, s[20:21]
	s_cbranch_execz .LBB76_46
; %bb.45:                               ;   in Loop: Header=BB76_2 Depth=1
	ds_read_u8 v59, v60 offset:1
	s_waitcnt lgkmcnt(1)
	v_mov_b32_e32 v58, v56
.LBB76_46:                              ;   in Loop: Header=BB76_2 Depth=1
	s_or_b64 exec, exec, s[20:21]
	v_add_u32_e32 v63, 1, v61
	v_add_u32_e32 v62, 1, v60
	v_cndmask_b32_e64 v61, v63, v61, s[18:19]
	v_cndmask_b32_e64 v60, v60, v62, s[18:19]
	v_cmp_ge_i32_e64 s[22:23], v61, v14
	s_waitcnt lgkmcnt(0)
	v_cmp_lt_i16_sdwa s[36:37], sext(v59), sext(v58) src0_sel:BYTE_0 src1_sel:BYTE_0
	v_cmp_lt_i32_e64 s[20:21], v60, v15
	s_or_b64 s[22:23], s[22:23], s[36:37]
	s_and_b64 s[20:21], s[20:21], s[22:23]
	s_xor_b64 s[22:23], s[20:21], -1
                                        ; implicit-def: $vgpr62
	s_and_saveexec_b64 s[36:37], s[22:23]
	s_xor_b64 s[22:23], exec, s[36:37]
; %bb.47:                               ;   in Loop: Header=BB76_2 Depth=1
	ds_read_u8 v62, v61 offset:1
; %bb.48:                               ;   in Loop: Header=BB76_2 Depth=1
	s_or_saveexec_b64 s[22:23], s[22:23]
	v_mov_b32_e32 v63, v59
	s_xor_b64 exec, exec, s[22:23]
	s_cbranch_execz .LBB76_50
; %bb.49:                               ;   in Loop: Header=BB76_2 Depth=1
	ds_read_u8 v63, v60 offset:1
	s_waitcnt lgkmcnt(1)
	v_mov_b32_e32 v62, v58
.LBB76_50:                              ;   in Loop: Header=BB76_2 Depth=1
	s_or_b64 exec, exec, s[22:23]
	v_cndmask_b32_e64 v58, v58, v59, s[20:21]
	v_add_u32_e32 v59, 1, v60
	v_add_u32_e32 v64, 1, v61
	v_cndmask_b32_e64 v59, v60, v59, s[20:21]
	v_cndmask_b32_e64 v60, v64, v61, s[20:21]
	;; [unrolled: 1-line block ×3, first 2 shown]
	v_cmp_ge_i32_e64 s[18:19], v60, v14
	s_waitcnt lgkmcnt(0)
	v_cmp_lt_i16_sdwa s[20:21], sext(v63), sext(v62) src0_sel:BYTE_0 src1_sel:BYTE_0
	v_cndmask_b32_e64 v54, v54, v55, s[16:17]
	v_cmp_lt_i32_e64 s[16:17], v59, v15
	s_or_b64 s[18:19], s[18:19], s[20:21]
	s_and_b64 s[16:17], s[16:17], s[18:19]
	v_cndmask_b32_e64 v55, v62, v63, s[16:17]
	s_barrier
	ds_write_b8 v1, v54
	ds_write_b8 v1, v56 offset:1
	ds_write_b8 v1, v58 offset:2
	;; [unrolled: 1-line block ×3, first 2 shown]
	v_mov_b32_e32 v54, v37
	s_waitcnt lgkmcnt(0)
	s_barrier
	s_and_saveexec_b64 s[18:19], s[4:5]
	s_cbranch_execz .LBB76_54
; %bb.51:                               ;   in Loop: Header=BB76_2 Depth=1
	s_mov_b64 s[20:21], 0
	v_mov_b32_e32 v54, v37
	v_mov_b32_e32 v55, v33
.LBB76_52:                              ;   Parent Loop BB76_2 Depth=1
                                        ; =>  This Inner Loop Header: Depth=2
	v_sub_u32_e32 v56, v55, v54
	v_lshrrev_b32_e32 v56, 1, v56
	v_add_u32_e32 v56, v56, v54
	v_add_u32_e32 v57, v5, v56
	v_xad_u32 v58, v56, -1, v29
	ds_read_i8 v57, v57
	ds_read_i8 v58, v58
	v_add_u32_e32 v59, 1, v56
	s_waitcnt lgkmcnt(0)
	v_cmp_lt_i16_e64 s[16:17], v58, v57
	v_cndmask_b32_e64 v55, v55, v56, s[16:17]
	v_cndmask_b32_e64 v54, v59, v54, s[16:17]
	v_cmp_ge_i32_e64 s[16:17], v54, v55
	s_or_b64 s[20:21], s[16:17], s[20:21]
	s_andn2_b64 exec, exec, s[20:21]
	s_cbranch_execnz .LBB76_52
; %bb.53:                               ;   in Loop: Header=BB76_2 Depth=1
	s_or_b64 exec, exec, s[20:21]
.LBB76_54:                              ;   in Loop: Header=BB76_2 Depth=1
	s_or_b64 exec, exec, s[18:19]
	v_add_u32_e32 v58, v54, v5
	v_sub_u32_e32 v59, v29, v54
	ds_read_u8 v54, v58
	ds_read_u8 v55, v59
	v_cmp_le_i32_e64 s[18:19], v16, v58
	v_cmp_gt_i32_e64 s[16:17], v17, v59
                                        ; implicit-def: $vgpr56
	s_waitcnt lgkmcnt(1)
	v_bfe_i32 v54, v54, 0, 8
	s_waitcnt lgkmcnt(0)
	v_bfe_i32 v55, v55, 0, 8
	v_cmp_lt_i16_e64 s[20:21], v55, v54
	s_or_b64 s[18:19], s[18:19], s[20:21]
	s_and_b64 s[16:17], s[16:17], s[18:19]
	s_xor_b64 s[18:19], s[16:17], -1
	s_and_saveexec_b64 s[20:21], s[18:19]
	s_xor_b64 s[18:19], exec, s[20:21]
; %bb.55:                               ;   in Loop: Header=BB76_2 Depth=1
	ds_read_u8 v56, v58 offset:1
; %bb.56:                               ;   in Loop: Header=BB76_2 Depth=1
	s_or_saveexec_b64 s[18:19], s[18:19]
	v_mov_b32_e32 v57, v55
	s_xor_b64 exec, exec, s[18:19]
	s_cbranch_execz .LBB76_58
; %bb.57:                               ;   in Loop: Header=BB76_2 Depth=1
	ds_read_u8 v57, v59 offset:1
	s_waitcnt lgkmcnt(1)
	v_mov_b32_e32 v56, v54
.LBB76_58:                              ;   in Loop: Header=BB76_2 Depth=1
	s_or_b64 exec, exec, s[18:19]
	v_add_u32_e32 v61, 1, v58
	v_add_u32_e32 v60, 1, v59
	v_cndmask_b32_e64 v61, v61, v58, s[16:17]
	v_cndmask_b32_e64 v60, v59, v60, s[16:17]
	v_cmp_ge_i32_e64 s[20:21], v61, v16
	s_waitcnt lgkmcnt(0)
	v_cmp_lt_i16_sdwa s[22:23], sext(v57), sext(v56) src0_sel:BYTE_0 src1_sel:BYTE_0
	v_cmp_lt_i32_e64 s[18:19], v60, v17
	s_or_b64 s[20:21], s[20:21], s[22:23]
	s_and_b64 s[18:19], s[18:19], s[20:21]
	s_xor_b64 s[20:21], s[18:19], -1
                                        ; implicit-def: $vgpr58
	s_and_saveexec_b64 s[22:23], s[20:21]
	s_xor_b64 s[20:21], exec, s[22:23]
; %bb.59:                               ;   in Loop: Header=BB76_2 Depth=1
	ds_read_u8 v58, v61 offset:1
; %bb.60:                               ;   in Loop: Header=BB76_2 Depth=1
	s_or_saveexec_b64 s[20:21], s[20:21]
	v_mov_b32_e32 v59, v57
	s_xor_b64 exec, exec, s[20:21]
	s_cbranch_execz .LBB76_62
; %bb.61:                               ;   in Loop: Header=BB76_2 Depth=1
	ds_read_u8 v59, v60 offset:1
	s_waitcnt lgkmcnt(1)
	v_mov_b32_e32 v58, v56
.LBB76_62:                              ;   in Loop: Header=BB76_2 Depth=1
	s_or_b64 exec, exec, s[20:21]
	v_add_u32_e32 v63, 1, v61
	v_add_u32_e32 v62, 1, v60
	v_cndmask_b32_e64 v61, v63, v61, s[18:19]
	v_cndmask_b32_e64 v60, v60, v62, s[18:19]
	v_cmp_ge_i32_e64 s[22:23], v61, v16
	s_waitcnt lgkmcnt(0)
	v_cmp_lt_i16_sdwa s[36:37], sext(v59), sext(v58) src0_sel:BYTE_0 src1_sel:BYTE_0
	v_cmp_lt_i32_e64 s[20:21], v60, v17
	s_or_b64 s[22:23], s[22:23], s[36:37]
	s_and_b64 s[20:21], s[20:21], s[22:23]
	s_xor_b64 s[22:23], s[20:21], -1
                                        ; implicit-def: $vgpr62
	s_and_saveexec_b64 s[36:37], s[22:23]
	s_xor_b64 s[22:23], exec, s[36:37]
; %bb.63:                               ;   in Loop: Header=BB76_2 Depth=1
	ds_read_u8 v62, v61 offset:1
; %bb.64:                               ;   in Loop: Header=BB76_2 Depth=1
	s_or_saveexec_b64 s[22:23], s[22:23]
	v_mov_b32_e32 v63, v59
	s_xor_b64 exec, exec, s[22:23]
	s_cbranch_execz .LBB76_66
; %bb.65:                               ;   in Loop: Header=BB76_2 Depth=1
	ds_read_u8 v63, v60 offset:1
	s_waitcnt lgkmcnt(1)
	v_mov_b32_e32 v62, v58
.LBB76_66:                              ;   in Loop: Header=BB76_2 Depth=1
	s_or_b64 exec, exec, s[22:23]
	v_cndmask_b32_e64 v58, v58, v59, s[20:21]
	v_add_u32_e32 v59, 1, v60
	v_add_u32_e32 v64, 1, v61
	v_cndmask_b32_e64 v59, v60, v59, s[20:21]
	v_cndmask_b32_e64 v60, v64, v61, s[20:21]
	;; [unrolled: 1-line block ×3, first 2 shown]
	v_cmp_ge_i32_e64 s[18:19], v60, v16
	s_waitcnt lgkmcnt(0)
	v_cmp_lt_i16_sdwa s[20:21], sext(v63), sext(v62) src0_sel:BYTE_0 src1_sel:BYTE_0
	v_cndmask_b32_e64 v54, v54, v55, s[16:17]
	v_cmp_lt_i32_e64 s[16:17], v59, v17
	s_or_b64 s[18:19], s[18:19], s[20:21]
	s_and_b64 s[16:17], s[16:17], s[18:19]
	v_cndmask_b32_e64 v55, v62, v63, s[16:17]
	s_barrier
	ds_write_b8 v1, v54
	ds_write_b8 v1, v56 offset:1
	ds_write_b8 v1, v58 offset:2
	;; [unrolled: 1-line block ×3, first 2 shown]
	v_mov_b32_e32 v54, v38
	s_waitcnt lgkmcnt(0)
	s_barrier
	s_and_saveexec_b64 s[18:19], s[6:7]
	s_cbranch_execz .LBB76_70
; %bb.67:                               ;   in Loop: Header=BB76_2 Depth=1
	s_mov_b64 s[20:21], 0
	v_mov_b32_e32 v54, v38
	v_mov_b32_e32 v55, v39
.LBB76_68:                              ;   Parent Loop BB76_2 Depth=1
                                        ; =>  This Inner Loop Header: Depth=2
	v_sub_u32_e32 v56, v55, v54
	v_lshrrev_b32_e32 v56, 1, v56
	v_add_u32_e32 v56, v56, v54
	v_add_u32_e32 v57, v6, v56
	v_xad_u32 v58, v56, -1, v40
	ds_read_i8 v57, v57
	ds_read_i8 v58, v58
	v_add_u32_e32 v59, 1, v56
	s_waitcnt lgkmcnt(0)
	v_cmp_lt_i16_e64 s[16:17], v58, v57
	v_cndmask_b32_e64 v55, v55, v56, s[16:17]
	v_cndmask_b32_e64 v54, v59, v54, s[16:17]
	v_cmp_ge_i32_e64 s[16:17], v54, v55
	s_or_b64 s[20:21], s[16:17], s[20:21]
	s_andn2_b64 exec, exec, s[20:21]
	s_cbranch_execnz .LBB76_68
; %bb.69:                               ;   in Loop: Header=BB76_2 Depth=1
	s_or_b64 exec, exec, s[20:21]
.LBB76_70:                              ;   in Loop: Header=BB76_2 Depth=1
	s_or_b64 exec, exec, s[18:19]
	v_add_u32_e32 v58, v54, v6
	v_sub_u32_e32 v59, v40, v54
	ds_read_u8 v54, v58
	ds_read_u8 v55, v59
	v_cmp_le_i32_e64 s[18:19], v18, v58
	v_cmp_gt_i32_e64 s[16:17], v19, v59
                                        ; implicit-def: $vgpr56
	s_waitcnt lgkmcnt(1)
	v_bfe_i32 v54, v54, 0, 8
	s_waitcnt lgkmcnt(0)
	v_bfe_i32 v55, v55, 0, 8
	v_cmp_lt_i16_e64 s[20:21], v55, v54
	s_or_b64 s[18:19], s[18:19], s[20:21]
	s_and_b64 s[16:17], s[16:17], s[18:19]
	s_xor_b64 s[18:19], s[16:17], -1
	s_and_saveexec_b64 s[20:21], s[18:19]
	s_xor_b64 s[18:19], exec, s[20:21]
; %bb.71:                               ;   in Loop: Header=BB76_2 Depth=1
	ds_read_u8 v56, v58 offset:1
; %bb.72:                               ;   in Loop: Header=BB76_2 Depth=1
	s_or_saveexec_b64 s[18:19], s[18:19]
	v_mov_b32_e32 v57, v55
	s_xor_b64 exec, exec, s[18:19]
	s_cbranch_execz .LBB76_74
; %bb.73:                               ;   in Loop: Header=BB76_2 Depth=1
	ds_read_u8 v57, v59 offset:1
	s_waitcnt lgkmcnt(1)
	v_mov_b32_e32 v56, v54
.LBB76_74:                              ;   in Loop: Header=BB76_2 Depth=1
	s_or_b64 exec, exec, s[18:19]
	v_add_u32_e32 v61, 1, v58
	v_add_u32_e32 v60, 1, v59
	v_cndmask_b32_e64 v61, v61, v58, s[16:17]
	v_cndmask_b32_e64 v60, v59, v60, s[16:17]
	v_cmp_ge_i32_e64 s[20:21], v61, v18
	s_waitcnt lgkmcnt(0)
	v_cmp_lt_i16_sdwa s[22:23], sext(v57), sext(v56) src0_sel:BYTE_0 src1_sel:BYTE_0
	v_cmp_lt_i32_e64 s[18:19], v60, v19
	s_or_b64 s[20:21], s[20:21], s[22:23]
	s_and_b64 s[18:19], s[18:19], s[20:21]
	s_xor_b64 s[20:21], s[18:19], -1
                                        ; implicit-def: $vgpr58
	s_and_saveexec_b64 s[22:23], s[20:21]
	s_xor_b64 s[20:21], exec, s[22:23]
; %bb.75:                               ;   in Loop: Header=BB76_2 Depth=1
	ds_read_u8 v58, v61 offset:1
; %bb.76:                               ;   in Loop: Header=BB76_2 Depth=1
	s_or_saveexec_b64 s[20:21], s[20:21]
	v_mov_b32_e32 v59, v57
	s_xor_b64 exec, exec, s[20:21]
	s_cbranch_execz .LBB76_78
; %bb.77:                               ;   in Loop: Header=BB76_2 Depth=1
	ds_read_u8 v59, v60 offset:1
	s_waitcnt lgkmcnt(1)
	v_mov_b32_e32 v58, v56
.LBB76_78:                              ;   in Loop: Header=BB76_2 Depth=1
	s_or_b64 exec, exec, s[20:21]
	v_add_u32_e32 v63, 1, v61
	v_add_u32_e32 v62, 1, v60
	v_cndmask_b32_e64 v61, v63, v61, s[18:19]
	v_cndmask_b32_e64 v60, v60, v62, s[18:19]
	v_cmp_ge_i32_e64 s[22:23], v61, v18
	s_waitcnt lgkmcnt(0)
	v_cmp_lt_i16_sdwa s[36:37], sext(v59), sext(v58) src0_sel:BYTE_0 src1_sel:BYTE_0
	v_cmp_lt_i32_e64 s[20:21], v60, v19
	s_or_b64 s[22:23], s[22:23], s[36:37]
	s_and_b64 s[20:21], s[20:21], s[22:23]
	s_xor_b64 s[22:23], s[20:21], -1
                                        ; implicit-def: $vgpr62
	s_and_saveexec_b64 s[36:37], s[22:23]
	s_xor_b64 s[22:23], exec, s[36:37]
; %bb.79:                               ;   in Loop: Header=BB76_2 Depth=1
	ds_read_u8 v62, v61 offset:1
; %bb.80:                               ;   in Loop: Header=BB76_2 Depth=1
	s_or_saveexec_b64 s[22:23], s[22:23]
	v_mov_b32_e32 v63, v59
	s_xor_b64 exec, exec, s[22:23]
	s_cbranch_execz .LBB76_82
; %bb.81:                               ;   in Loop: Header=BB76_2 Depth=1
	ds_read_u8 v63, v60 offset:1
	s_waitcnt lgkmcnt(1)
	v_mov_b32_e32 v62, v58
.LBB76_82:                              ;   in Loop: Header=BB76_2 Depth=1
	s_or_b64 exec, exec, s[22:23]
	v_cndmask_b32_e64 v58, v58, v59, s[20:21]
	v_add_u32_e32 v59, 1, v60
	v_add_u32_e32 v64, 1, v61
	v_cndmask_b32_e64 v59, v60, v59, s[20:21]
	v_cndmask_b32_e64 v60, v64, v61, s[20:21]
	;; [unrolled: 1-line block ×3, first 2 shown]
	v_cmp_ge_i32_e64 s[18:19], v60, v18
	s_waitcnt lgkmcnt(0)
	v_cmp_lt_i16_sdwa s[20:21], sext(v63), sext(v62) src0_sel:BYTE_0 src1_sel:BYTE_0
	v_cndmask_b32_e64 v54, v54, v55, s[16:17]
	v_cmp_lt_i32_e64 s[16:17], v59, v19
	s_or_b64 s[18:19], s[18:19], s[20:21]
	s_and_b64 s[16:17], s[16:17], s[18:19]
	v_cndmask_b32_e64 v55, v62, v63, s[16:17]
	s_barrier
	ds_write_b8 v1, v54
	ds_write_b8 v1, v56 offset:1
	ds_write_b8 v1, v58 offset:2
	;; [unrolled: 1-line block ×3, first 2 shown]
	v_mov_b32_e32 v54, v41
	s_waitcnt lgkmcnt(0)
	s_barrier
	s_and_saveexec_b64 s[18:19], s[8:9]
	s_cbranch_execz .LBB76_86
; %bb.83:                               ;   in Loop: Header=BB76_2 Depth=1
	s_mov_b64 s[20:21], 0
	v_mov_b32_e32 v54, v41
	v_mov_b32_e32 v55, v42
.LBB76_84:                              ;   Parent Loop BB76_2 Depth=1
                                        ; =>  This Inner Loop Header: Depth=2
	v_sub_u32_e32 v56, v55, v54
	v_lshrrev_b32_e32 v56, 1, v56
	v_add_u32_e32 v56, v56, v54
	v_add_u32_e32 v57, v7, v56
	v_xad_u32 v58, v56, -1, v43
	ds_read_i8 v57, v57
	ds_read_i8 v58, v58
	v_add_u32_e32 v59, 1, v56
	s_waitcnt lgkmcnt(0)
	v_cmp_lt_i16_e64 s[16:17], v58, v57
	v_cndmask_b32_e64 v55, v55, v56, s[16:17]
	v_cndmask_b32_e64 v54, v59, v54, s[16:17]
	v_cmp_ge_i32_e64 s[16:17], v54, v55
	s_or_b64 s[20:21], s[16:17], s[20:21]
	s_andn2_b64 exec, exec, s[20:21]
	s_cbranch_execnz .LBB76_84
; %bb.85:                               ;   in Loop: Header=BB76_2 Depth=1
	s_or_b64 exec, exec, s[20:21]
.LBB76_86:                              ;   in Loop: Header=BB76_2 Depth=1
	s_or_b64 exec, exec, s[18:19]
	v_add_u32_e32 v58, v54, v7
	v_sub_u32_e32 v59, v43, v54
	ds_read_u8 v54, v58
	ds_read_u8 v55, v59
	v_cmp_le_i32_e64 s[18:19], v20, v58
	v_cmp_gt_i32_e64 s[16:17], v21, v59
                                        ; implicit-def: $vgpr56
	s_waitcnt lgkmcnt(1)
	v_bfe_i32 v54, v54, 0, 8
	s_waitcnt lgkmcnt(0)
	v_bfe_i32 v55, v55, 0, 8
	v_cmp_lt_i16_e64 s[20:21], v55, v54
	s_or_b64 s[18:19], s[18:19], s[20:21]
	s_and_b64 s[16:17], s[16:17], s[18:19]
	s_xor_b64 s[18:19], s[16:17], -1
	s_and_saveexec_b64 s[20:21], s[18:19]
	s_xor_b64 s[18:19], exec, s[20:21]
; %bb.87:                               ;   in Loop: Header=BB76_2 Depth=1
	ds_read_u8 v56, v58 offset:1
; %bb.88:                               ;   in Loop: Header=BB76_2 Depth=1
	s_or_saveexec_b64 s[18:19], s[18:19]
	v_mov_b32_e32 v57, v55
	s_xor_b64 exec, exec, s[18:19]
	s_cbranch_execz .LBB76_90
; %bb.89:                               ;   in Loop: Header=BB76_2 Depth=1
	ds_read_u8 v57, v59 offset:1
	s_waitcnt lgkmcnt(1)
	v_mov_b32_e32 v56, v54
.LBB76_90:                              ;   in Loop: Header=BB76_2 Depth=1
	s_or_b64 exec, exec, s[18:19]
	v_add_u32_e32 v61, 1, v58
	v_add_u32_e32 v60, 1, v59
	v_cndmask_b32_e64 v61, v61, v58, s[16:17]
	v_cndmask_b32_e64 v60, v59, v60, s[16:17]
	v_cmp_ge_i32_e64 s[20:21], v61, v20
	s_waitcnt lgkmcnt(0)
	v_cmp_lt_i16_sdwa s[22:23], sext(v57), sext(v56) src0_sel:BYTE_0 src1_sel:BYTE_0
	v_cmp_lt_i32_e64 s[18:19], v60, v21
	s_or_b64 s[20:21], s[20:21], s[22:23]
	s_and_b64 s[18:19], s[18:19], s[20:21]
	s_xor_b64 s[20:21], s[18:19], -1
                                        ; implicit-def: $vgpr58
	s_and_saveexec_b64 s[22:23], s[20:21]
	s_xor_b64 s[20:21], exec, s[22:23]
; %bb.91:                               ;   in Loop: Header=BB76_2 Depth=1
	ds_read_u8 v58, v61 offset:1
; %bb.92:                               ;   in Loop: Header=BB76_2 Depth=1
	s_or_saveexec_b64 s[20:21], s[20:21]
	v_mov_b32_e32 v59, v57
	s_xor_b64 exec, exec, s[20:21]
	s_cbranch_execz .LBB76_94
; %bb.93:                               ;   in Loop: Header=BB76_2 Depth=1
	ds_read_u8 v59, v60 offset:1
	s_waitcnt lgkmcnt(1)
	v_mov_b32_e32 v58, v56
.LBB76_94:                              ;   in Loop: Header=BB76_2 Depth=1
	s_or_b64 exec, exec, s[20:21]
	v_add_u32_e32 v63, 1, v61
	v_add_u32_e32 v62, 1, v60
	v_cndmask_b32_e64 v61, v63, v61, s[18:19]
	v_cndmask_b32_e64 v60, v60, v62, s[18:19]
	v_cmp_ge_i32_e64 s[22:23], v61, v20
	s_waitcnt lgkmcnt(0)
	v_cmp_lt_i16_sdwa s[36:37], sext(v59), sext(v58) src0_sel:BYTE_0 src1_sel:BYTE_0
	v_cmp_lt_i32_e64 s[20:21], v60, v21
	s_or_b64 s[22:23], s[22:23], s[36:37]
	s_and_b64 s[20:21], s[20:21], s[22:23]
	s_xor_b64 s[22:23], s[20:21], -1
                                        ; implicit-def: $vgpr62
	s_and_saveexec_b64 s[36:37], s[22:23]
	s_xor_b64 s[22:23], exec, s[36:37]
; %bb.95:                               ;   in Loop: Header=BB76_2 Depth=1
	ds_read_u8 v62, v61 offset:1
; %bb.96:                               ;   in Loop: Header=BB76_2 Depth=1
	s_or_saveexec_b64 s[22:23], s[22:23]
	v_mov_b32_e32 v63, v59
	s_xor_b64 exec, exec, s[22:23]
	s_cbranch_execz .LBB76_98
; %bb.97:                               ;   in Loop: Header=BB76_2 Depth=1
	ds_read_u8 v63, v60 offset:1
	s_waitcnt lgkmcnt(1)
	v_mov_b32_e32 v62, v58
.LBB76_98:                              ;   in Loop: Header=BB76_2 Depth=1
	s_or_b64 exec, exec, s[22:23]
	v_cndmask_b32_e64 v58, v58, v59, s[20:21]
	v_add_u32_e32 v59, 1, v60
	v_add_u32_e32 v64, 1, v61
	v_cndmask_b32_e64 v59, v60, v59, s[20:21]
	v_cndmask_b32_e64 v60, v64, v61, s[20:21]
	;; [unrolled: 1-line block ×3, first 2 shown]
	v_cmp_ge_i32_e64 s[18:19], v60, v20
	s_waitcnt lgkmcnt(0)
	v_cmp_lt_i16_sdwa s[20:21], sext(v63), sext(v62) src0_sel:BYTE_0 src1_sel:BYTE_0
	v_cndmask_b32_e64 v54, v54, v55, s[16:17]
	v_cmp_lt_i32_e64 s[16:17], v59, v21
	s_or_b64 s[18:19], s[18:19], s[20:21]
	s_and_b64 s[16:17], s[16:17], s[18:19]
	v_cndmask_b32_e64 v55, v62, v63, s[16:17]
	s_barrier
	ds_write_b8 v1, v54
	ds_write_b8 v1, v56 offset:1
	ds_write_b8 v1, v58 offset:2
	;; [unrolled: 1-line block ×3, first 2 shown]
	v_mov_b32_e32 v54, v44
	s_waitcnt lgkmcnt(0)
	s_barrier
	s_and_saveexec_b64 s[18:19], s[10:11]
	s_cbranch_execz .LBB76_102
; %bb.99:                               ;   in Loop: Header=BB76_2 Depth=1
	s_mov_b64 s[20:21], 0
	v_mov_b32_e32 v54, v44
	v_mov_b32_e32 v55, v45
.LBB76_100:                             ;   Parent Loop BB76_2 Depth=1
                                        ; =>  This Inner Loop Header: Depth=2
	v_sub_u32_e32 v56, v55, v54
	v_lshrrev_b32_e32 v56, 1, v56
	v_add_u32_e32 v56, v56, v54
	v_add_u32_e32 v57, v8, v56
	v_xad_u32 v58, v56, -1, v46
	ds_read_i8 v57, v57
	ds_read_i8 v58, v58
	v_add_u32_e32 v59, 1, v56
	s_waitcnt lgkmcnt(0)
	v_cmp_lt_i16_e64 s[16:17], v58, v57
	v_cndmask_b32_e64 v55, v55, v56, s[16:17]
	v_cndmask_b32_e64 v54, v59, v54, s[16:17]
	v_cmp_ge_i32_e64 s[16:17], v54, v55
	s_or_b64 s[20:21], s[16:17], s[20:21]
	s_andn2_b64 exec, exec, s[20:21]
	s_cbranch_execnz .LBB76_100
; %bb.101:                              ;   in Loop: Header=BB76_2 Depth=1
	s_or_b64 exec, exec, s[20:21]
.LBB76_102:                             ;   in Loop: Header=BB76_2 Depth=1
	s_or_b64 exec, exec, s[18:19]
	v_add_u32_e32 v58, v54, v8
	v_sub_u32_e32 v59, v46, v54
	ds_read_u8 v54, v58
	ds_read_u8 v55, v59
	v_cmp_le_i32_e64 s[18:19], v22, v58
	v_cmp_gt_i32_e64 s[16:17], v23, v59
                                        ; implicit-def: $vgpr56
	s_waitcnt lgkmcnt(1)
	v_bfe_i32 v54, v54, 0, 8
	s_waitcnt lgkmcnt(0)
	v_bfe_i32 v55, v55, 0, 8
	v_cmp_lt_i16_e64 s[20:21], v55, v54
	s_or_b64 s[18:19], s[18:19], s[20:21]
	s_and_b64 s[16:17], s[16:17], s[18:19]
	s_xor_b64 s[18:19], s[16:17], -1
	s_and_saveexec_b64 s[20:21], s[18:19]
	s_xor_b64 s[18:19], exec, s[20:21]
; %bb.103:                              ;   in Loop: Header=BB76_2 Depth=1
	ds_read_u8 v56, v58 offset:1
; %bb.104:                              ;   in Loop: Header=BB76_2 Depth=1
	s_or_saveexec_b64 s[18:19], s[18:19]
	v_mov_b32_e32 v57, v55
	s_xor_b64 exec, exec, s[18:19]
	s_cbranch_execz .LBB76_106
; %bb.105:                              ;   in Loop: Header=BB76_2 Depth=1
	ds_read_u8 v57, v59 offset:1
	s_waitcnt lgkmcnt(1)
	v_mov_b32_e32 v56, v54
.LBB76_106:                             ;   in Loop: Header=BB76_2 Depth=1
	s_or_b64 exec, exec, s[18:19]
	v_add_u32_e32 v61, 1, v58
	v_add_u32_e32 v60, 1, v59
	v_cndmask_b32_e64 v61, v61, v58, s[16:17]
	v_cndmask_b32_e64 v60, v59, v60, s[16:17]
	v_cmp_ge_i32_e64 s[20:21], v61, v22
	s_waitcnt lgkmcnt(0)
	v_cmp_lt_i16_sdwa s[22:23], sext(v57), sext(v56) src0_sel:BYTE_0 src1_sel:BYTE_0
	v_cmp_lt_i32_e64 s[18:19], v60, v23
	s_or_b64 s[20:21], s[20:21], s[22:23]
	s_and_b64 s[18:19], s[18:19], s[20:21]
	s_xor_b64 s[20:21], s[18:19], -1
                                        ; implicit-def: $vgpr58
	s_and_saveexec_b64 s[22:23], s[20:21]
	s_xor_b64 s[20:21], exec, s[22:23]
; %bb.107:                              ;   in Loop: Header=BB76_2 Depth=1
	ds_read_u8 v58, v61 offset:1
; %bb.108:                              ;   in Loop: Header=BB76_2 Depth=1
	s_or_saveexec_b64 s[20:21], s[20:21]
	v_mov_b32_e32 v59, v57
	s_xor_b64 exec, exec, s[20:21]
	s_cbranch_execz .LBB76_110
; %bb.109:                              ;   in Loop: Header=BB76_2 Depth=1
	ds_read_u8 v59, v60 offset:1
	s_waitcnt lgkmcnt(1)
	v_mov_b32_e32 v58, v56
.LBB76_110:                             ;   in Loop: Header=BB76_2 Depth=1
	s_or_b64 exec, exec, s[20:21]
	v_add_u32_e32 v63, 1, v61
	v_add_u32_e32 v62, 1, v60
	v_cndmask_b32_e64 v61, v63, v61, s[18:19]
	v_cndmask_b32_e64 v60, v60, v62, s[18:19]
	v_cmp_ge_i32_e64 s[22:23], v61, v22
	s_waitcnt lgkmcnt(0)
	v_cmp_lt_i16_sdwa s[36:37], sext(v59), sext(v58) src0_sel:BYTE_0 src1_sel:BYTE_0
	v_cmp_lt_i32_e64 s[20:21], v60, v23
	s_or_b64 s[22:23], s[22:23], s[36:37]
	s_and_b64 s[20:21], s[20:21], s[22:23]
	s_xor_b64 s[22:23], s[20:21], -1
                                        ; implicit-def: $vgpr62
	s_and_saveexec_b64 s[36:37], s[22:23]
	s_xor_b64 s[22:23], exec, s[36:37]
; %bb.111:                              ;   in Loop: Header=BB76_2 Depth=1
	ds_read_u8 v62, v61 offset:1
; %bb.112:                              ;   in Loop: Header=BB76_2 Depth=1
	s_or_saveexec_b64 s[22:23], s[22:23]
	v_mov_b32_e32 v63, v59
	s_xor_b64 exec, exec, s[22:23]
	s_cbranch_execz .LBB76_114
; %bb.113:                              ;   in Loop: Header=BB76_2 Depth=1
	ds_read_u8 v63, v60 offset:1
	s_waitcnt lgkmcnt(1)
	v_mov_b32_e32 v62, v58
.LBB76_114:                             ;   in Loop: Header=BB76_2 Depth=1
	s_or_b64 exec, exec, s[22:23]
	v_cndmask_b32_e64 v58, v58, v59, s[20:21]
	v_add_u32_e32 v59, 1, v60
	v_add_u32_e32 v64, 1, v61
	v_cndmask_b32_e64 v59, v60, v59, s[20:21]
	v_cndmask_b32_e64 v60, v64, v61, s[20:21]
	;; [unrolled: 1-line block ×3, first 2 shown]
	v_cmp_ge_i32_e64 s[18:19], v60, v22
	s_waitcnt lgkmcnt(0)
	v_cmp_lt_i16_sdwa s[20:21], sext(v63), sext(v62) src0_sel:BYTE_0 src1_sel:BYTE_0
	v_cndmask_b32_e64 v54, v54, v55, s[16:17]
	v_cmp_lt_i32_e64 s[16:17], v59, v23
	s_or_b64 s[18:19], s[18:19], s[20:21]
	s_and_b64 s[16:17], s[16:17], s[18:19]
	v_cndmask_b32_e64 v55, v62, v63, s[16:17]
	s_barrier
	ds_write_b8 v1, v54
	ds_write_b8 v1, v56 offset:1
	ds_write_b8 v1, v58 offset:2
	;; [unrolled: 1-line block ×3, first 2 shown]
	v_mov_b32_e32 v54, v47
	s_waitcnt lgkmcnt(0)
	s_barrier
	s_and_saveexec_b64 s[18:19], s[12:13]
	s_cbranch_execz .LBB76_118
; %bb.115:                              ;   in Loop: Header=BB76_2 Depth=1
	s_mov_b64 s[20:21], 0
	v_mov_b32_e32 v54, v47
	v_mov_b32_e32 v55, v48
.LBB76_116:                             ;   Parent Loop BB76_2 Depth=1
                                        ; =>  This Inner Loop Header: Depth=2
	v_sub_u32_e32 v56, v55, v54
	v_lshrrev_b32_e32 v56, 1, v56
	v_add_u32_e32 v56, v56, v54
	v_add_u32_e32 v57, v9, v56
	v_xad_u32 v58, v56, -1, v49
	ds_read_i8 v57, v57
	ds_read_i8 v58, v58
	v_add_u32_e32 v59, 1, v56
	s_waitcnt lgkmcnt(0)
	v_cmp_lt_i16_e64 s[16:17], v58, v57
	v_cndmask_b32_e64 v55, v55, v56, s[16:17]
	v_cndmask_b32_e64 v54, v59, v54, s[16:17]
	v_cmp_ge_i32_e64 s[16:17], v54, v55
	s_or_b64 s[20:21], s[16:17], s[20:21]
	s_andn2_b64 exec, exec, s[20:21]
	s_cbranch_execnz .LBB76_116
; %bb.117:                              ;   in Loop: Header=BB76_2 Depth=1
	s_or_b64 exec, exec, s[20:21]
.LBB76_118:                             ;   in Loop: Header=BB76_2 Depth=1
	s_or_b64 exec, exec, s[18:19]
	v_add_u32_e32 v58, v54, v9
	v_sub_u32_e32 v59, v49, v54
	ds_read_u8 v54, v58
	ds_read_u8 v55, v59
	v_cmp_le_i32_e64 s[18:19], v24, v58
	v_cmp_gt_i32_e64 s[16:17], v25, v59
                                        ; implicit-def: $vgpr56
	s_waitcnt lgkmcnt(1)
	v_bfe_i32 v54, v54, 0, 8
	s_waitcnt lgkmcnt(0)
	v_bfe_i32 v55, v55, 0, 8
	v_cmp_lt_i16_e64 s[20:21], v55, v54
	s_or_b64 s[18:19], s[18:19], s[20:21]
	s_and_b64 s[16:17], s[16:17], s[18:19]
	s_xor_b64 s[18:19], s[16:17], -1
	s_and_saveexec_b64 s[20:21], s[18:19]
	s_xor_b64 s[18:19], exec, s[20:21]
; %bb.119:                              ;   in Loop: Header=BB76_2 Depth=1
	ds_read_u8 v56, v58 offset:1
; %bb.120:                              ;   in Loop: Header=BB76_2 Depth=1
	s_or_saveexec_b64 s[18:19], s[18:19]
	v_mov_b32_e32 v57, v55
	s_xor_b64 exec, exec, s[18:19]
	s_cbranch_execz .LBB76_122
; %bb.121:                              ;   in Loop: Header=BB76_2 Depth=1
	ds_read_u8 v57, v59 offset:1
	s_waitcnt lgkmcnt(1)
	v_mov_b32_e32 v56, v54
.LBB76_122:                             ;   in Loop: Header=BB76_2 Depth=1
	s_or_b64 exec, exec, s[18:19]
	v_add_u32_e32 v61, 1, v58
	v_add_u32_e32 v60, 1, v59
	v_cndmask_b32_e64 v61, v61, v58, s[16:17]
	v_cndmask_b32_e64 v60, v59, v60, s[16:17]
	v_cmp_ge_i32_e64 s[20:21], v61, v24
	s_waitcnt lgkmcnt(0)
	v_cmp_lt_i16_sdwa s[22:23], sext(v57), sext(v56) src0_sel:BYTE_0 src1_sel:BYTE_0
	v_cmp_lt_i32_e64 s[18:19], v60, v25
	s_or_b64 s[20:21], s[20:21], s[22:23]
	s_and_b64 s[18:19], s[18:19], s[20:21]
	s_xor_b64 s[20:21], s[18:19], -1
                                        ; implicit-def: $vgpr58
	s_and_saveexec_b64 s[22:23], s[20:21]
	s_xor_b64 s[20:21], exec, s[22:23]
; %bb.123:                              ;   in Loop: Header=BB76_2 Depth=1
	ds_read_u8 v58, v61 offset:1
; %bb.124:                              ;   in Loop: Header=BB76_2 Depth=1
	s_or_saveexec_b64 s[20:21], s[20:21]
	v_mov_b32_e32 v59, v57
	s_xor_b64 exec, exec, s[20:21]
	s_cbranch_execz .LBB76_126
; %bb.125:                              ;   in Loop: Header=BB76_2 Depth=1
	ds_read_u8 v59, v60 offset:1
	s_waitcnt lgkmcnt(1)
	v_mov_b32_e32 v58, v56
.LBB76_126:                             ;   in Loop: Header=BB76_2 Depth=1
	s_or_b64 exec, exec, s[20:21]
	v_add_u32_e32 v63, 1, v61
	v_add_u32_e32 v62, 1, v60
	v_cndmask_b32_e64 v61, v63, v61, s[18:19]
	v_cndmask_b32_e64 v60, v60, v62, s[18:19]
	v_cmp_ge_i32_e64 s[22:23], v61, v24
	s_waitcnt lgkmcnt(0)
	v_cmp_lt_i16_sdwa s[36:37], sext(v59), sext(v58) src0_sel:BYTE_0 src1_sel:BYTE_0
	v_cmp_lt_i32_e64 s[20:21], v60, v25
	s_or_b64 s[22:23], s[22:23], s[36:37]
	s_and_b64 s[20:21], s[20:21], s[22:23]
	s_xor_b64 s[22:23], s[20:21], -1
                                        ; implicit-def: $vgpr62
	s_and_saveexec_b64 s[36:37], s[22:23]
	s_xor_b64 s[22:23], exec, s[36:37]
; %bb.127:                              ;   in Loop: Header=BB76_2 Depth=1
	ds_read_u8 v62, v61 offset:1
; %bb.128:                              ;   in Loop: Header=BB76_2 Depth=1
	s_or_saveexec_b64 s[22:23], s[22:23]
	v_mov_b32_e32 v63, v59
	s_xor_b64 exec, exec, s[22:23]
	s_cbranch_execz .LBB76_130
; %bb.129:                              ;   in Loop: Header=BB76_2 Depth=1
	ds_read_u8 v63, v60 offset:1
	s_waitcnt lgkmcnt(1)
	v_mov_b32_e32 v62, v58
.LBB76_130:                             ;   in Loop: Header=BB76_2 Depth=1
	s_or_b64 exec, exec, s[22:23]
	v_cndmask_b32_e64 v58, v58, v59, s[20:21]
	v_add_u32_e32 v59, 1, v60
	v_add_u32_e32 v64, 1, v61
	v_cndmask_b32_e64 v59, v60, v59, s[20:21]
	v_cndmask_b32_e64 v60, v64, v61, s[20:21]
	;; [unrolled: 1-line block ×3, first 2 shown]
	v_cmp_ge_i32_e64 s[18:19], v60, v24
	s_waitcnt lgkmcnt(0)
	v_cmp_lt_i16_sdwa s[20:21], sext(v63), sext(v62) src0_sel:BYTE_0 src1_sel:BYTE_0
	v_cndmask_b32_e64 v54, v54, v55, s[16:17]
	v_cmp_lt_i32_e64 s[16:17], v59, v25
	s_or_b64 s[18:19], s[18:19], s[20:21]
	s_and_b64 s[16:17], s[16:17], s[18:19]
	v_cndmask_b32_e64 v55, v62, v63, s[16:17]
	s_barrier
	ds_write_b8 v1, v54
	ds_write_b8 v1, v56 offset:1
	ds_write_b8 v1, v58 offset:2
	;; [unrolled: 1-line block ×3, first 2 shown]
	v_mov_b32_e32 v58, v51
	s_waitcnt lgkmcnt(0)
	s_barrier
	s_and_saveexec_b64 s[18:19], s[14:15]
	s_cbranch_execz .LBB76_134
; %bb.131:                              ;   in Loop: Header=BB76_2 Depth=1
	s_mov_b64 s[20:21], 0
	v_mov_b32_e32 v58, v51
	v_mov_b32_e32 v54, v52
.LBB76_132:                             ;   Parent Loop BB76_2 Depth=1
                                        ; =>  This Inner Loop Header: Depth=2
	v_sub_u32_e32 v55, v54, v58
	v_lshrrev_b32_e32 v55, 1, v55
	v_add_u32_e32 v55, v55, v58
	v_xad_u32 v56, v55, -1, v53
	ds_read_i8 v57, v55
	ds_read_i8 v56, v56
	v_add_u32_e32 v59, 1, v55
	s_waitcnt lgkmcnt(0)
	v_cmp_lt_i16_e64 s[16:17], v56, v57
	v_cndmask_b32_e64 v54, v54, v55, s[16:17]
	v_cndmask_b32_e64 v58, v59, v58, s[16:17]
	v_cmp_ge_i32_e64 s[16:17], v58, v54
	s_or_b64 s[20:21], s[16:17], s[20:21]
	s_andn2_b64 exec, exec, s[20:21]
	s_cbranch_execnz .LBB76_132
; %bb.133:                              ;   in Loop: Header=BB76_2 Depth=1
	s_or_b64 exec, exec, s[20:21]
.LBB76_134:                             ;   in Loop: Header=BB76_2 Depth=1
	s_or_b64 exec, exec, s[18:19]
	v_sub_u32_e32 v59, v53, v58
	ds_read_u8 v54, v58
	ds_read_u8 v55, v59
	v_cmp_le_i32_e64 s[18:19], v50, v58
	v_cmp_gt_i32_e64 s[16:17], s34, v59
                                        ; implicit-def: $vgpr56
	s_waitcnt lgkmcnt(1)
	v_bfe_i32 v54, v54, 0, 8
	s_waitcnt lgkmcnt(0)
	v_bfe_i32 v55, v55, 0, 8
	v_cmp_lt_i16_e64 s[20:21], v55, v54
	s_or_b64 s[18:19], s[18:19], s[20:21]
	s_and_b64 s[16:17], s[16:17], s[18:19]
	s_xor_b64 s[18:19], s[16:17], -1
	s_and_saveexec_b64 s[20:21], s[18:19]
	s_xor_b64 s[18:19], exec, s[20:21]
; %bb.135:                              ;   in Loop: Header=BB76_2 Depth=1
	ds_read_u8 v56, v58 offset:1
; %bb.136:                              ;   in Loop: Header=BB76_2 Depth=1
	s_or_saveexec_b64 s[18:19], s[18:19]
	v_mov_b32_e32 v57, v55
	s_xor_b64 exec, exec, s[18:19]
	s_cbranch_execz .LBB76_138
; %bb.137:                              ;   in Loop: Header=BB76_2 Depth=1
	ds_read_u8 v57, v59 offset:1
	s_waitcnt lgkmcnt(1)
	v_mov_b32_e32 v56, v54
.LBB76_138:                             ;   in Loop: Header=BB76_2 Depth=1
	s_or_b64 exec, exec, s[18:19]
	v_add_u32_e32 v61, 1, v58
	v_add_u32_e32 v60, 1, v59
	v_cndmask_b32_e64 v61, v61, v58, s[16:17]
	v_cndmask_b32_e64 v60, v59, v60, s[16:17]
	v_cmp_ge_i32_e64 s[20:21], v61, v50
	s_waitcnt lgkmcnt(0)
	v_cmp_lt_i16_sdwa s[22:23], sext(v57), sext(v56) src0_sel:BYTE_0 src1_sel:BYTE_0
	v_cmp_gt_i32_e64 s[18:19], s34, v60
	s_or_b64 s[20:21], s[20:21], s[22:23]
	s_and_b64 s[18:19], s[18:19], s[20:21]
	s_xor_b64 s[20:21], s[18:19], -1
                                        ; implicit-def: $vgpr58
	s_and_saveexec_b64 s[22:23], s[20:21]
	s_xor_b64 s[20:21], exec, s[22:23]
; %bb.139:                              ;   in Loop: Header=BB76_2 Depth=1
	ds_read_u8 v58, v61 offset:1
; %bb.140:                              ;   in Loop: Header=BB76_2 Depth=1
	s_or_saveexec_b64 s[20:21], s[20:21]
	v_mov_b32_e32 v59, v57
	s_xor_b64 exec, exec, s[20:21]
	s_cbranch_execz .LBB76_142
; %bb.141:                              ;   in Loop: Header=BB76_2 Depth=1
	ds_read_u8 v59, v60 offset:1
	s_waitcnt lgkmcnt(1)
	v_mov_b32_e32 v58, v56
.LBB76_142:                             ;   in Loop: Header=BB76_2 Depth=1
	s_or_b64 exec, exec, s[20:21]
	v_add_u32_e32 v63, 1, v61
	v_add_u32_e32 v62, 1, v60
	v_cndmask_b32_e64 v63, v63, v61, s[18:19]
	v_cndmask_b32_e64 v60, v60, v62, s[18:19]
	v_cmp_ge_i32_e64 s[22:23], v63, v50
	s_waitcnt lgkmcnt(0)
	v_cmp_lt_i16_sdwa s[36:37], sext(v59), sext(v58) src0_sel:BYTE_0 src1_sel:BYTE_0
	v_cmp_gt_i32_e64 s[20:21], s34, v60
	s_or_b64 s[22:23], s[22:23], s[36:37]
	s_and_b64 s[20:21], s[20:21], s[22:23]
	s_xor_b64 s[22:23], s[20:21], -1
                                        ; implicit-def: $vgpr61
                                        ; implicit-def: $vgpr62
	s_and_saveexec_b64 s[36:37], s[22:23]
	s_xor_b64 s[22:23], exec, s[36:37]
; %bb.143:                              ;   in Loop: Header=BB76_2 Depth=1
	ds_read_u8 v61, v63 offset:1
	v_add_u32_e32 v62, 1, v63
                                        ; implicit-def: $vgpr63
; %bb.144:                              ;   in Loop: Header=BB76_2 Depth=1
	s_or_saveexec_b64 s[22:23], s[22:23]
	v_mov_b32_e32 v64, v59
	s_xor_b64 exec, exec, s[22:23]
	s_cbranch_execz .LBB76_1
; %bb.145:                              ;   in Loop: Header=BB76_2 Depth=1
	ds_read_u8 v64, v60 offset:1
	v_add_u32_e32 v60, 1, v60
	v_mov_b32_e32 v62, v63
	s_waitcnt lgkmcnt(1)
	v_mov_b32_e32 v61, v58
	s_branch .LBB76_1
.LBB76_146:
	s_add_u32 s0, s26, s28
	s_addc_u32 s1, s27, 0
	v_mov_b32_e32 v1, s1
	v_add_co_u32_e32 v0, vcc, s0, v0
	v_addc_co_u32_e32 v1, vcc, 0, v1, vcc
	global_store_byte v[0:1], v55, off
	global_store_byte v[0:1], v56, off offset:512
	global_store_byte v[0:1], v57, off offset:1024
	global_store_byte v[0:1], v58, off offset:1536
	s_endpgm
	.section	.rodata,"a",@progbits
	.p2align	6, 0x0
	.amdhsa_kernel _Z16sort_keys_kernelIaLj512ELj4EN10test_utils4lessELj10EEvPKT_PS2_T2_
		.amdhsa_group_segment_fixed_size 2049
		.amdhsa_private_segment_fixed_size 0
		.amdhsa_kernarg_size 20
		.amdhsa_user_sgpr_count 6
		.amdhsa_user_sgpr_private_segment_buffer 1
		.amdhsa_user_sgpr_dispatch_ptr 0
		.amdhsa_user_sgpr_queue_ptr 0
		.amdhsa_user_sgpr_kernarg_segment_ptr 1
		.amdhsa_user_sgpr_dispatch_id 0
		.amdhsa_user_sgpr_flat_scratch_init 0
		.amdhsa_user_sgpr_private_segment_size 0
		.amdhsa_uses_dynamic_stack 0
		.amdhsa_system_sgpr_private_segment_wavefront_offset 0
		.amdhsa_system_sgpr_workgroup_id_x 1
		.amdhsa_system_sgpr_workgroup_id_y 0
		.amdhsa_system_sgpr_workgroup_id_z 0
		.amdhsa_system_sgpr_workgroup_info 0
		.amdhsa_system_vgpr_workitem_id 0
		.amdhsa_next_free_vgpr 65
		.amdhsa_next_free_sgpr 38
		.amdhsa_reserve_vcc 1
		.amdhsa_reserve_flat_scratch 0
		.amdhsa_float_round_mode_32 0
		.amdhsa_float_round_mode_16_64 0
		.amdhsa_float_denorm_mode_32 3
		.amdhsa_float_denorm_mode_16_64 3
		.amdhsa_dx10_clamp 1
		.amdhsa_ieee_mode 1
		.amdhsa_fp16_overflow 0
		.amdhsa_exception_fp_ieee_invalid_op 0
		.amdhsa_exception_fp_denorm_src 0
		.amdhsa_exception_fp_ieee_div_zero 0
		.amdhsa_exception_fp_ieee_overflow 0
		.amdhsa_exception_fp_ieee_underflow 0
		.amdhsa_exception_fp_ieee_inexact 0
		.amdhsa_exception_int_div_zero 0
	.end_amdhsa_kernel
	.section	.text._Z16sort_keys_kernelIaLj512ELj4EN10test_utils4lessELj10EEvPKT_PS2_T2_,"axG",@progbits,_Z16sort_keys_kernelIaLj512ELj4EN10test_utils4lessELj10EEvPKT_PS2_T2_,comdat
.Lfunc_end76:
	.size	_Z16sort_keys_kernelIaLj512ELj4EN10test_utils4lessELj10EEvPKT_PS2_T2_, .Lfunc_end76-_Z16sort_keys_kernelIaLj512ELj4EN10test_utils4lessELj10EEvPKT_PS2_T2_
                                        ; -- End function
	.set _Z16sort_keys_kernelIaLj512ELj4EN10test_utils4lessELj10EEvPKT_PS2_T2_.num_vgpr, 65
	.set _Z16sort_keys_kernelIaLj512ELj4EN10test_utils4lessELj10EEvPKT_PS2_T2_.num_agpr, 0
	.set _Z16sort_keys_kernelIaLj512ELj4EN10test_utils4lessELj10EEvPKT_PS2_T2_.numbered_sgpr, 38
	.set _Z16sort_keys_kernelIaLj512ELj4EN10test_utils4lessELj10EEvPKT_PS2_T2_.num_named_barrier, 0
	.set _Z16sort_keys_kernelIaLj512ELj4EN10test_utils4lessELj10EEvPKT_PS2_T2_.private_seg_size, 0
	.set _Z16sort_keys_kernelIaLj512ELj4EN10test_utils4lessELj10EEvPKT_PS2_T2_.uses_vcc, 1
	.set _Z16sort_keys_kernelIaLj512ELj4EN10test_utils4lessELj10EEvPKT_PS2_T2_.uses_flat_scratch, 0
	.set _Z16sort_keys_kernelIaLj512ELj4EN10test_utils4lessELj10EEvPKT_PS2_T2_.has_dyn_sized_stack, 0
	.set _Z16sort_keys_kernelIaLj512ELj4EN10test_utils4lessELj10EEvPKT_PS2_T2_.has_recursion, 0
	.set _Z16sort_keys_kernelIaLj512ELj4EN10test_utils4lessELj10EEvPKT_PS2_T2_.has_indirect_call, 0
	.section	.AMDGPU.csdata,"",@progbits
; Kernel info:
; codeLenInByte = 6736
; TotalNumSgprs: 42
; NumVgprs: 65
; ScratchSize: 0
; MemoryBound: 0
; FloatMode: 240
; IeeeMode: 1
; LDSByteSize: 2049 bytes/workgroup (compile time only)
; SGPRBlocks: 5
; VGPRBlocks: 16
; NumSGPRsForWavesPerEU: 42
; NumVGPRsForWavesPerEU: 65
; Occupancy: 3
; WaveLimiterHint : 1
; COMPUTE_PGM_RSRC2:SCRATCH_EN: 0
; COMPUTE_PGM_RSRC2:USER_SGPR: 6
; COMPUTE_PGM_RSRC2:TRAP_HANDLER: 0
; COMPUTE_PGM_RSRC2:TGID_X_EN: 1
; COMPUTE_PGM_RSRC2:TGID_Y_EN: 0
; COMPUTE_PGM_RSRC2:TGID_Z_EN: 0
; COMPUTE_PGM_RSRC2:TIDIG_COMP_CNT: 0
	.section	.text._Z17sort_pairs_kernelIaLj512ELj4EN10test_utils4lessELj10EEvPKT_PS2_T2_,"axG",@progbits,_Z17sort_pairs_kernelIaLj512ELj4EN10test_utils4lessELj10EEvPKT_PS2_T2_,comdat
	.protected	_Z17sort_pairs_kernelIaLj512ELj4EN10test_utils4lessELj10EEvPKT_PS2_T2_ ; -- Begin function _Z17sort_pairs_kernelIaLj512ELj4EN10test_utils4lessELj10EEvPKT_PS2_T2_
	.globl	_Z17sort_pairs_kernelIaLj512ELj4EN10test_utils4lessELj10EEvPKT_PS2_T2_
	.p2align	8
	.type	_Z17sort_pairs_kernelIaLj512ELj4EN10test_utils4lessELj10EEvPKT_PS2_T2_,@function
_Z17sort_pairs_kernelIaLj512ELj4EN10test_utils4lessELj10EEvPKT_PS2_T2_: ; @_Z17sort_pairs_kernelIaLj512ELj4EN10test_utils4lessELj10EEvPKT_PS2_T2_
; %bb.0:
	s_load_dwordx4 s[36:39], s[4:5], 0x0
	s_lshl_b32 s33, s6, 11
	v_lshlrev_b32_e32 v1, 2, v0
	v_and_b32_e32 v2, 0x7f8, v1
	v_and_b32_e32 v5, 0x7f0, v1
	s_waitcnt lgkmcnt(0)
	s_add_u32 s0, s36, s33
	s_addc_u32 s1, s37, 0
	global_load_ubyte v59, v0, s[0:1]
	global_load_ubyte v60, v0, s[0:1] offset:512
	global_load_ubyte v61, v0, s[0:1] offset:1024
	;; [unrolled: 1-line block ×3, first 2 shown]
	v_and_b32_e32 v8, 0x7e0, v1
	v_and_b32_e32 v11, 0x7c0, v1
	;; [unrolled: 1-line block ×6, first 2 shown]
	v_or_b32_e32 v3, 4, v2
	v_add_u32_e32 v4, 8, v2
	v_or_b32_e32 v6, 8, v5
	v_add_u32_e32 v7, 16, v5
	;; [unrolled: 2-line block ×8, first 2 shown]
	v_and_b32_e32 v28, 4, v1
	v_sub_u32_e32 v26, v4, v3
	v_and_b32_e32 v31, 12, v1
	v_sub_u32_e32 v29, v7, v6
	;; [unrolled: 2-line block ×8, first 2 shown]
	v_sub_u32_e32 v27, v28, v26
	v_sub_u32_e32 v30, v31, v29
	;; [unrolled: 1-line block ×8, first 2 shown]
	v_cmp_ge_i32_e32 vcc, v28, v26
	v_cmp_ge_i32_e64 s[0:1], v31, v29
	v_cmp_ge_i32_e64 s[2:3], v34, v32
	;; [unrolled: 1-line block ×7, first 2 shown]
	v_cndmask_b32_e32 v26, 0, v27, vcc
	v_sub_u32_e32 v27, v3, v2
	v_cndmask_b32_e64 v29, 0, v30, s[0:1]
	v_sub_u32_e32 v30, v6, v5
	v_cndmask_b32_e64 v32, 0, v33, s[2:3]
	;; [unrolled: 2-line block ×7, first 2 shown]
	v_sub_u32_e32 v48, v24, v23
	v_mov_b32_e32 v50, 0x400
	v_min_i32_e32 v27, v28, v27
	v_min_i32_e32 v30, v31, v30
	;; [unrolled: 1-line block ×8, first 2 shown]
	v_sub_u32_e64 v51, v1, v50 clamp
	v_min_i32_e32 v52, 0x400, v1
	s_mov_b32 s40, 0
	v_cmp_lt_i32_e32 vcc, v26, v27
	v_add_u32_e32 v28, v3, v28
	v_cmp_lt_i32_e64 s[0:1], v29, v30
	v_add_u32_e32 v31, v6, v31
	v_cmp_lt_i32_e64 s[2:3], v32, v33
	;; [unrolled: 2-line block ×8, first 2 shown]
	s_mov_b32 s41, 0xc0c0004
	s_mov_b32 s42, 0xc0c0001
	;; [unrolled: 1-line block ×3, first 2 shown]
	s_movk_i32 s44, 0xff00
	s_mov_b32 s45, 0xffff0000
	s_mov_b32 s46, 0x7050604
	s_movk_i32 s47, 0x800
	s_waitcnt vmcnt(3)
	v_add_u16_e32 v54, 1, v59
	s_waitcnt vmcnt(2)
	v_add_u16_e32 v55, 1, v60
	;; [unrolled: 2-line block ×4, first 2 shown]
	v_add_u32_e32 v53, 0x400, v1
	s_branch .LBB77_2
.LBB77_1:                               ;   in Loop: Header=BB77_2 Depth=1
	s_or_b64 exec, exec, s[22:23]
	v_cmp_ge_i32_e64 s[22:23], v70, v50
	s_waitcnt lgkmcnt(0)
	v_cmp_lt_i16_sdwa s[24:25], sext(v73), sext(v71) src0_sel:BYTE_0 src1_sel:BYTE_0
	v_cndmask_b32_e64 v59, v59, v63, s[16:17]
	v_cndmask_b32_e64 v61, v58, v61, s[16:17]
	v_cmp_gt_i32_e64 s[16:17], s47, v68
	s_or_b64 s[22:23], s[22:23], s[24:25]
	s_and_b64 s[16:17], s[16:17], s[22:23]
	v_cndmask_b32_e64 v63, v67, v66, s[18:19]
	v_cndmask_b32_e64 v66, v70, v68, s[16:17]
	s_barrier
	ds_write_b8 v1, v54
	ds_write_b8 v1, v56 offset:1
	ds_write_b8 v1, v57 offset:2
	;; [unrolled: 1-line block ×3, first 2 shown]
	s_waitcnt lgkmcnt(0)
	s_barrier
	ds_read_u8 v54, v61
	ds_read_u8 v56, v69
	ds_read_u8 v57, v66
	ds_read_u8 v55, v63
	s_add_i32 s40, s40, 1
	v_cndmask_b32_e64 v58, v71, v73, s[16:17]
	v_cndmask_b32_e64 v60, v60, v62, s[18:19]
	s_cmp_eq_u32 s40, 10
	v_cndmask_b32_e64 v61, v64, v65, s[20:21]
	s_cbranch_scc1 .LBB77_146
.LBB77_2:                               ; =>This Loop Header: Depth=1
                                        ;     Child Loop BB77_4 Depth 2
                                        ;     Child Loop BB77_20 Depth 2
	;; [unrolled: 1-line block ×9, first 2 shown]
	v_perm_b32 v58, v61, v58, s41
	v_lshlrev_b32_e32 v58, 16, v58
	v_perm_b32 v61, v60, v59, s41
	v_perm_b32 v62, v59, v60, s41
	v_or_b32_e32 v61, v61, v58
	v_or_b32_e32 v58, v62, v58
	v_cmp_lt_i16_sdwa s[16:17], sext(v60), sext(v59) src0_sel:BYTE_0 src1_sel:BYTE_0
	v_cndmask_b32_e64 v58, v58, v61, s[16:17]
	v_lshrrev_b32_e32 v59, 16, v58
	v_perm_b32 v60, 0, v59, s42
	v_lshrrev_b32_e32 v61, 24, v58
	v_lshlrev_b32_e32 v60, 16, v60
	v_and_or_b32 v60, v58, s43, v60
	v_cmp_lt_i16_sdwa s[18:19], sext(v61), sext(v59) src0_sel:BYTE_0 src1_sel:BYTE_0
	v_cndmask_b32_e64 v58, v58, v60, s[18:19]
	v_min_i16_sdwa v59, sext(v61), sext(v59) dst_sel:DWORD dst_unused:UNUSED_PAD src0_sel:BYTE_0 src1_sel:BYTE_0
	v_and_b32_sdwa v60, v58, s44 dst_sel:DWORD dst_unused:UNUSED_PAD src0_sel:WORD_1 src1_sel:DWORD
	v_lshlrev_b16_e32 v62, 8, v59
	v_or_b32_sdwa v60, v58, v60 dst_sel:WORD_1 dst_unused:UNUSED_PAD src0_sel:BYTE_1 src1_sel:DWORD
	v_lshrrev_b32_e32 v61, 8, v58
	v_or_b32_sdwa v62, v58, v62 dst_sel:DWORD dst_unused:UNUSED_PAD src0_sel:BYTE_0 src1_sel:DWORD
	v_or_b32_sdwa v60, v62, v60 dst_sel:DWORD dst_unused:UNUSED_PAD src0_sel:WORD_0 src1_sel:DWORD
	v_cmp_lt_i16_sdwa s[20:21], v59, sext(v61) src0_sel:DWORD src1_sel:BYTE_0
	v_cndmask_b32_e64 v58, v58, v60, s[20:21]
	v_lshlrev_b16_e32 v60, 8, v58
	v_min_i16_sdwa v59, v59, sext(v61) dst_sel:DWORD dst_unused:UNUSED_PAD src0_sel:DWORD src1_sel:BYTE_0
	v_or_b32_sdwa v60, v59, v60 dst_sel:DWORD dst_unused:UNUSED_PAD src0_sel:BYTE_0 src1_sel:DWORD
	v_and_b32_e32 v60, 0xffff, v60
	v_and_or_b32 v60, v58, s45, v60
	v_cmp_lt_i16_sdwa s[22:23], v59, sext(v58) src0_sel:DWORD src1_sel:BYTE_0
	v_cndmask_b32_e64 v58, v58, v60, s[22:23]
	v_lshrrev_b32_e32 v59, 16, v58
	v_perm_b32 v60, 0, v59, s42
	v_lshrrev_b32_e32 v61, 24, v58
	v_lshlrev_b32_e32 v60, 16, v60
	v_and_or_b32 v60, v58, s43, v60
	v_cmp_lt_i16_sdwa s[24:25], sext(v61), sext(v59) src0_sel:BYTE_0 src1_sel:BYTE_0
	v_cndmask_b32_e64 v58, v58, v60, s[24:25]
	v_min_i16_sdwa v59, sext(v61), sext(v59) dst_sel:DWORD dst_unused:UNUSED_PAD src0_sel:BYTE_0 src1_sel:BYTE_0
	v_and_b32_sdwa v60, v58, s44 dst_sel:DWORD dst_unused:UNUSED_PAD src0_sel:WORD_1 src1_sel:DWORD
	v_lshlrev_b16_e32 v62, 8, v59
	v_or_b32_sdwa v60, v58, v60 dst_sel:WORD_1 dst_unused:UNUSED_PAD src0_sel:BYTE_1 src1_sel:DWORD
	v_lshrrev_b32_e32 v61, 8, v58
	v_or_b32_sdwa v62, v58, v62 dst_sel:DWORD dst_unused:UNUSED_PAD src0_sel:BYTE_0 src1_sel:DWORD
	v_or_b32_sdwa v60, v62, v60 dst_sel:DWORD dst_unused:UNUSED_PAD src0_sel:WORD_0 src1_sel:DWORD
	v_cmp_lt_i16_sdwa s[26:27], v59, sext(v61) src0_sel:DWORD src1_sel:BYTE_0
	v_cndmask_b32_e64 v58, v58, v60, s[26:27]
	v_mov_b32_e32 v59, v26
	s_waitcnt lgkmcnt(0)
	s_barrier
	ds_write_b32 v1, v58
	s_waitcnt lgkmcnt(0)
	s_barrier
	s_and_saveexec_b64 s[30:31], vcc
	s_cbranch_execz .LBB77_6
; %bb.3:                                ;   in Loop: Header=BB77_2 Depth=1
	s_mov_b64 s[34:35], 0
	v_mov_b32_e32 v59, v26
	v_mov_b32_e32 v58, v27
.LBB77_4:                               ;   Parent Loop BB77_2 Depth=1
                                        ; =>  This Inner Loop Header: Depth=2
	v_sub_u32_e32 v60, v58, v59
	v_lshrrev_b32_e32 v60, 1, v60
	v_add_u32_e32 v60, v60, v59
	v_add_u32_e32 v61, v2, v60
	v_xad_u32 v62, v60, -1, v28
	ds_read_i8 v61, v61
	ds_read_i8 v62, v62
	v_add_u32_e32 v63, 1, v60
	s_waitcnt lgkmcnt(0)
	v_cmp_lt_i16_e64 s[28:29], v62, v61
	v_cndmask_b32_e64 v58, v58, v60, s[28:29]
	v_cndmask_b32_e64 v59, v63, v59, s[28:29]
	v_cmp_ge_i32_e64 s[28:29], v59, v58
	s_or_b64 s[34:35], s[28:29], s[34:35]
	s_andn2_b64 exec, exec, s[34:35]
	s_cbranch_execnz .LBB77_4
; %bb.5:                                ;   in Loop: Header=BB77_2 Depth=1
	s_or_b64 exec, exec, s[34:35]
.LBB77_6:                               ;   in Loop: Header=BB77_2 Depth=1
	s_or_b64 exec, exec, s[30:31]
	v_add_u32_e32 v58, v59, v2
	v_sub_u32_e32 v59, v28, v59
	ds_read_u8 v60, v58
	ds_read_u8 v61, v59
	v_cmp_le_i32_e64 s[30:31], v3, v58
	v_cmp_gt_i32_e64 s[28:29], v4, v59
                                        ; implicit-def: $vgpr62
	s_waitcnt lgkmcnt(1)
	v_bfe_i32 v60, v60, 0, 8
	s_waitcnt lgkmcnt(0)
	v_bfe_i32 v61, v61, 0, 8
	v_cmp_lt_i16_e64 s[34:35], v61, v60
	s_or_b64 s[30:31], s[30:31], s[34:35]
	s_and_b64 s[28:29], s[28:29], s[30:31]
	s_xor_b64 s[30:31], s[28:29], -1
	s_and_saveexec_b64 s[34:35], s[30:31]
	s_xor_b64 s[30:31], exec, s[34:35]
; %bb.7:                                ;   in Loop: Header=BB77_2 Depth=1
	ds_read_u8 v62, v58 offset:1
; %bb.8:                                ;   in Loop: Header=BB77_2 Depth=1
	s_or_saveexec_b64 s[30:31], s[30:31]
	v_mov_b32_e32 v63, v61
	s_xor_b64 exec, exec, s[30:31]
	s_cbranch_execz .LBB77_10
; %bb.9:                                ;   in Loop: Header=BB77_2 Depth=1
	ds_read_u8 v63, v59 offset:1
	s_waitcnt lgkmcnt(1)
	v_mov_b32_e32 v62, v60
.LBB77_10:                              ;   in Loop: Header=BB77_2 Depth=1
	s_or_b64 exec, exec, s[30:31]
	v_add_u32_e32 v65, 1, v58
	v_add_u32_e32 v64, 1, v59
	v_cndmask_b32_e64 v65, v65, v58, s[28:29]
	v_cndmask_b32_e64 v64, v59, v64, s[28:29]
	v_cmp_ge_i32_e64 s[34:35], v65, v3
	s_waitcnt lgkmcnt(0)
	v_cmp_lt_i16_sdwa s[36:37], sext(v63), sext(v62) src0_sel:BYTE_0 src1_sel:BYTE_0
	v_cmp_lt_i32_e64 s[30:31], v64, v4
	s_or_b64 s[34:35], s[34:35], s[36:37]
	s_and_b64 s[30:31], s[30:31], s[34:35]
	s_xor_b64 s[34:35], s[30:31], -1
                                        ; implicit-def: $vgpr66
	s_and_saveexec_b64 s[36:37], s[34:35]
	s_xor_b64 s[34:35], exec, s[36:37]
; %bb.11:                               ;   in Loop: Header=BB77_2 Depth=1
	ds_read_u8 v66, v65 offset:1
; %bb.12:                               ;   in Loop: Header=BB77_2 Depth=1
	s_or_saveexec_b64 s[34:35], s[34:35]
	v_mov_b32_e32 v68, v63
	s_xor_b64 exec, exec, s[34:35]
	s_cbranch_execz .LBB77_14
; %bb.13:                               ;   in Loop: Header=BB77_2 Depth=1
	ds_read_u8 v68, v64 offset:1
	s_waitcnt lgkmcnt(1)
	v_mov_b32_e32 v66, v62
.LBB77_14:                              ;   in Loop: Header=BB77_2 Depth=1
	s_or_b64 exec, exec, s[34:35]
	v_add_u32_e32 v69, 1, v65
	v_add_u32_e32 v67, 1, v64
	v_cndmask_b32_e64 v71, v69, v65, s[30:31]
	v_cndmask_b32_e64 v70, v64, v67, s[30:31]
	v_cmp_ge_i32_e64 s[36:37], v71, v3
	s_waitcnt lgkmcnt(0)
	v_cmp_lt_i16_sdwa s[48:49], sext(v68), sext(v66) src0_sel:BYTE_0 src1_sel:BYTE_0
	v_cmp_lt_i32_e64 s[34:35], v70, v4
	s_or_b64 s[36:37], s[36:37], s[48:49]
	s_and_b64 s[34:35], s[34:35], s[36:37]
	s_xor_b64 s[36:37], s[34:35], -1
                                        ; implicit-def: $vgpr67
	s_and_saveexec_b64 s[48:49], s[36:37]
	s_xor_b64 s[36:37], exec, s[48:49]
; %bb.15:                               ;   in Loop: Header=BB77_2 Depth=1
	ds_read_u8 v67, v71 offset:1
; %bb.16:                               ;   in Loop: Header=BB77_2 Depth=1
	s_or_saveexec_b64 s[36:37], s[36:37]
	v_mov_b32_e32 v69, v68
	s_xor_b64 exec, exec, s[36:37]
	s_cbranch_execz .LBB77_18
; %bb.17:                               ;   in Loop: Header=BB77_2 Depth=1
	ds_read_u8 v69, v70 offset:1
	s_waitcnt lgkmcnt(1)
	v_mov_b32_e32 v67, v66
.LBB77_18:                              ;   in Loop: Header=BB77_2 Depth=1
	s_or_b64 exec, exec, s[36:37]
	v_perm_b32 v56, v56, v57, s41
	v_perm_b32 v57, v55, v54, s41
	;; [unrolled: 1-line block ×3, first 2 shown]
	v_cndmask_b32_e64 v54, v54, v57, s[16:17]
	v_perm_b32 v55, 0, v56, s42
	v_lshl_or_b32 v54, v56, 16, v54
	v_lshlrev_b32_e32 v55, 16, v55
	v_and_or_b32 v55, v54, s43, v55
	v_cndmask_b32_e64 v54, v54, v55, s[18:19]
	v_perm_b32 v55, v54, v54, s46
	v_cndmask_b32_e64 v54, v54, v55, s[20:21]
	v_perm_b32 v55, 0, v54, s42
	v_and_or_b32 v55, v54, s45, v55
	v_cndmask_b32_e64 v54, v54, v55, s[22:23]
	v_lshrrev_b32_e32 v55, 16, v54
	v_add_u32_e32 v72, 1, v71
	v_perm_b32 v55, 0, v55, s42
	v_cndmask_b32_e64 v66, v66, v68, s[34:35]
	v_add_u32_e32 v68, 1, v70
	v_cndmask_b32_e64 v72, v72, v71, s[34:35]
	v_lshlrev_b32_e32 v55, 16, v55
	v_cndmask_b32_e64 v68, v70, v68, s[34:35]
	v_and_or_b32 v55, v54, s43, v55
	v_cmp_ge_i32_e64 s[18:19], v72, v3
	s_waitcnt lgkmcnt(0)
	v_cmp_lt_i16_sdwa s[20:21], sext(v69), sext(v67) src0_sel:BYTE_0 src1_sel:BYTE_0
	v_cndmask_b32_e64 v54, v54, v55, s[24:25]
	v_cmp_lt_i32_e64 s[16:17], v68, v4
	s_or_b64 s[18:19], s[18:19], s[20:21]
	v_perm_b32 v55, v54, v54, s46
	s_and_b64 s[16:17], s[16:17], s[18:19]
	v_cndmask_b32_e64 v58, v58, v59, s[28:29]
	v_cndmask_b32_e64 v54, v54, v55, s[26:27]
	;; [unrolled: 1-line block ×6, first 2 shown]
	s_barrier
	ds_write_b32 v1, v54
	s_waitcnt lgkmcnt(0)
	s_barrier
	ds_read_u8 v54, v58
	ds_read_u8 v55, v55
	ds_read_u8 v56, v63
	ds_read_u8 v57, v70
	v_cndmask_b32_e64 v60, v60, v61, s[28:29]
	v_cndmask_b32_e64 v59, v67, v69, s[16:17]
	s_waitcnt lgkmcnt(0)
	s_barrier
	ds_write_b8 v1, v60
	ds_write_b8 v1, v62 offset:1
	ds_write_b8 v1, v66 offset:2
	;; [unrolled: 1-line block ×3, first 2 shown]
	v_mov_b32_e32 v59, v29
	s_waitcnt lgkmcnt(0)
	s_barrier
	s_and_saveexec_b64 s[18:19], s[0:1]
	s_cbranch_execz .LBB77_22
; %bb.19:                               ;   in Loop: Header=BB77_2 Depth=1
	s_mov_b64 s[20:21], 0
	v_mov_b32_e32 v59, v29
	v_mov_b32_e32 v58, v30
.LBB77_20:                              ;   Parent Loop BB77_2 Depth=1
                                        ; =>  This Inner Loop Header: Depth=2
	v_sub_u32_e32 v60, v58, v59
	v_lshrrev_b32_e32 v60, 1, v60
	v_add_u32_e32 v60, v60, v59
	v_add_u32_e32 v61, v5, v60
	v_xad_u32 v62, v60, -1, v31
	ds_read_i8 v61, v61
	ds_read_i8 v62, v62
	v_add_u32_e32 v63, 1, v60
	s_waitcnt lgkmcnt(0)
	v_cmp_lt_i16_e64 s[16:17], v62, v61
	v_cndmask_b32_e64 v58, v58, v60, s[16:17]
	v_cndmask_b32_e64 v59, v63, v59, s[16:17]
	v_cmp_ge_i32_e64 s[16:17], v59, v58
	s_or_b64 s[20:21], s[16:17], s[20:21]
	s_andn2_b64 exec, exec, s[20:21]
	s_cbranch_execnz .LBB77_20
; %bb.21:                               ;   in Loop: Header=BB77_2 Depth=1
	s_or_b64 exec, exec, s[20:21]
.LBB77_22:                              ;   in Loop: Header=BB77_2 Depth=1
	s_or_b64 exec, exec, s[18:19]
	v_add_u32_e32 v58, v59, v5
	v_sub_u32_e32 v59, v31, v59
	ds_read_u8 v60, v58
	ds_read_u8 v61, v59
	v_cmp_le_i32_e64 s[18:19], v6, v58
	v_cmp_gt_i32_e64 s[16:17], v7, v59
                                        ; implicit-def: $vgpr62
	s_waitcnt lgkmcnt(1)
	v_bfe_i32 v60, v60, 0, 8
	s_waitcnt lgkmcnt(0)
	v_bfe_i32 v61, v61, 0, 8
	v_cmp_lt_i16_e64 s[20:21], v61, v60
	s_or_b64 s[18:19], s[18:19], s[20:21]
	s_and_b64 s[16:17], s[16:17], s[18:19]
	s_xor_b64 s[18:19], s[16:17], -1
	s_and_saveexec_b64 s[20:21], s[18:19]
	s_xor_b64 s[18:19], exec, s[20:21]
; %bb.23:                               ;   in Loop: Header=BB77_2 Depth=1
	ds_read_u8 v62, v58 offset:1
; %bb.24:                               ;   in Loop: Header=BB77_2 Depth=1
	s_or_saveexec_b64 s[18:19], s[18:19]
	v_mov_b32_e32 v63, v61
	s_xor_b64 exec, exec, s[18:19]
	s_cbranch_execz .LBB77_26
; %bb.25:                               ;   in Loop: Header=BB77_2 Depth=1
	ds_read_u8 v63, v59 offset:1
	s_waitcnt lgkmcnt(1)
	v_mov_b32_e32 v62, v60
.LBB77_26:                              ;   in Loop: Header=BB77_2 Depth=1
	s_or_b64 exec, exec, s[18:19]
	v_add_u32_e32 v65, 1, v58
	v_add_u32_e32 v64, 1, v59
	v_cndmask_b32_e64 v65, v65, v58, s[16:17]
	v_cndmask_b32_e64 v64, v59, v64, s[16:17]
	v_cmp_ge_i32_e64 s[20:21], v65, v6
	s_waitcnt lgkmcnt(0)
	v_cmp_lt_i16_sdwa s[22:23], sext(v63), sext(v62) src0_sel:BYTE_0 src1_sel:BYTE_0
	v_cmp_lt_i32_e64 s[18:19], v64, v7
	s_or_b64 s[20:21], s[20:21], s[22:23]
	s_and_b64 s[18:19], s[18:19], s[20:21]
	s_xor_b64 s[20:21], s[18:19], -1
                                        ; implicit-def: $vgpr66
	s_and_saveexec_b64 s[22:23], s[20:21]
	s_xor_b64 s[20:21], exec, s[22:23]
; %bb.27:                               ;   in Loop: Header=BB77_2 Depth=1
	ds_read_u8 v66, v65 offset:1
; %bb.28:                               ;   in Loop: Header=BB77_2 Depth=1
	s_or_saveexec_b64 s[20:21], s[20:21]
	v_mov_b32_e32 v67, v63
	s_xor_b64 exec, exec, s[20:21]
	s_cbranch_execz .LBB77_30
; %bb.29:                               ;   in Loop: Header=BB77_2 Depth=1
	ds_read_u8 v67, v64 offset:1
	s_waitcnt lgkmcnt(1)
	v_mov_b32_e32 v66, v62
.LBB77_30:                              ;   in Loop: Header=BB77_2 Depth=1
	s_or_b64 exec, exec, s[20:21]
	v_add_u32_e32 v69, 1, v65
	v_add_u32_e32 v68, 1, v64
	v_cndmask_b32_e64 v69, v69, v65, s[18:19]
	v_cndmask_b32_e64 v68, v64, v68, s[18:19]
	v_cmp_ge_i32_e64 s[22:23], v69, v6
	s_waitcnt lgkmcnt(0)
	v_cmp_lt_i16_sdwa s[24:25], sext(v67), sext(v66) src0_sel:BYTE_0 src1_sel:BYTE_0
	v_cmp_lt_i32_e64 s[20:21], v68, v7
	s_or_b64 s[22:23], s[22:23], s[24:25]
	s_and_b64 s[20:21], s[20:21], s[22:23]
	s_xor_b64 s[22:23], s[20:21], -1
                                        ; implicit-def: $vgpr70
	s_and_saveexec_b64 s[24:25], s[22:23]
	s_xor_b64 s[22:23], exec, s[24:25]
; %bb.31:                               ;   in Loop: Header=BB77_2 Depth=1
	ds_read_u8 v70, v69 offset:1
; %bb.32:                               ;   in Loop: Header=BB77_2 Depth=1
	s_or_saveexec_b64 s[22:23], s[22:23]
	v_mov_b32_e32 v71, v67
	s_xor_b64 exec, exec, s[22:23]
	s_cbranch_execz .LBB77_34
; %bb.33:                               ;   in Loop: Header=BB77_2 Depth=1
	ds_read_u8 v71, v68 offset:1
	s_waitcnt lgkmcnt(1)
	v_mov_b32_e32 v70, v66
.LBB77_34:                              ;   in Loop: Header=BB77_2 Depth=1
	s_or_b64 exec, exec, s[22:23]
	v_add_u32_e32 v72, 1, v69
	v_cndmask_b32_e64 v66, v66, v67, s[20:21]
	v_add_u32_e32 v67, 1, v68
	v_cndmask_b32_e64 v72, v72, v69, s[20:21]
	v_cndmask_b32_e64 v67, v68, v67, s[20:21]
	;; [unrolled: 1-line block ×5, first 2 shown]
	v_cmp_ge_i32_e64 s[18:19], v72, v6
	s_waitcnt lgkmcnt(0)
	v_cmp_lt_i16_sdwa s[20:21], sext(v71), sext(v70) src0_sel:BYTE_0 src1_sel:BYTE_0
	v_cndmask_b32_e64 v60, v60, v61, s[16:17]
	v_cndmask_b32_e64 v58, v58, v59, s[16:17]
	v_cmp_lt_i32_e64 s[16:17], v67, v7
	s_or_b64 s[18:19], s[18:19], s[20:21]
	s_and_b64 s[16:17], s[16:17], s[18:19]
	v_cndmask_b32_e64 v61, v72, v67, s[16:17]
	s_barrier
	ds_write_b8 v1, v54
	ds_write_b8 v1, v56 offset:1
	ds_write_b8 v1, v57 offset:2
	;; [unrolled: 1-line block ×3, first 2 shown]
	s_waitcnt lgkmcnt(0)
	s_barrier
	ds_read_u8 v54, v58
	ds_read_u8 v55, v61
	;; [unrolled: 1-line block ×4, first 2 shown]
	v_cndmask_b32_e64 v59, v70, v71, s[16:17]
	s_waitcnt lgkmcnt(0)
	s_barrier
	ds_write_b8 v1, v60
	ds_write_b8 v1, v62 offset:1
	ds_write_b8 v1, v66 offset:2
	;; [unrolled: 1-line block ×3, first 2 shown]
	v_mov_b32_e32 v59, v32
	s_waitcnt lgkmcnt(0)
	s_barrier
	s_and_saveexec_b64 s[18:19], s[2:3]
	s_cbranch_execz .LBB77_38
; %bb.35:                               ;   in Loop: Header=BB77_2 Depth=1
	s_mov_b64 s[20:21], 0
	v_mov_b32_e32 v59, v32
	v_mov_b32_e32 v58, v33
.LBB77_36:                              ;   Parent Loop BB77_2 Depth=1
                                        ; =>  This Inner Loop Header: Depth=2
	v_sub_u32_e32 v60, v58, v59
	v_lshrrev_b32_e32 v60, 1, v60
	v_add_u32_e32 v60, v60, v59
	v_add_u32_e32 v61, v8, v60
	v_xad_u32 v62, v60, -1, v34
	ds_read_i8 v61, v61
	ds_read_i8 v62, v62
	v_add_u32_e32 v63, 1, v60
	s_waitcnt lgkmcnt(0)
	v_cmp_lt_i16_e64 s[16:17], v62, v61
	v_cndmask_b32_e64 v58, v58, v60, s[16:17]
	v_cndmask_b32_e64 v59, v63, v59, s[16:17]
	v_cmp_ge_i32_e64 s[16:17], v59, v58
	s_or_b64 s[20:21], s[16:17], s[20:21]
	s_andn2_b64 exec, exec, s[20:21]
	s_cbranch_execnz .LBB77_36
; %bb.37:                               ;   in Loop: Header=BB77_2 Depth=1
	s_or_b64 exec, exec, s[20:21]
.LBB77_38:                              ;   in Loop: Header=BB77_2 Depth=1
	s_or_b64 exec, exec, s[18:19]
	v_add_u32_e32 v58, v59, v8
	v_sub_u32_e32 v59, v34, v59
	ds_read_u8 v60, v58
	ds_read_u8 v61, v59
	v_cmp_le_i32_e64 s[18:19], v9, v58
	v_cmp_gt_i32_e64 s[16:17], v10, v59
                                        ; implicit-def: $vgpr62
	s_waitcnt lgkmcnt(1)
	v_bfe_i32 v60, v60, 0, 8
	s_waitcnt lgkmcnt(0)
	v_bfe_i32 v61, v61, 0, 8
	v_cmp_lt_i16_e64 s[20:21], v61, v60
	s_or_b64 s[18:19], s[18:19], s[20:21]
	s_and_b64 s[16:17], s[16:17], s[18:19]
	s_xor_b64 s[18:19], s[16:17], -1
	s_and_saveexec_b64 s[20:21], s[18:19]
	s_xor_b64 s[18:19], exec, s[20:21]
; %bb.39:                               ;   in Loop: Header=BB77_2 Depth=1
	ds_read_u8 v62, v58 offset:1
; %bb.40:                               ;   in Loop: Header=BB77_2 Depth=1
	s_or_saveexec_b64 s[18:19], s[18:19]
	v_mov_b32_e32 v63, v61
	s_xor_b64 exec, exec, s[18:19]
	s_cbranch_execz .LBB77_42
; %bb.41:                               ;   in Loop: Header=BB77_2 Depth=1
	ds_read_u8 v63, v59 offset:1
	s_waitcnt lgkmcnt(1)
	v_mov_b32_e32 v62, v60
.LBB77_42:                              ;   in Loop: Header=BB77_2 Depth=1
	s_or_b64 exec, exec, s[18:19]
	v_add_u32_e32 v65, 1, v58
	v_add_u32_e32 v64, 1, v59
	v_cndmask_b32_e64 v65, v65, v58, s[16:17]
	v_cndmask_b32_e64 v64, v59, v64, s[16:17]
	v_cmp_ge_i32_e64 s[20:21], v65, v9
	s_waitcnt lgkmcnt(0)
	v_cmp_lt_i16_sdwa s[22:23], sext(v63), sext(v62) src0_sel:BYTE_0 src1_sel:BYTE_0
	v_cmp_lt_i32_e64 s[18:19], v64, v10
	s_or_b64 s[20:21], s[20:21], s[22:23]
	s_and_b64 s[18:19], s[18:19], s[20:21]
	s_xor_b64 s[20:21], s[18:19], -1
                                        ; implicit-def: $vgpr66
	s_and_saveexec_b64 s[22:23], s[20:21]
	s_xor_b64 s[20:21], exec, s[22:23]
; %bb.43:                               ;   in Loop: Header=BB77_2 Depth=1
	ds_read_u8 v66, v65 offset:1
; %bb.44:                               ;   in Loop: Header=BB77_2 Depth=1
	s_or_saveexec_b64 s[20:21], s[20:21]
	v_mov_b32_e32 v67, v63
	s_xor_b64 exec, exec, s[20:21]
	s_cbranch_execz .LBB77_46
; %bb.45:                               ;   in Loop: Header=BB77_2 Depth=1
	ds_read_u8 v67, v64 offset:1
	s_waitcnt lgkmcnt(1)
	v_mov_b32_e32 v66, v62
.LBB77_46:                              ;   in Loop: Header=BB77_2 Depth=1
	s_or_b64 exec, exec, s[20:21]
	v_add_u32_e32 v69, 1, v65
	v_add_u32_e32 v68, 1, v64
	v_cndmask_b32_e64 v69, v69, v65, s[18:19]
	v_cndmask_b32_e64 v68, v64, v68, s[18:19]
	v_cmp_ge_i32_e64 s[22:23], v69, v9
	s_waitcnt lgkmcnt(0)
	v_cmp_lt_i16_sdwa s[24:25], sext(v67), sext(v66) src0_sel:BYTE_0 src1_sel:BYTE_0
	v_cmp_lt_i32_e64 s[20:21], v68, v10
	s_or_b64 s[22:23], s[22:23], s[24:25]
	s_and_b64 s[20:21], s[20:21], s[22:23]
	s_xor_b64 s[22:23], s[20:21], -1
                                        ; implicit-def: $vgpr70
	s_and_saveexec_b64 s[24:25], s[22:23]
	s_xor_b64 s[22:23], exec, s[24:25]
; %bb.47:                               ;   in Loop: Header=BB77_2 Depth=1
	ds_read_u8 v70, v69 offset:1
; %bb.48:                               ;   in Loop: Header=BB77_2 Depth=1
	s_or_saveexec_b64 s[22:23], s[22:23]
	v_mov_b32_e32 v71, v67
	s_xor_b64 exec, exec, s[22:23]
	s_cbranch_execz .LBB77_50
; %bb.49:                               ;   in Loop: Header=BB77_2 Depth=1
	ds_read_u8 v71, v68 offset:1
	s_waitcnt lgkmcnt(1)
	v_mov_b32_e32 v70, v66
.LBB77_50:                              ;   in Loop: Header=BB77_2 Depth=1
	s_or_b64 exec, exec, s[22:23]
	v_add_u32_e32 v72, 1, v69
	v_cndmask_b32_e64 v66, v66, v67, s[20:21]
	v_add_u32_e32 v67, 1, v68
	v_cndmask_b32_e64 v72, v72, v69, s[20:21]
	v_cndmask_b32_e64 v67, v68, v67, s[20:21]
	;; [unrolled: 1-line block ×5, first 2 shown]
	v_cmp_ge_i32_e64 s[18:19], v72, v9
	s_waitcnt lgkmcnt(0)
	v_cmp_lt_i16_sdwa s[20:21], sext(v71), sext(v70) src0_sel:BYTE_0 src1_sel:BYTE_0
	v_cndmask_b32_e64 v60, v60, v61, s[16:17]
	v_cndmask_b32_e64 v58, v58, v59, s[16:17]
	v_cmp_lt_i32_e64 s[16:17], v67, v10
	s_or_b64 s[18:19], s[18:19], s[20:21]
	s_and_b64 s[16:17], s[16:17], s[18:19]
	v_cndmask_b32_e64 v61, v72, v67, s[16:17]
	s_barrier
	ds_write_b8 v1, v54
	ds_write_b8 v1, v56 offset:1
	ds_write_b8 v1, v57 offset:2
	;; [unrolled: 1-line block ×3, first 2 shown]
	s_waitcnt lgkmcnt(0)
	s_barrier
	ds_read_u8 v54, v58
	ds_read_u8 v55, v61
	;; [unrolled: 1-line block ×4, first 2 shown]
	v_cndmask_b32_e64 v59, v70, v71, s[16:17]
	s_waitcnt lgkmcnt(0)
	s_barrier
	ds_write_b8 v1, v60
	ds_write_b8 v1, v62 offset:1
	ds_write_b8 v1, v66 offset:2
	;; [unrolled: 1-line block ×3, first 2 shown]
	v_mov_b32_e32 v59, v35
	s_waitcnt lgkmcnt(0)
	s_barrier
	s_and_saveexec_b64 s[18:19], s[4:5]
	s_cbranch_execz .LBB77_54
; %bb.51:                               ;   in Loop: Header=BB77_2 Depth=1
	s_mov_b64 s[20:21], 0
	v_mov_b32_e32 v59, v35
	v_mov_b32_e32 v58, v36
.LBB77_52:                              ;   Parent Loop BB77_2 Depth=1
                                        ; =>  This Inner Loop Header: Depth=2
	v_sub_u32_e32 v60, v58, v59
	v_lshrrev_b32_e32 v60, 1, v60
	v_add_u32_e32 v60, v60, v59
	v_add_u32_e32 v61, v11, v60
	v_xad_u32 v62, v60, -1, v37
	ds_read_i8 v61, v61
	ds_read_i8 v62, v62
	v_add_u32_e32 v63, 1, v60
	s_waitcnt lgkmcnt(0)
	v_cmp_lt_i16_e64 s[16:17], v62, v61
	v_cndmask_b32_e64 v58, v58, v60, s[16:17]
	v_cndmask_b32_e64 v59, v63, v59, s[16:17]
	v_cmp_ge_i32_e64 s[16:17], v59, v58
	s_or_b64 s[20:21], s[16:17], s[20:21]
	s_andn2_b64 exec, exec, s[20:21]
	s_cbranch_execnz .LBB77_52
; %bb.53:                               ;   in Loop: Header=BB77_2 Depth=1
	s_or_b64 exec, exec, s[20:21]
.LBB77_54:                              ;   in Loop: Header=BB77_2 Depth=1
	s_or_b64 exec, exec, s[18:19]
	v_add_u32_e32 v58, v59, v11
	v_sub_u32_e32 v59, v37, v59
	ds_read_u8 v60, v58
	ds_read_u8 v61, v59
	v_cmp_le_i32_e64 s[18:19], v12, v58
	v_cmp_gt_i32_e64 s[16:17], v13, v59
                                        ; implicit-def: $vgpr62
	s_waitcnt lgkmcnt(1)
	v_bfe_i32 v60, v60, 0, 8
	s_waitcnt lgkmcnt(0)
	v_bfe_i32 v61, v61, 0, 8
	v_cmp_lt_i16_e64 s[20:21], v61, v60
	s_or_b64 s[18:19], s[18:19], s[20:21]
	s_and_b64 s[16:17], s[16:17], s[18:19]
	s_xor_b64 s[18:19], s[16:17], -1
	s_and_saveexec_b64 s[20:21], s[18:19]
	s_xor_b64 s[18:19], exec, s[20:21]
; %bb.55:                               ;   in Loop: Header=BB77_2 Depth=1
	ds_read_u8 v62, v58 offset:1
; %bb.56:                               ;   in Loop: Header=BB77_2 Depth=1
	s_or_saveexec_b64 s[18:19], s[18:19]
	v_mov_b32_e32 v63, v61
	s_xor_b64 exec, exec, s[18:19]
	s_cbranch_execz .LBB77_58
; %bb.57:                               ;   in Loop: Header=BB77_2 Depth=1
	ds_read_u8 v63, v59 offset:1
	s_waitcnt lgkmcnt(1)
	v_mov_b32_e32 v62, v60
.LBB77_58:                              ;   in Loop: Header=BB77_2 Depth=1
	s_or_b64 exec, exec, s[18:19]
	v_add_u32_e32 v65, 1, v58
	v_add_u32_e32 v64, 1, v59
	v_cndmask_b32_e64 v65, v65, v58, s[16:17]
	v_cndmask_b32_e64 v64, v59, v64, s[16:17]
	v_cmp_ge_i32_e64 s[20:21], v65, v12
	s_waitcnt lgkmcnt(0)
	v_cmp_lt_i16_sdwa s[22:23], sext(v63), sext(v62) src0_sel:BYTE_0 src1_sel:BYTE_0
	v_cmp_lt_i32_e64 s[18:19], v64, v13
	s_or_b64 s[20:21], s[20:21], s[22:23]
	s_and_b64 s[18:19], s[18:19], s[20:21]
	s_xor_b64 s[20:21], s[18:19], -1
                                        ; implicit-def: $vgpr66
	s_and_saveexec_b64 s[22:23], s[20:21]
	s_xor_b64 s[20:21], exec, s[22:23]
; %bb.59:                               ;   in Loop: Header=BB77_2 Depth=1
	ds_read_u8 v66, v65 offset:1
; %bb.60:                               ;   in Loop: Header=BB77_2 Depth=1
	s_or_saveexec_b64 s[20:21], s[20:21]
	v_mov_b32_e32 v67, v63
	s_xor_b64 exec, exec, s[20:21]
	s_cbranch_execz .LBB77_62
; %bb.61:                               ;   in Loop: Header=BB77_2 Depth=1
	ds_read_u8 v67, v64 offset:1
	s_waitcnt lgkmcnt(1)
	v_mov_b32_e32 v66, v62
.LBB77_62:                              ;   in Loop: Header=BB77_2 Depth=1
	s_or_b64 exec, exec, s[20:21]
	v_add_u32_e32 v69, 1, v65
	v_add_u32_e32 v68, 1, v64
	v_cndmask_b32_e64 v69, v69, v65, s[18:19]
	v_cndmask_b32_e64 v68, v64, v68, s[18:19]
	v_cmp_ge_i32_e64 s[22:23], v69, v12
	s_waitcnt lgkmcnt(0)
	v_cmp_lt_i16_sdwa s[24:25], sext(v67), sext(v66) src0_sel:BYTE_0 src1_sel:BYTE_0
	v_cmp_lt_i32_e64 s[20:21], v68, v13
	s_or_b64 s[22:23], s[22:23], s[24:25]
	s_and_b64 s[20:21], s[20:21], s[22:23]
	s_xor_b64 s[22:23], s[20:21], -1
                                        ; implicit-def: $vgpr70
	s_and_saveexec_b64 s[24:25], s[22:23]
	s_xor_b64 s[22:23], exec, s[24:25]
; %bb.63:                               ;   in Loop: Header=BB77_2 Depth=1
	ds_read_u8 v70, v69 offset:1
; %bb.64:                               ;   in Loop: Header=BB77_2 Depth=1
	s_or_saveexec_b64 s[22:23], s[22:23]
	v_mov_b32_e32 v71, v67
	s_xor_b64 exec, exec, s[22:23]
	s_cbranch_execz .LBB77_66
; %bb.65:                               ;   in Loop: Header=BB77_2 Depth=1
	ds_read_u8 v71, v68 offset:1
	s_waitcnt lgkmcnt(1)
	v_mov_b32_e32 v70, v66
.LBB77_66:                              ;   in Loop: Header=BB77_2 Depth=1
	s_or_b64 exec, exec, s[22:23]
	v_add_u32_e32 v72, 1, v69
	v_cndmask_b32_e64 v66, v66, v67, s[20:21]
	v_add_u32_e32 v67, 1, v68
	v_cndmask_b32_e64 v72, v72, v69, s[20:21]
	v_cndmask_b32_e64 v67, v68, v67, s[20:21]
	;; [unrolled: 1-line block ×5, first 2 shown]
	v_cmp_ge_i32_e64 s[18:19], v72, v12
	s_waitcnt lgkmcnt(0)
	v_cmp_lt_i16_sdwa s[20:21], sext(v71), sext(v70) src0_sel:BYTE_0 src1_sel:BYTE_0
	v_cndmask_b32_e64 v60, v60, v61, s[16:17]
	v_cndmask_b32_e64 v58, v58, v59, s[16:17]
	v_cmp_lt_i32_e64 s[16:17], v67, v13
	s_or_b64 s[18:19], s[18:19], s[20:21]
	s_and_b64 s[16:17], s[16:17], s[18:19]
	v_cndmask_b32_e64 v61, v72, v67, s[16:17]
	s_barrier
	ds_write_b8 v1, v54
	ds_write_b8 v1, v56 offset:1
	ds_write_b8 v1, v57 offset:2
	;; [unrolled: 1-line block ×3, first 2 shown]
	s_waitcnt lgkmcnt(0)
	s_barrier
	ds_read_u8 v54, v58
	ds_read_u8 v55, v61
	;; [unrolled: 1-line block ×4, first 2 shown]
	v_cndmask_b32_e64 v59, v70, v71, s[16:17]
	s_waitcnt lgkmcnt(0)
	s_barrier
	ds_write_b8 v1, v60
	ds_write_b8 v1, v62 offset:1
	ds_write_b8 v1, v66 offset:2
	;; [unrolled: 1-line block ×3, first 2 shown]
	v_mov_b32_e32 v59, v38
	s_waitcnt lgkmcnt(0)
	s_barrier
	s_and_saveexec_b64 s[18:19], s[6:7]
	s_cbranch_execz .LBB77_70
; %bb.67:                               ;   in Loop: Header=BB77_2 Depth=1
	s_mov_b64 s[20:21], 0
	v_mov_b32_e32 v59, v38
	v_mov_b32_e32 v58, v39
.LBB77_68:                              ;   Parent Loop BB77_2 Depth=1
                                        ; =>  This Inner Loop Header: Depth=2
	v_sub_u32_e32 v60, v58, v59
	v_lshrrev_b32_e32 v60, 1, v60
	v_add_u32_e32 v60, v60, v59
	v_add_u32_e32 v61, v14, v60
	v_xad_u32 v62, v60, -1, v40
	ds_read_i8 v61, v61
	ds_read_i8 v62, v62
	v_add_u32_e32 v63, 1, v60
	s_waitcnt lgkmcnt(0)
	v_cmp_lt_i16_e64 s[16:17], v62, v61
	v_cndmask_b32_e64 v58, v58, v60, s[16:17]
	v_cndmask_b32_e64 v59, v63, v59, s[16:17]
	v_cmp_ge_i32_e64 s[16:17], v59, v58
	s_or_b64 s[20:21], s[16:17], s[20:21]
	s_andn2_b64 exec, exec, s[20:21]
	s_cbranch_execnz .LBB77_68
; %bb.69:                               ;   in Loop: Header=BB77_2 Depth=1
	s_or_b64 exec, exec, s[20:21]
.LBB77_70:                              ;   in Loop: Header=BB77_2 Depth=1
	s_or_b64 exec, exec, s[18:19]
	v_add_u32_e32 v58, v59, v14
	v_sub_u32_e32 v59, v40, v59
	ds_read_u8 v60, v58
	ds_read_u8 v61, v59
	v_cmp_le_i32_e64 s[18:19], v15, v58
	v_cmp_gt_i32_e64 s[16:17], v16, v59
                                        ; implicit-def: $vgpr62
	s_waitcnt lgkmcnt(1)
	v_bfe_i32 v60, v60, 0, 8
	s_waitcnt lgkmcnt(0)
	v_bfe_i32 v61, v61, 0, 8
	v_cmp_lt_i16_e64 s[20:21], v61, v60
	s_or_b64 s[18:19], s[18:19], s[20:21]
	s_and_b64 s[16:17], s[16:17], s[18:19]
	s_xor_b64 s[18:19], s[16:17], -1
	s_and_saveexec_b64 s[20:21], s[18:19]
	s_xor_b64 s[18:19], exec, s[20:21]
; %bb.71:                               ;   in Loop: Header=BB77_2 Depth=1
	ds_read_u8 v62, v58 offset:1
; %bb.72:                               ;   in Loop: Header=BB77_2 Depth=1
	s_or_saveexec_b64 s[18:19], s[18:19]
	v_mov_b32_e32 v63, v61
	s_xor_b64 exec, exec, s[18:19]
	s_cbranch_execz .LBB77_74
; %bb.73:                               ;   in Loop: Header=BB77_2 Depth=1
	ds_read_u8 v63, v59 offset:1
	s_waitcnt lgkmcnt(1)
	v_mov_b32_e32 v62, v60
.LBB77_74:                              ;   in Loop: Header=BB77_2 Depth=1
	s_or_b64 exec, exec, s[18:19]
	v_add_u32_e32 v65, 1, v58
	v_add_u32_e32 v64, 1, v59
	v_cndmask_b32_e64 v65, v65, v58, s[16:17]
	v_cndmask_b32_e64 v64, v59, v64, s[16:17]
	v_cmp_ge_i32_e64 s[20:21], v65, v15
	s_waitcnt lgkmcnt(0)
	v_cmp_lt_i16_sdwa s[22:23], sext(v63), sext(v62) src0_sel:BYTE_0 src1_sel:BYTE_0
	v_cmp_lt_i32_e64 s[18:19], v64, v16
	s_or_b64 s[20:21], s[20:21], s[22:23]
	s_and_b64 s[18:19], s[18:19], s[20:21]
	s_xor_b64 s[20:21], s[18:19], -1
                                        ; implicit-def: $vgpr66
	s_and_saveexec_b64 s[22:23], s[20:21]
	s_xor_b64 s[20:21], exec, s[22:23]
; %bb.75:                               ;   in Loop: Header=BB77_2 Depth=1
	ds_read_u8 v66, v65 offset:1
; %bb.76:                               ;   in Loop: Header=BB77_2 Depth=1
	s_or_saveexec_b64 s[20:21], s[20:21]
	v_mov_b32_e32 v67, v63
	s_xor_b64 exec, exec, s[20:21]
	s_cbranch_execz .LBB77_78
; %bb.77:                               ;   in Loop: Header=BB77_2 Depth=1
	ds_read_u8 v67, v64 offset:1
	s_waitcnt lgkmcnt(1)
	v_mov_b32_e32 v66, v62
.LBB77_78:                              ;   in Loop: Header=BB77_2 Depth=1
	s_or_b64 exec, exec, s[20:21]
	v_add_u32_e32 v69, 1, v65
	v_add_u32_e32 v68, 1, v64
	v_cndmask_b32_e64 v69, v69, v65, s[18:19]
	v_cndmask_b32_e64 v68, v64, v68, s[18:19]
	v_cmp_ge_i32_e64 s[22:23], v69, v15
	s_waitcnt lgkmcnt(0)
	v_cmp_lt_i16_sdwa s[24:25], sext(v67), sext(v66) src0_sel:BYTE_0 src1_sel:BYTE_0
	v_cmp_lt_i32_e64 s[20:21], v68, v16
	s_or_b64 s[22:23], s[22:23], s[24:25]
	s_and_b64 s[20:21], s[20:21], s[22:23]
	s_xor_b64 s[22:23], s[20:21], -1
                                        ; implicit-def: $vgpr70
	s_and_saveexec_b64 s[24:25], s[22:23]
	s_xor_b64 s[22:23], exec, s[24:25]
; %bb.79:                               ;   in Loop: Header=BB77_2 Depth=1
	ds_read_u8 v70, v69 offset:1
; %bb.80:                               ;   in Loop: Header=BB77_2 Depth=1
	s_or_saveexec_b64 s[22:23], s[22:23]
	v_mov_b32_e32 v71, v67
	s_xor_b64 exec, exec, s[22:23]
	s_cbranch_execz .LBB77_82
; %bb.81:                               ;   in Loop: Header=BB77_2 Depth=1
	ds_read_u8 v71, v68 offset:1
	s_waitcnt lgkmcnt(1)
	v_mov_b32_e32 v70, v66
.LBB77_82:                              ;   in Loop: Header=BB77_2 Depth=1
	s_or_b64 exec, exec, s[22:23]
	v_add_u32_e32 v72, 1, v69
	v_cndmask_b32_e64 v66, v66, v67, s[20:21]
	v_add_u32_e32 v67, 1, v68
	v_cndmask_b32_e64 v72, v72, v69, s[20:21]
	v_cndmask_b32_e64 v67, v68, v67, s[20:21]
	;; [unrolled: 1-line block ×5, first 2 shown]
	v_cmp_ge_i32_e64 s[18:19], v72, v15
	s_waitcnt lgkmcnt(0)
	v_cmp_lt_i16_sdwa s[20:21], sext(v71), sext(v70) src0_sel:BYTE_0 src1_sel:BYTE_0
	v_cndmask_b32_e64 v60, v60, v61, s[16:17]
	v_cndmask_b32_e64 v58, v58, v59, s[16:17]
	v_cmp_lt_i32_e64 s[16:17], v67, v16
	s_or_b64 s[18:19], s[18:19], s[20:21]
	s_and_b64 s[16:17], s[16:17], s[18:19]
	v_cndmask_b32_e64 v61, v72, v67, s[16:17]
	s_barrier
	ds_write_b8 v1, v54
	ds_write_b8 v1, v56 offset:1
	ds_write_b8 v1, v57 offset:2
	ds_write_b8 v1, v55 offset:3
	s_waitcnt lgkmcnt(0)
	s_barrier
	ds_read_u8 v54, v58
	ds_read_u8 v55, v61
	;; [unrolled: 1-line block ×4, first 2 shown]
	v_cndmask_b32_e64 v59, v70, v71, s[16:17]
	s_waitcnt lgkmcnt(0)
	s_barrier
	ds_write_b8 v1, v60
	ds_write_b8 v1, v62 offset:1
	ds_write_b8 v1, v66 offset:2
	;; [unrolled: 1-line block ×3, first 2 shown]
	v_mov_b32_e32 v59, v41
	s_waitcnt lgkmcnt(0)
	s_barrier
	s_and_saveexec_b64 s[18:19], s[8:9]
	s_cbranch_execz .LBB77_86
; %bb.83:                               ;   in Loop: Header=BB77_2 Depth=1
	s_mov_b64 s[20:21], 0
	v_mov_b32_e32 v59, v41
	v_mov_b32_e32 v58, v42
.LBB77_84:                              ;   Parent Loop BB77_2 Depth=1
                                        ; =>  This Inner Loop Header: Depth=2
	v_sub_u32_e32 v60, v58, v59
	v_lshrrev_b32_e32 v60, 1, v60
	v_add_u32_e32 v60, v60, v59
	v_add_u32_e32 v61, v17, v60
	v_xad_u32 v62, v60, -1, v43
	ds_read_i8 v61, v61
	ds_read_i8 v62, v62
	v_add_u32_e32 v63, 1, v60
	s_waitcnt lgkmcnt(0)
	v_cmp_lt_i16_e64 s[16:17], v62, v61
	v_cndmask_b32_e64 v58, v58, v60, s[16:17]
	v_cndmask_b32_e64 v59, v63, v59, s[16:17]
	v_cmp_ge_i32_e64 s[16:17], v59, v58
	s_or_b64 s[20:21], s[16:17], s[20:21]
	s_andn2_b64 exec, exec, s[20:21]
	s_cbranch_execnz .LBB77_84
; %bb.85:                               ;   in Loop: Header=BB77_2 Depth=1
	s_or_b64 exec, exec, s[20:21]
.LBB77_86:                              ;   in Loop: Header=BB77_2 Depth=1
	s_or_b64 exec, exec, s[18:19]
	v_add_u32_e32 v58, v59, v17
	v_sub_u32_e32 v59, v43, v59
	ds_read_u8 v60, v58
	ds_read_u8 v61, v59
	v_cmp_le_i32_e64 s[18:19], v18, v58
	v_cmp_gt_i32_e64 s[16:17], v19, v59
                                        ; implicit-def: $vgpr62
	s_waitcnt lgkmcnt(1)
	v_bfe_i32 v60, v60, 0, 8
	s_waitcnt lgkmcnt(0)
	v_bfe_i32 v61, v61, 0, 8
	v_cmp_lt_i16_e64 s[20:21], v61, v60
	s_or_b64 s[18:19], s[18:19], s[20:21]
	s_and_b64 s[16:17], s[16:17], s[18:19]
	s_xor_b64 s[18:19], s[16:17], -1
	s_and_saveexec_b64 s[20:21], s[18:19]
	s_xor_b64 s[18:19], exec, s[20:21]
; %bb.87:                               ;   in Loop: Header=BB77_2 Depth=1
	ds_read_u8 v62, v58 offset:1
; %bb.88:                               ;   in Loop: Header=BB77_2 Depth=1
	s_or_saveexec_b64 s[18:19], s[18:19]
	v_mov_b32_e32 v63, v61
	s_xor_b64 exec, exec, s[18:19]
	s_cbranch_execz .LBB77_90
; %bb.89:                               ;   in Loop: Header=BB77_2 Depth=1
	ds_read_u8 v63, v59 offset:1
	s_waitcnt lgkmcnt(1)
	v_mov_b32_e32 v62, v60
.LBB77_90:                              ;   in Loop: Header=BB77_2 Depth=1
	s_or_b64 exec, exec, s[18:19]
	v_add_u32_e32 v65, 1, v58
	v_add_u32_e32 v64, 1, v59
	v_cndmask_b32_e64 v65, v65, v58, s[16:17]
	v_cndmask_b32_e64 v64, v59, v64, s[16:17]
	v_cmp_ge_i32_e64 s[20:21], v65, v18
	s_waitcnt lgkmcnt(0)
	v_cmp_lt_i16_sdwa s[22:23], sext(v63), sext(v62) src0_sel:BYTE_0 src1_sel:BYTE_0
	v_cmp_lt_i32_e64 s[18:19], v64, v19
	s_or_b64 s[20:21], s[20:21], s[22:23]
	s_and_b64 s[18:19], s[18:19], s[20:21]
	s_xor_b64 s[20:21], s[18:19], -1
                                        ; implicit-def: $vgpr66
	s_and_saveexec_b64 s[22:23], s[20:21]
	s_xor_b64 s[20:21], exec, s[22:23]
; %bb.91:                               ;   in Loop: Header=BB77_2 Depth=1
	ds_read_u8 v66, v65 offset:1
; %bb.92:                               ;   in Loop: Header=BB77_2 Depth=1
	s_or_saveexec_b64 s[20:21], s[20:21]
	v_mov_b32_e32 v67, v63
	s_xor_b64 exec, exec, s[20:21]
	s_cbranch_execz .LBB77_94
; %bb.93:                               ;   in Loop: Header=BB77_2 Depth=1
	ds_read_u8 v67, v64 offset:1
	s_waitcnt lgkmcnt(1)
	v_mov_b32_e32 v66, v62
.LBB77_94:                              ;   in Loop: Header=BB77_2 Depth=1
	s_or_b64 exec, exec, s[20:21]
	v_add_u32_e32 v69, 1, v65
	v_add_u32_e32 v68, 1, v64
	v_cndmask_b32_e64 v69, v69, v65, s[18:19]
	v_cndmask_b32_e64 v68, v64, v68, s[18:19]
	v_cmp_ge_i32_e64 s[22:23], v69, v18
	s_waitcnt lgkmcnt(0)
	v_cmp_lt_i16_sdwa s[24:25], sext(v67), sext(v66) src0_sel:BYTE_0 src1_sel:BYTE_0
	v_cmp_lt_i32_e64 s[20:21], v68, v19
	s_or_b64 s[22:23], s[22:23], s[24:25]
	s_and_b64 s[20:21], s[20:21], s[22:23]
	s_xor_b64 s[22:23], s[20:21], -1
                                        ; implicit-def: $vgpr70
	s_and_saveexec_b64 s[24:25], s[22:23]
	s_xor_b64 s[22:23], exec, s[24:25]
; %bb.95:                               ;   in Loop: Header=BB77_2 Depth=1
	ds_read_u8 v70, v69 offset:1
; %bb.96:                               ;   in Loop: Header=BB77_2 Depth=1
	s_or_saveexec_b64 s[22:23], s[22:23]
	v_mov_b32_e32 v71, v67
	s_xor_b64 exec, exec, s[22:23]
	s_cbranch_execz .LBB77_98
; %bb.97:                               ;   in Loop: Header=BB77_2 Depth=1
	ds_read_u8 v71, v68 offset:1
	s_waitcnt lgkmcnt(1)
	v_mov_b32_e32 v70, v66
.LBB77_98:                              ;   in Loop: Header=BB77_2 Depth=1
	s_or_b64 exec, exec, s[22:23]
	v_add_u32_e32 v72, 1, v69
	v_cndmask_b32_e64 v66, v66, v67, s[20:21]
	v_add_u32_e32 v67, 1, v68
	v_cndmask_b32_e64 v72, v72, v69, s[20:21]
	v_cndmask_b32_e64 v67, v68, v67, s[20:21]
	;; [unrolled: 1-line block ×5, first 2 shown]
	v_cmp_ge_i32_e64 s[18:19], v72, v18
	s_waitcnt lgkmcnt(0)
	v_cmp_lt_i16_sdwa s[20:21], sext(v71), sext(v70) src0_sel:BYTE_0 src1_sel:BYTE_0
	v_cndmask_b32_e64 v60, v60, v61, s[16:17]
	v_cndmask_b32_e64 v58, v58, v59, s[16:17]
	v_cmp_lt_i32_e64 s[16:17], v67, v19
	s_or_b64 s[18:19], s[18:19], s[20:21]
	s_and_b64 s[16:17], s[16:17], s[18:19]
	v_cndmask_b32_e64 v61, v72, v67, s[16:17]
	s_barrier
	ds_write_b8 v1, v54
	ds_write_b8 v1, v56 offset:1
	ds_write_b8 v1, v57 offset:2
	;; [unrolled: 1-line block ×3, first 2 shown]
	s_waitcnt lgkmcnt(0)
	s_barrier
	ds_read_u8 v54, v58
	ds_read_u8 v55, v61
	ds_read_u8 v56, v63
	ds_read_u8 v57, v68
	v_cndmask_b32_e64 v59, v70, v71, s[16:17]
	s_waitcnt lgkmcnt(0)
	s_barrier
	ds_write_b8 v1, v60
	ds_write_b8 v1, v62 offset:1
	ds_write_b8 v1, v66 offset:2
	;; [unrolled: 1-line block ×3, first 2 shown]
	v_mov_b32_e32 v59, v44
	s_waitcnt lgkmcnt(0)
	s_barrier
	s_and_saveexec_b64 s[18:19], s[10:11]
	s_cbranch_execz .LBB77_102
; %bb.99:                               ;   in Loop: Header=BB77_2 Depth=1
	s_mov_b64 s[20:21], 0
	v_mov_b32_e32 v59, v44
	v_mov_b32_e32 v58, v45
.LBB77_100:                             ;   Parent Loop BB77_2 Depth=1
                                        ; =>  This Inner Loop Header: Depth=2
	v_sub_u32_e32 v60, v58, v59
	v_lshrrev_b32_e32 v60, 1, v60
	v_add_u32_e32 v60, v60, v59
	v_add_u32_e32 v61, v20, v60
	v_xad_u32 v62, v60, -1, v46
	ds_read_i8 v61, v61
	ds_read_i8 v62, v62
	v_add_u32_e32 v63, 1, v60
	s_waitcnt lgkmcnt(0)
	v_cmp_lt_i16_e64 s[16:17], v62, v61
	v_cndmask_b32_e64 v58, v58, v60, s[16:17]
	v_cndmask_b32_e64 v59, v63, v59, s[16:17]
	v_cmp_ge_i32_e64 s[16:17], v59, v58
	s_or_b64 s[20:21], s[16:17], s[20:21]
	s_andn2_b64 exec, exec, s[20:21]
	s_cbranch_execnz .LBB77_100
; %bb.101:                              ;   in Loop: Header=BB77_2 Depth=1
	s_or_b64 exec, exec, s[20:21]
.LBB77_102:                             ;   in Loop: Header=BB77_2 Depth=1
	s_or_b64 exec, exec, s[18:19]
	v_add_u32_e32 v58, v59, v20
	v_sub_u32_e32 v59, v46, v59
	ds_read_u8 v60, v58
	ds_read_u8 v61, v59
	v_cmp_le_i32_e64 s[18:19], v21, v58
	v_cmp_gt_i32_e64 s[16:17], v22, v59
                                        ; implicit-def: $vgpr62
	s_waitcnt lgkmcnt(1)
	v_bfe_i32 v60, v60, 0, 8
	s_waitcnt lgkmcnt(0)
	v_bfe_i32 v61, v61, 0, 8
	v_cmp_lt_i16_e64 s[20:21], v61, v60
	s_or_b64 s[18:19], s[18:19], s[20:21]
	s_and_b64 s[16:17], s[16:17], s[18:19]
	s_xor_b64 s[18:19], s[16:17], -1
	s_and_saveexec_b64 s[20:21], s[18:19]
	s_xor_b64 s[18:19], exec, s[20:21]
; %bb.103:                              ;   in Loop: Header=BB77_2 Depth=1
	ds_read_u8 v62, v58 offset:1
; %bb.104:                              ;   in Loop: Header=BB77_2 Depth=1
	s_or_saveexec_b64 s[18:19], s[18:19]
	v_mov_b32_e32 v63, v61
	s_xor_b64 exec, exec, s[18:19]
	s_cbranch_execz .LBB77_106
; %bb.105:                              ;   in Loop: Header=BB77_2 Depth=1
	ds_read_u8 v63, v59 offset:1
	s_waitcnt lgkmcnt(1)
	v_mov_b32_e32 v62, v60
.LBB77_106:                             ;   in Loop: Header=BB77_2 Depth=1
	s_or_b64 exec, exec, s[18:19]
	v_add_u32_e32 v65, 1, v58
	v_add_u32_e32 v64, 1, v59
	v_cndmask_b32_e64 v65, v65, v58, s[16:17]
	v_cndmask_b32_e64 v64, v59, v64, s[16:17]
	v_cmp_ge_i32_e64 s[20:21], v65, v21
	s_waitcnt lgkmcnt(0)
	v_cmp_lt_i16_sdwa s[22:23], sext(v63), sext(v62) src0_sel:BYTE_0 src1_sel:BYTE_0
	v_cmp_lt_i32_e64 s[18:19], v64, v22
	s_or_b64 s[20:21], s[20:21], s[22:23]
	s_and_b64 s[18:19], s[18:19], s[20:21]
	s_xor_b64 s[20:21], s[18:19], -1
                                        ; implicit-def: $vgpr66
	s_and_saveexec_b64 s[22:23], s[20:21]
	s_xor_b64 s[20:21], exec, s[22:23]
; %bb.107:                              ;   in Loop: Header=BB77_2 Depth=1
	ds_read_u8 v66, v65 offset:1
; %bb.108:                              ;   in Loop: Header=BB77_2 Depth=1
	s_or_saveexec_b64 s[20:21], s[20:21]
	v_mov_b32_e32 v67, v63
	s_xor_b64 exec, exec, s[20:21]
	s_cbranch_execz .LBB77_110
; %bb.109:                              ;   in Loop: Header=BB77_2 Depth=1
	ds_read_u8 v67, v64 offset:1
	s_waitcnt lgkmcnt(1)
	v_mov_b32_e32 v66, v62
.LBB77_110:                             ;   in Loop: Header=BB77_2 Depth=1
	s_or_b64 exec, exec, s[20:21]
	v_add_u32_e32 v69, 1, v65
	v_add_u32_e32 v68, 1, v64
	v_cndmask_b32_e64 v69, v69, v65, s[18:19]
	v_cndmask_b32_e64 v68, v64, v68, s[18:19]
	v_cmp_ge_i32_e64 s[22:23], v69, v21
	s_waitcnt lgkmcnt(0)
	v_cmp_lt_i16_sdwa s[24:25], sext(v67), sext(v66) src0_sel:BYTE_0 src1_sel:BYTE_0
	v_cmp_lt_i32_e64 s[20:21], v68, v22
	s_or_b64 s[22:23], s[22:23], s[24:25]
	s_and_b64 s[20:21], s[20:21], s[22:23]
	s_xor_b64 s[22:23], s[20:21], -1
                                        ; implicit-def: $vgpr70
	s_and_saveexec_b64 s[24:25], s[22:23]
	s_xor_b64 s[22:23], exec, s[24:25]
; %bb.111:                              ;   in Loop: Header=BB77_2 Depth=1
	ds_read_u8 v70, v69 offset:1
; %bb.112:                              ;   in Loop: Header=BB77_2 Depth=1
	s_or_saveexec_b64 s[22:23], s[22:23]
	v_mov_b32_e32 v71, v67
	s_xor_b64 exec, exec, s[22:23]
	s_cbranch_execz .LBB77_114
; %bb.113:                              ;   in Loop: Header=BB77_2 Depth=1
	ds_read_u8 v71, v68 offset:1
	s_waitcnt lgkmcnt(1)
	v_mov_b32_e32 v70, v66
.LBB77_114:                             ;   in Loop: Header=BB77_2 Depth=1
	s_or_b64 exec, exec, s[22:23]
	v_add_u32_e32 v72, 1, v69
	v_cndmask_b32_e64 v66, v66, v67, s[20:21]
	v_add_u32_e32 v67, 1, v68
	v_cndmask_b32_e64 v72, v72, v69, s[20:21]
	v_cndmask_b32_e64 v67, v68, v67, s[20:21]
	;; [unrolled: 1-line block ×5, first 2 shown]
	v_cmp_ge_i32_e64 s[18:19], v72, v21
	s_waitcnt lgkmcnt(0)
	v_cmp_lt_i16_sdwa s[20:21], sext(v71), sext(v70) src0_sel:BYTE_0 src1_sel:BYTE_0
	v_cndmask_b32_e64 v60, v60, v61, s[16:17]
	v_cndmask_b32_e64 v58, v58, v59, s[16:17]
	v_cmp_lt_i32_e64 s[16:17], v67, v22
	s_or_b64 s[18:19], s[18:19], s[20:21]
	s_and_b64 s[16:17], s[16:17], s[18:19]
	v_cndmask_b32_e64 v61, v72, v67, s[16:17]
	s_barrier
	ds_write_b8 v1, v54
	ds_write_b8 v1, v56 offset:1
	ds_write_b8 v1, v57 offset:2
	;; [unrolled: 1-line block ×3, first 2 shown]
	s_waitcnt lgkmcnt(0)
	s_barrier
	ds_read_u8 v54, v58
	ds_read_u8 v55, v61
	;; [unrolled: 1-line block ×4, first 2 shown]
	v_cndmask_b32_e64 v59, v70, v71, s[16:17]
	s_waitcnt lgkmcnt(0)
	s_barrier
	ds_write_b8 v1, v60
	ds_write_b8 v1, v62 offset:1
	ds_write_b8 v1, v66 offset:2
	;; [unrolled: 1-line block ×3, first 2 shown]
	v_mov_b32_e32 v59, v47
	s_waitcnt lgkmcnt(0)
	s_barrier
	s_and_saveexec_b64 s[18:19], s[12:13]
	s_cbranch_execz .LBB77_118
; %bb.115:                              ;   in Loop: Header=BB77_2 Depth=1
	s_mov_b64 s[20:21], 0
	v_mov_b32_e32 v59, v47
	v_mov_b32_e32 v58, v48
.LBB77_116:                             ;   Parent Loop BB77_2 Depth=1
                                        ; =>  This Inner Loop Header: Depth=2
	v_sub_u32_e32 v60, v58, v59
	v_lshrrev_b32_e32 v60, 1, v60
	v_add_u32_e32 v60, v60, v59
	v_add_u32_e32 v61, v23, v60
	v_xad_u32 v62, v60, -1, v49
	ds_read_i8 v61, v61
	ds_read_i8 v62, v62
	v_add_u32_e32 v63, 1, v60
	s_waitcnt lgkmcnt(0)
	v_cmp_lt_i16_e64 s[16:17], v62, v61
	v_cndmask_b32_e64 v58, v58, v60, s[16:17]
	v_cndmask_b32_e64 v59, v63, v59, s[16:17]
	v_cmp_ge_i32_e64 s[16:17], v59, v58
	s_or_b64 s[20:21], s[16:17], s[20:21]
	s_andn2_b64 exec, exec, s[20:21]
	s_cbranch_execnz .LBB77_116
; %bb.117:                              ;   in Loop: Header=BB77_2 Depth=1
	s_or_b64 exec, exec, s[20:21]
.LBB77_118:                             ;   in Loop: Header=BB77_2 Depth=1
	s_or_b64 exec, exec, s[18:19]
	v_add_u32_e32 v58, v59, v23
	v_sub_u32_e32 v59, v49, v59
	ds_read_u8 v60, v58
	ds_read_u8 v61, v59
	v_cmp_le_i32_e64 s[18:19], v24, v58
	v_cmp_gt_i32_e64 s[16:17], v25, v59
                                        ; implicit-def: $vgpr62
	s_waitcnt lgkmcnt(1)
	v_bfe_i32 v60, v60, 0, 8
	s_waitcnt lgkmcnt(0)
	v_bfe_i32 v61, v61, 0, 8
	v_cmp_lt_i16_e64 s[20:21], v61, v60
	s_or_b64 s[18:19], s[18:19], s[20:21]
	s_and_b64 s[16:17], s[16:17], s[18:19]
	s_xor_b64 s[18:19], s[16:17], -1
	s_and_saveexec_b64 s[20:21], s[18:19]
	s_xor_b64 s[18:19], exec, s[20:21]
; %bb.119:                              ;   in Loop: Header=BB77_2 Depth=1
	ds_read_u8 v62, v58 offset:1
; %bb.120:                              ;   in Loop: Header=BB77_2 Depth=1
	s_or_saveexec_b64 s[18:19], s[18:19]
	v_mov_b32_e32 v63, v61
	s_xor_b64 exec, exec, s[18:19]
	s_cbranch_execz .LBB77_122
; %bb.121:                              ;   in Loop: Header=BB77_2 Depth=1
	ds_read_u8 v63, v59 offset:1
	s_waitcnt lgkmcnt(1)
	v_mov_b32_e32 v62, v60
.LBB77_122:                             ;   in Loop: Header=BB77_2 Depth=1
	s_or_b64 exec, exec, s[18:19]
	v_add_u32_e32 v65, 1, v58
	v_add_u32_e32 v64, 1, v59
	v_cndmask_b32_e64 v65, v65, v58, s[16:17]
	v_cndmask_b32_e64 v64, v59, v64, s[16:17]
	v_cmp_ge_i32_e64 s[20:21], v65, v24
	s_waitcnt lgkmcnt(0)
	v_cmp_lt_i16_sdwa s[22:23], sext(v63), sext(v62) src0_sel:BYTE_0 src1_sel:BYTE_0
	v_cmp_lt_i32_e64 s[18:19], v64, v25
	s_or_b64 s[20:21], s[20:21], s[22:23]
	s_and_b64 s[18:19], s[18:19], s[20:21]
	s_xor_b64 s[20:21], s[18:19], -1
                                        ; implicit-def: $vgpr66
	s_and_saveexec_b64 s[22:23], s[20:21]
	s_xor_b64 s[20:21], exec, s[22:23]
; %bb.123:                              ;   in Loop: Header=BB77_2 Depth=1
	ds_read_u8 v66, v65 offset:1
; %bb.124:                              ;   in Loop: Header=BB77_2 Depth=1
	s_or_saveexec_b64 s[20:21], s[20:21]
	v_mov_b32_e32 v67, v63
	s_xor_b64 exec, exec, s[20:21]
	s_cbranch_execz .LBB77_126
; %bb.125:                              ;   in Loop: Header=BB77_2 Depth=1
	ds_read_u8 v67, v64 offset:1
	s_waitcnt lgkmcnt(1)
	v_mov_b32_e32 v66, v62
.LBB77_126:                             ;   in Loop: Header=BB77_2 Depth=1
	s_or_b64 exec, exec, s[20:21]
	v_add_u32_e32 v69, 1, v65
	v_add_u32_e32 v68, 1, v64
	v_cndmask_b32_e64 v69, v69, v65, s[18:19]
	v_cndmask_b32_e64 v68, v64, v68, s[18:19]
	v_cmp_ge_i32_e64 s[22:23], v69, v24
	s_waitcnt lgkmcnt(0)
	v_cmp_lt_i16_sdwa s[24:25], sext(v67), sext(v66) src0_sel:BYTE_0 src1_sel:BYTE_0
	v_cmp_lt_i32_e64 s[20:21], v68, v25
	s_or_b64 s[22:23], s[22:23], s[24:25]
	s_and_b64 s[20:21], s[20:21], s[22:23]
	s_xor_b64 s[22:23], s[20:21], -1
                                        ; implicit-def: $vgpr70
	s_and_saveexec_b64 s[24:25], s[22:23]
	s_xor_b64 s[22:23], exec, s[24:25]
; %bb.127:                              ;   in Loop: Header=BB77_2 Depth=1
	ds_read_u8 v70, v69 offset:1
; %bb.128:                              ;   in Loop: Header=BB77_2 Depth=1
	s_or_saveexec_b64 s[22:23], s[22:23]
	v_mov_b32_e32 v71, v67
	s_xor_b64 exec, exec, s[22:23]
	s_cbranch_execz .LBB77_130
; %bb.129:                              ;   in Loop: Header=BB77_2 Depth=1
	ds_read_u8 v71, v68 offset:1
	s_waitcnt lgkmcnt(1)
	v_mov_b32_e32 v70, v66
.LBB77_130:                             ;   in Loop: Header=BB77_2 Depth=1
	s_or_b64 exec, exec, s[22:23]
	v_add_u32_e32 v72, 1, v69
	v_cndmask_b32_e64 v66, v66, v67, s[20:21]
	v_add_u32_e32 v67, 1, v68
	v_cndmask_b32_e64 v72, v72, v69, s[20:21]
	v_cndmask_b32_e64 v67, v68, v67, s[20:21]
	;; [unrolled: 1-line block ×5, first 2 shown]
	v_cmp_ge_i32_e64 s[18:19], v72, v24
	s_waitcnt lgkmcnt(0)
	v_cmp_lt_i16_sdwa s[20:21], sext(v71), sext(v70) src0_sel:BYTE_0 src1_sel:BYTE_0
	v_cndmask_b32_e64 v60, v60, v61, s[16:17]
	v_cndmask_b32_e64 v58, v58, v59, s[16:17]
	v_cmp_lt_i32_e64 s[16:17], v67, v25
	s_or_b64 s[18:19], s[18:19], s[20:21]
	s_and_b64 s[16:17], s[16:17], s[18:19]
	v_cndmask_b32_e64 v61, v72, v67, s[16:17]
	s_barrier
	ds_write_b8 v1, v54
	ds_write_b8 v1, v56 offset:1
	ds_write_b8 v1, v57 offset:2
	;; [unrolled: 1-line block ×3, first 2 shown]
	s_waitcnt lgkmcnt(0)
	s_barrier
	ds_read_u8 v54, v58
	ds_read_u8 v55, v61
	;; [unrolled: 1-line block ×4, first 2 shown]
	v_mov_b32_e32 v58, v51
	v_cndmask_b32_e64 v59, v70, v71, s[16:17]
	s_waitcnt lgkmcnt(0)
	s_barrier
	ds_write_b8 v1, v60
	ds_write_b8 v1, v62 offset:1
	ds_write_b8 v1, v66 offset:2
	;; [unrolled: 1-line block ×3, first 2 shown]
	s_waitcnt lgkmcnt(0)
	s_barrier
	s_and_saveexec_b64 s[18:19], s[14:15]
	s_cbranch_execz .LBB77_134
; %bb.131:                              ;   in Loop: Header=BB77_2 Depth=1
	s_mov_b64 s[20:21], 0
	v_mov_b32_e32 v58, v51
	v_mov_b32_e32 v59, v52
.LBB77_132:                             ;   Parent Loop BB77_2 Depth=1
                                        ; =>  This Inner Loop Header: Depth=2
	v_sub_u32_e32 v60, v59, v58
	v_lshrrev_b32_e32 v60, 1, v60
	v_add_u32_e32 v60, v60, v58
	v_xad_u32 v61, v60, -1, v53
	ds_read_i8 v62, v60
	ds_read_i8 v61, v61
	v_add_u32_e32 v63, 1, v60
	s_waitcnt lgkmcnt(0)
	v_cmp_lt_i16_e64 s[16:17], v61, v62
	v_cndmask_b32_e64 v59, v59, v60, s[16:17]
	v_cndmask_b32_e64 v58, v63, v58, s[16:17]
	v_cmp_ge_i32_e64 s[16:17], v58, v59
	s_or_b64 s[20:21], s[16:17], s[20:21]
	s_andn2_b64 exec, exec, s[20:21]
	s_cbranch_execnz .LBB77_132
; %bb.133:                              ;   in Loop: Header=BB77_2 Depth=1
	s_or_b64 exec, exec, s[20:21]
.LBB77_134:                             ;   in Loop: Header=BB77_2 Depth=1
	s_or_b64 exec, exec, s[18:19]
	v_sub_u32_e32 v61, v53, v58
	ds_read_u8 v59, v58
	ds_read_u8 v60, v61
	v_cmp_le_i32_e64 s[18:19], v50, v58
	v_cmp_gt_i32_e64 s[16:17], s47, v61
	s_waitcnt lgkmcnt(1)
	v_bfe_i32 v59, v59, 0, 8
	s_waitcnt lgkmcnt(0)
	v_bfe_i32 v63, v60, 0, 8
	v_cmp_lt_i16_e64 s[20:21], v63, v59
	s_or_b64 s[18:19], s[18:19], s[20:21]
	s_and_b64 s[16:17], s[16:17], s[18:19]
	s_xor_b64 s[18:19], s[16:17], -1
                                        ; implicit-def: $vgpr60
	s_and_saveexec_b64 s[20:21], s[18:19]
	s_xor_b64 s[18:19], exec, s[20:21]
; %bb.135:                              ;   in Loop: Header=BB77_2 Depth=1
	ds_read_u8 v60, v58 offset:1
; %bb.136:                              ;   in Loop: Header=BB77_2 Depth=1
	s_or_saveexec_b64 s[18:19], s[18:19]
	v_mov_b32_e32 v62, v63
	s_xor_b64 exec, exec, s[18:19]
	s_cbranch_execz .LBB77_138
; %bb.137:                              ;   in Loop: Header=BB77_2 Depth=1
	ds_read_u8 v62, v61 offset:1
	s_waitcnt lgkmcnt(1)
	v_mov_b32_e32 v60, v59
.LBB77_138:                             ;   in Loop: Header=BB77_2 Depth=1
	s_or_b64 exec, exec, s[18:19]
	v_add_u32_e32 v65, 1, v58
	v_add_u32_e32 v64, 1, v61
	v_cndmask_b32_e64 v67, v65, v58, s[16:17]
	v_cndmask_b32_e64 v66, v61, v64, s[16:17]
	v_cmp_ge_i32_e64 s[20:21], v67, v50
	s_waitcnt lgkmcnt(0)
	v_cmp_lt_i16_sdwa s[22:23], sext(v62), sext(v60) src0_sel:BYTE_0 src1_sel:BYTE_0
	v_cmp_gt_i32_e64 s[18:19], s47, v66
	s_or_b64 s[20:21], s[20:21], s[22:23]
	s_and_b64 s[18:19], s[18:19], s[20:21]
	s_xor_b64 s[20:21], s[18:19], -1
                                        ; implicit-def: $vgpr64
	s_and_saveexec_b64 s[22:23], s[20:21]
	s_xor_b64 s[20:21], exec, s[22:23]
; %bb.139:                              ;   in Loop: Header=BB77_2 Depth=1
	ds_read_u8 v64, v67 offset:1
; %bb.140:                              ;   in Loop: Header=BB77_2 Depth=1
	s_or_saveexec_b64 s[20:21], s[20:21]
	v_mov_b32_e32 v65, v62
	s_xor_b64 exec, exec, s[20:21]
	s_cbranch_execz .LBB77_142
; %bb.141:                              ;   in Loop: Header=BB77_2 Depth=1
	ds_read_u8 v65, v66 offset:1
	s_waitcnt lgkmcnt(1)
	v_mov_b32_e32 v64, v60
.LBB77_142:                             ;   in Loop: Header=BB77_2 Depth=1
	s_or_b64 exec, exec, s[20:21]
	v_add_u32_e32 v69, 1, v67
	v_add_u32_e32 v68, 1, v66
	v_cndmask_b32_e64 v72, v69, v67, s[18:19]
	v_cndmask_b32_e64 v68, v66, v68, s[18:19]
	v_cmp_ge_i32_e64 s[22:23], v72, v50
	s_waitcnt lgkmcnt(0)
	v_cmp_lt_i16_sdwa s[24:25], sext(v65), sext(v64) src0_sel:BYTE_0 src1_sel:BYTE_0
	v_cmp_gt_i32_e64 s[20:21], s47, v68
	s_or_b64 s[22:23], s[22:23], s[24:25]
	s_and_b64 s[20:21], s[20:21], s[22:23]
	s_xor_b64 s[22:23], s[20:21], -1
                                        ; implicit-def: $vgpr71
                                        ; implicit-def: $vgpr70
	s_and_saveexec_b64 s[24:25], s[22:23]
	s_xor_b64 s[22:23], exec, s[24:25]
; %bb.143:                              ;   in Loop: Header=BB77_2 Depth=1
	ds_read_u8 v71, v72 offset:1
	v_add_u32_e32 v70, 1, v72
; %bb.144:                              ;   in Loop: Header=BB77_2 Depth=1
	s_or_saveexec_b64 s[22:23], s[22:23]
	v_mov_b32_e32 v69, v72
	v_mov_b32_e32 v73, v65
	s_xor_b64 exec, exec, s[22:23]
	s_cbranch_execz .LBB77_1
; %bb.145:                              ;   in Loop: Header=BB77_2 Depth=1
	ds_read_u8 v73, v68 offset:1
	s_waitcnt lgkmcnt(1)
	v_add_u32_e32 v71, 1, v68
	v_mov_b32_e32 v69, v68
	v_mov_b32_e32 v70, v72
	;; [unrolled: 1-line block ×4, first 2 shown]
	s_branch .LBB77_1
.LBB77_146:
	s_add_u32 s0, s38, s33
	s_addc_u32 s1, s39, 0
	v_mov_b32_e32 v1, s1
	v_add_co_u32_e32 v0, vcc, s0, v0
	s_waitcnt lgkmcnt(3)
	v_add_u16_e32 v2, v59, v54
	v_addc_co_u32_e32 v1, vcc, 0, v1, vcc
	s_waitcnt lgkmcnt(0)
	v_add_u16_e32 v3, v60, v55
	v_add_u16_e32 v4, v61, v56
	;; [unrolled: 1-line block ×3, first 2 shown]
	global_store_byte v[0:1], v2, off
	global_store_byte v[0:1], v3, off offset:512
	global_store_byte v[0:1], v4, off offset:1024
	;; [unrolled: 1-line block ×3, first 2 shown]
	s_endpgm
	.section	.rodata,"a",@progbits
	.p2align	6, 0x0
	.amdhsa_kernel _Z17sort_pairs_kernelIaLj512ELj4EN10test_utils4lessELj10EEvPKT_PS2_T2_
		.amdhsa_group_segment_fixed_size 2049
		.amdhsa_private_segment_fixed_size 0
		.amdhsa_kernarg_size 20
		.amdhsa_user_sgpr_count 6
		.amdhsa_user_sgpr_private_segment_buffer 1
		.amdhsa_user_sgpr_dispatch_ptr 0
		.amdhsa_user_sgpr_queue_ptr 0
		.amdhsa_user_sgpr_kernarg_segment_ptr 1
		.amdhsa_user_sgpr_dispatch_id 0
		.amdhsa_user_sgpr_flat_scratch_init 0
		.amdhsa_user_sgpr_private_segment_size 0
		.amdhsa_uses_dynamic_stack 0
		.amdhsa_system_sgpr_private_segment_wavefront_offset 0
		.amdhsa_system_sgpr_workgroup_id_x 1
		.amdhsa_system_sgpr_workgroup_id_y 0
		.amdhsa_system_sgpr_workgroup_id_z 0
		.amdhsa_system_sgpr_workgroup_info 0
		.amdhsa_system_vgpr_workitem_id 0
		.amdhsa_next_free_vgpr 74
		.amdhsa_next_free_sgpr 50
		.amdhsa_reserve_vcc 1
		.amdhsa_reserve_flat_scratch 0
		.amdhsa_float_round_mode_32 0
		.amdhsa_float_round_mode_16_64 0
		.amdhsa_float_denorm_mode_32 3
		.amdhsa_float_denorm_mode_16_64 3
		.amdhsa_dx10_clamp 1
		.amdhsa_ieee_mode 1
		.amdhsa_fp16_overflow 0
		.amdhsa_exception_fp_ieee_invalid_op 0
		.amdhsa_exception_fp_denorm_src 0
		.amdhsa_exception_fp_ieee_div_zero 0
		.amdhsa_exception_fp_ieee_overflow 0
		.amdhsa_exception_fp_ieee_underflow 0
		.amdhsa_exception_fp_ieee_inexact 0
		.amdhsa_exception_int_div_zero 0
	.end_amdhsa_kernel
	.section	.text._Z17sort_pairs_kernelIaLj512ELj4EN10test_utils4lessELj10EEvPKT_PS2_T2_,"axG",@progbits,_Z17sort_pairs_kernelIaLj512ELj4EN10test_utils4lessELj10EEvPKT_PS2_T2_,comdat
.Lfunc_end77:
	.size	_Z17sort_pairs_kernelIaLj512ELj4EN10test_utils4lessELj10EEvPKT_PS2_T2_, .Lfunc_end77-_Z17sort_pairs_kernelIaLj512ELj4EN10test_utils4lessELj10EEvPKT_PS2_T2_
                                        ; -- End function
	.set _Z17sort_pairs_kernelIaLj512ELj4EN10test_utils4lessELj10EEvPKT_PS2_T2_.num_vgpr, 74
	.set _Z17sort_pairs_kernelIaLj512ELj4EN10test_utils4lessELj10EEvPKT_PS2_T2_.num_agpr, 0
	.set _Z17sort_pairs_kernelIaLj512ELj4EN10test_utils4lessELj10EEvPKT_PS2_T2_.numbered_sgpr, 50
	.set _Z17sort_pairs_kernelIaLj512ELj4EN10test_utils4lessELj10EEvPKT_PS2_T2_.num_named_barrier, 0
	.set _Z17sort_pairs_kernelIaLj512ELj4EN10test_utils4lessELj10EEvPKT_PS2_T2_.private_seg_size, 0
	.set _Z17sort_pairs_kernelIaLj512ELj4EN10test_utils4lessELj10EEvPKT_PS2_T2_.uses_vcc, 1
	.set _Z17sort_pairs_kernelIaLj512ELj4EN10test_utils4lessELj10EEvPKT_PS2_T2_.uses_flat_scratch, 0
	.set _Z17sort_pairs_kernelIaLj512ELj4EN10test_utils4lessELj10EEvPKT_PS2_T2_.has_dyn_sized_stack, 0
	.set _Z17sort_pairs_kernelIaLj512ELj4EN10test_utils4lessELj10EEvPKT_PS2_T2_.has_recursion, 0
	.set _Z17sort_pairs_kernelIaLj512ELj4EN10test_utils4lessELj10EEvPKT_PS2_T2_.has_indirect_call, 0
	.section	.AMDGPU.csdata,"",@progbits
; Kernel info:
; codeLenInByte = 7900
; TotalNumSgprs: 54
; NumVgprs: 74
; ScratchSize: 0
; MemoryBound: 0
; FloatMode: 240
; IeeeMode: 1
; LDSByteSize: 2049 bytes/workgroup (compile time only)
; SGPRBlocks: 6
; VGPRBlocks: 18
; NumSGPRsForWavesPerEU: 54
; NumVGPRsForWavesPerEU: 74
; Occupancy: 3
; WaveLimiterHint : 1
; COMPUTE_PGM_RSRC2:SCRATCH_EN: 0
; COMPUTE_PGM_RSRC2:USER_SGPR: 6
; COMPUTE_PGM_RSRC2:TRAP_HANDLER: 0
; COMPUTE_PGM_RSRC2:TGID_X_EN: 1
; COMPUTE_PGM_RSRC2:TGID_Y_EN: 0
; COMPUTE_PGM_RSRC2:TGID_Z_EN: 0
; COMPUTE_PGM_RSRC2:TIDIG_COMP_CNT: 0
	.section	.text._Z16sort_keys_kernelIaLj512ELj8EN10test_utils4lessELj10EEvPKT_PS2_T2_,"axG",@progbits,_Z16sort_keys_kernelIaLj512ELj8EN10test_utils4lessELj10EEvPKT_PS2_T2_,comdat
	.protected	_Z16sort_keys_kernelIaLj512ELj8EN10test_utils4lessELj10EEvPKT_PS2_T2_ ; -- Begin function _Z16sort_keys_kernelIaLj512ELj8EN10test_utils4lessELj10EEvPKT_PS2_T2_
	.globl	_Z16sort_keys_kernelIaLj512ELj8EN10test_utils4lessELj10EEvPKT_PS2_T2_
	.p2align	8
	.type	_Z16sort_keys_kernelIaLj512ELj8EN10test_utils4lessELj10EEvPKT_PS2_T2_,@function
_Z16sort_keys_kernelIaLj512ELj8EN10test_utils4lessELj10EEvPKT_PS2_T2_: ; @_Z16sort_keys_kernelIaLj512ELj8EN10test_utils4lessELj10EEvPKT_PS2_T2_
; %bb.0:
	s_load_dwordx4 s[36:39], s[4:5], 0x0
	s_lshl_b32 s33, s6, 12
	v_lshlrev_b32_e32 v1, 3, v0
	v_and_b32_e32 v2, 0xff0, v1
	v_and_b32_e32 v3, 0xfe0, v1
	s_waitcnt lgkmcnt(0)
	s_add_u32 s0, s36, s33
	s_addc_u32 s1, s37, 0
	global_load_ubyte v35, v0, s[0:1] offset:512
	global_load_ubyte v36, v0, s[0:1] offset:1024
	;; [unrolled: 1-line block ×5, first 2 shown]
	global_load_ubyte v40, v0, s[0:1]
	global_load_ubyte v41, v0, s[0:1] offset:2048
	global_load_ubyte v42, v0, s[0:1] offset:3072
	v_or_b32_e32 v10, 8, v2
	v_add_u32_e32 v11, 16, v2
	v_and_b32_e32 v32, 8, v1
	v_and_b32_e32 v4, 0xfc0, v1
	v_or_b32_e32 v12, 16, v3
	v_add_u32_e32 v13, 32, v3
	v_sub_u32_e32 v47, v11, v10
	v_and_b32_e32 v33, 24, v1
	v_and_b32_e32 v5, 0xf80, v1
	v_or_b32_e32 v14, 32, v4
	v_add_u32_e32 v15, 64, v4
	v_sub_u32_e32 v48, v13, v12
	v_sub_u32_e32 v29, v10, v2
	;; [unrolled: 1-line block ×3, first 2 shown]
	v_cmp_ge_i32_e32 vcc, v32, v47
	v_and_b32_e32 v34, 56, v1
	v_and_b32_e32 v6, 0xf00, v1
	v_or_b32_e32 v16, 64, v5
	v_add_u32_e32 v17, 0x80, v5
	v_sub_u32_e32 v50, v15, v14
	v_add_u32_e32 v26, v10, v32
	v_sub_u32_e32 v30, v12, v3
	v_sub_u32_e32 v55, v33, v48
	v_min_i32_e32 v29, v32, v29
	v_cndmask_b32_e32 v32, 0, v54, vcc
	v_cmp_ge_i32_e32 vcc, v33, v48
	s_mov_b32 s6, 0xc0c0004
	v_and_b32_e32 v43, 0x78, v1
	v_and_b32_e32 v7, 0xe00, v1
	v_or_b32_e32 v18, 0x80, v6
	v_add_u32_e32 v19, 0x100, v6
	v_sub_u32_e32 v51, v17, v16
	v_add_u32_e32 v27, v12, v33
	v_sub_u32_e32 v31, v14, v4
	v_sub_u32_e32 v58, v34, v50
	v_min_i32_e32 v30, v33, v30
	v_cndmask_b32_e32 v33, 0, v55, vcc
	v_cmp_ge_i32_e32 vcc, v34, v50
	v_and_b32_e32 v44, 0xf8, v1
	v_and_b32_e32 v8, 0xc00, v1
	v_or_b32_e32 v20, 0x100, v7
	v_add_u32_e32 v21, 0x200, v7
	v_sub_u32_e32 v52, v19, v18
	v_add_u32_e32 v28, v14, v34
	v_sub_u32_e32 v59, v43, v51
	v_min_i32_e32 v31, v34, v31
	v_cndmask_b32_e32 v34, 0, v58, vcc
	v_cmp_ge_i32_e32 vcc, v43, v51
	v_and_b32_e32 v45, 0x1f8, v1
	v_and_b32_e32 v9, 0x800, v1
	v_or_b32_e32 v22, 0x200, v8
	v_add_u32_e32 v23, 0x400, v8
	v_sub_u32_e32 v53, v21, v20
	v_sub_u32_e32 v60, v44, v52
	v_and_b32_e32 v46, 0x3f8, v1
	v_or_b32_e32 v24, 0x400, v9
	v_add_u32_e32 v25, 0x800, v9
	v_sub_u32_e32 v56, v23, v22
	v_sub_u32_e32 v61, v45, v53
	v_and_b32_e32 v49, 0x7f8, v1
	v_sub_u32_e32 v57, v25, v24
	v_sub_u32_e32 v62, v46, v56
	;; [unrolled: 1-line block ×4, first 2 shown]
	v_mov_b32_e32 v50, 0x800
	v_min_i32_e32 v48, v49, v48
	v_sub_u32_e64 v51, v1, v50 clamp
	s_mov_b32 s34, 0
	v_cmp_lt_i32_e64 s[0:1], v32, v29
	v_cmp_lt_i32_e64 s[2:3], v33, v30
	;; [unrolled: 1-line block ×3, first 2 shown]
	s_mov_b32 s35, 0x7060405
	s_mov_b32 s36, 0xc0c0001
	;; [unrolled: 1-line block ×4, first 2 shown]
	s_movk_i32 s41, 0xff
	s_waitcnt vmcnt(3)
	v_perm_b32 v36, v36, v39, s6
	s_waitcnt vmcnt(2)
	v_perm_b32 v35, v40, v35, s6
	;; [unrolled: 2-line block ×4, first 2 shown]
	v_lshl_or_b32 v55, v36, 16, v35
	v_cndmask_b32_e32 v35, 0, v59, vcc
	v_cmp_ge_i32_e32 vcc, v44, v52
	v_lshl_or_b32 v54, v37, 16, v38
	v_cndmask_b32_e32 v38, 0, v60, vcc
	v_cmp_ge_i32_e32 vcc, v45, v53
	v_sub_u32_e32 v36, v16, v5
	v_sub_u32_e32 v39, v18, v6
	v_cndmask_b32_e32 v41, 0, v61, vcc
	v_sub_u32_e32 v42, v20, v7
	v_cmp_ge_i32_e32 vcc, v46, v56
	v_min_i32_e32 v36, v43, v36
	v_add_u32_e32 v37, v16, v43
	v_min_i32_e32 v39, v44, v39
	v_add_u32_e32 v40, v18, v44
	;; [unrolled: 2-line block ×3, first 2 shown]
	v_cndmask_b32_e32 v44, 0, v62, vcc
	v_sub_u32_e32 v45, v22, v8
	v_cmp_ge_i32_e32 vcc, v49, v57
	v_min_i32_e32 v45, v46, v45
	v_cndmask_b32_e32 v47, 0, v63, vcc
	v_min_i32_e32 v52, 0x800, v1
	v_cmp_lt_i32_e64 s[6:7], v35, v36
	v_cmp_lt_i32_e64 s[8:9], v38, v39
	v_cmp_lt_i32_e64 s[10:11], v41, v42
	v_cmp_lt_i32_e64 s[12:13], v44, v45
	v_add_u32_e32 v46, v22, v46
	v_cmp_lt_i32_e64 s[14:15], v47, v48
	v_add_u32_e32 v49, v24, v49
	v_cmp_lt_i32_e64 s[16:17], v51, v52
	s_mov_b32 s42, 0xc0c0304
	s_mov_b32 s43, 0x3020104
	s_movk_i32 s44, 0xff00
	s_mov_b32 s45, 0xffff0000
	s_movk_i32 s46, 0x1000
	v_add_u32_e32 v53, 0x800, v1
	s_branch .LBB78_2
.LBB78_1:                               ;   in Loop: Header=BB78_2 Depth=1
	s_or_b64 exec, exec, s[30:31]
	v_cndmask_b32_e64 v56, v56, v57, s[18:19]
	v_cndmask_b32_e64 v57, v58, v59, s[20:21]
	v_cmp_ge_i32_e64 s[18:19], v70, v50
	s_waitcnt lgkmcnt(0)
	v_cmp_lt_i16_sdwa s[20:21], sext(v72), sext(v69) src0_sel:BYTE_0 src1_sel:BYTE_0
	v_cndmask_b32_e32 v71, v54, v55, vcc
	v_cndmask_b32_e64 v58, v60, v61, s[22:23]
	v_cmp_gt_i32_e32 vcc, s46, v68
	s_or_b64 s[18:19], s[18:19], s[20:21]
	s_and_b64 vcc, vcc, s[18:19]
	v_lshlrev_b16_e32 v54, 8, v56
	v_lshlrev_b16_e32 v55, 8, v58
	v_cndmask_b32_e64 v59, v62, v63, s[24:25]
	v_cndmask_b32_e64 v60, v64, v65, s[26:27]
	v_cndmask_b32_e32 v62, v69, v72, vcc
	v_or_b32_sdwa v54, v71, v54 dst_sel:DWORD dst_unused:UNUSED_PAD src0_sel:BYTE_0 src1_sel:DWORD
	v_or_b32_sdwa v55, v57, v55 dst_sel:WORD_1 dst_unused:UNUSED_PAD src0_sel:BYTE_0 src1_sel:DWORD
	v_cndmask_b32_e64 v61, v66, v67, s[28:29]
	v_or_b32_sdwa v55, v54, v55 dst_sel:DWORD dst_unused:UNUSED_PAD src0_sel:WORD_0 src1_sel:DWORD
	v_lshlrev_b16_e32 v54, 8, v60
	v_lshlrev_b16_e32 v63, 8, v62
	s_add_i32 s34, s34, 1
	v_or_b32_sdwa v54, v59, v54 dst_sel:DWORD dst_unused:UNUSED_PAD src0_sel:BYTE_0 src1_sel:DWORD
	v_or_b32_sdwa v63, v61, v63 dst_sel:WORD_1 dst_unused:UNUSED_PAD src0_sel:BYTE_0 src1_sel:DWORD
	s_cmp_eq_u32 s34, 10
	v_or_b32_sdwa v54, v54, v63 dst_sel:DWORD dst_unused:UNUSED_PAD src0_sel:WORD_0 src1_sel:DWORD
	s_cbranch_scc1 .LBB78_290
.LBB78_2:                               ; =>This Loop Header: Depth=1
                                        ;     Child Loop BB78_4 Depth 2
                                        ;     Child Loop BB78_36 Depth 2
	;; [unrolled: 1-line block ×9, first 2 shown]
	v_lshrrev_b32_e32 v57, 8, v55
	v_perm_b32 v56, v55, v55, s35
	v_cmp_lt_i16_sdwa vcc, sext(v57), sext(v55) src0_sel:BYTE_0 src1_sel:BYTE_0
	v_cndmask_b32_e32 v56, v55, v56, vcc
	v_lshrrev_b32_e32 v58, 16, v56
	v_perm_b32 v59, 0, v58, s36
	v_min_i16_sdwa v60, sext(v57), sext(v55) dst_sel:DWORD dst_unused:UNUSED_PAD src0_sel:BYTE_0 src1_sel:BYTE_0
	v_max_i16_sdwa v55, sext(v57), sext(v55) dst_sel:DWORD dst_unused:UNUSED_PAD src0_sel:BYTE_0 src1_sel:BYTE_0
	v_lshrrev_b32_e32 v57, 24, v56
	v_lshlrev_b32_e32 v59, 16, v59
	v_and_or_b32 v59, v56, s37, v59
	v_cmp_lt_i16_sdwa vcc, sext(v57), sext(v58) src0_sel:BYTE_0 src1_sel:BYTE_0
	v_max_i16_sdwa v61, sext(v57), sext(v58) dst_sel:DWORD dst_unused:UNUSED_PAD src0_sel:BYTE_0 src1_sel:BYTE_0
	v_min_i16_sdwa v57, sext(v57), sext(v58) dst_sel:DWORD dst_unused:UNUSED_PAD src0_sel:BYTE_0 src1_sel:BYTE_0
	v_lshrrev_b32_e32 v58, 8, v54
	v_cndmask_b32_e32 v56, v56, v59, vcc
	v_perm_b32 v59, v54, v54, s35
	v_cmp_lt_i16_sdwa vcc, sext(v58), sext(v54) src0_sel:BYTE_0 src1_sel:BYTE_0
	v_cndmask_b32_e32 v59, v54, v59, vcc
	v_max_i16_sdwa v62, sext(v58), sext(v54) dst_sel:DWORD dst_unused:UNUSED_PAD src0_sel:BYTE_0 src1_sel:BYTE_0
	v_min_i16_sdwa v54, sext(v58), sext(v54) dst_sel:DWORD dst_unused:UNUSED_PAD src0_sel:BYTE_0 src1_sel:BYTE_0
	v_lshrrev_b32_e32 v58, 24, v59
	v_lshrrev_b32_e32 v63, 16, v59
	v_perm_b32 v64, v59, v59, s40
	v_cmp_lt_i16_sdwa vcc, sext(v58), sext(v63) src0_sel:BYTE_0 src1_sel:BYTE_0
	v_cndmask_b32_e32 v59, v59, v64, vcc
	v_max_i16_sdwa v64, sext(v58), sext(v63) dst_sel:DWORD dst_unused:UNUSED_PAD src0_sel:BYTE_0 src1_sel:BYTE_0
	v_min_i16_sdwa v58, sext(v58), sext(v63) dst_sel:DWORD dst_unused:UNUSED_PAD src0_sel:BYTE_0 src1_sel:BYTE_0
	v_lshlrev_b16_e32 v63, 8, v57
	v_or_b32_sdwa v63, v56, v63 dst_sel:DWORD dst_unused:UNUSED_PAD src0_sel:BYTE_0 src1_sel:DWORD
	v_and_b32_e32 v63, 0xffff, v63
	v_perm_b32 v65, v55, v56, s42
	v_lshl_or_b32 v63, v65, 16, v63
	v_cmp_lt_i16_e32 vcc, v57, v55
	v_cndmask_b32_e32 v56, v56, v63, vcc
	v_and_b32_sdwa v63, v56, s41 dst_sel:DWORD dst_unused:UNUSED_PAD src0_sel:WORD_1 src1_sel:DWORD
	v_lshlrev_b16_e32 v67, 8, v54
	v_perm_b32 v65, v61, v59, s43
	v_or_b32_sdwa v63, v63, v67 dst_sel:WORD_1 dst_unused:UNUSED_PAD src0_sel:DWORD src1_sel:DWORD
	v_cmp_lt_i16_e32 vcc, v54, v61
	v_and_or_b32 v63, v56, s37, v63
	v_cndmask_b32_e32 v59, v59, v65, vcc
	v_cndmask_b32_e32 v56, v56, v63, vcc
	v_and_b32_sdwa v63, v59, s44 dst_sel:DWORD dst_unused:UNUSED_PAD src0_sel:WORD_1 src1_sel:DWORD
	v_max_i16_e32 v65, v54, v61
	v_min_i16_e32 v54, v54, v61
	v_lshlrev_b16_e32 v61, 8, v58
	v_or_b32_sdwa v63, v62, v63 dst_sel:WORD_1 dst_unused:UNUSED_PAD src0_sel:BYTE_0 src1_sel:DWORD
	v_or_b32_sdwa v61, v59, v61 dst_sel:DWORD dst_unused:UNUSED_PAD src0_sel:BYTE_0 src1_sel:DWORD
	v_max_i16_e32 v66, v57, v55
	v_min_i16_e32 v55, v57, v55
	v_or_b32_sdwa v61, v61, v63 dst_sel:DWORD dst_unused:UNUSED_PAD src0_sel:WORD_0 src1_sel:DWORD
	v_lshlrev_b16_e32 v63, 8, v60
	v_or_b32_sdwa v63, v55, v63 dst_sel:DWORD dst_unused:UNUSED_PAD src0_sel:BYTE_0 src1_sel:DWORD
	v_cmp_lt_i16_e32 vcc, v58, v62
	v_and_b32_e32 v63, 0xffff, v63
	v_cndmask_b32_e32 v59, v59, v61, vcc
	v_cmp_lt_i16_e32 vcc, v57, v60
	v_and_or_b32 v63, v56, s45, v63
	v_cndmask_b32_e32 v57, v60, v55, vcc
	v_cndmask_b32_e32 v55, v55, v60, vcc
	v_lshlrev_b16_e32 v60, 8, v66
	v_cndmask_b32_e32 v56, v56, v63, vcc
	v_or_b32_sdwa v60, v54, v60 dst_sel:WORD_1 dst_unused:UNUSED_PAD src0_sel:BYTE_0 src1_sel:DWORD
	v_and_or_b32 v60, v56, s37, v60
	v_cmp_lt_i16_e32 vcc, v54, v66
	v_max_i16_e32 v61, v58, v62
	v_min_i16_e32 v58, v58, v62
	v_cndmask_b32_e32 v56, v56, v60, vcc
	v_lshlrev_b16_e32 v60, 8, v65
	v_or_b32_sdwa v60, v58, v60 dst_sel:DWORD dst_unused:UNUSED_PAD src0_sel:BYTE_0 src1_sel:DWORD
	v_and_b32_e32 v60, 0xffff, v60
	v_and_or_b32 v60, v59, s45, v60
	v_cmp_lt_i16_e32 vcc, v58, v65
	v_max_i16_e32 v63, v54, v66
	v_min_i16_e32 v54, v54, v66
	v_cndmask_b32_e32 v59, v59, v60, vcc
	v_max_i16_e32 v60, v58, v65
	v_min_i16_e32 v58, v58, v65
	v_lshlrev_b16_e32 v65, 8, v61
	v_cmp_gt_i16_e32 vcc, v62, v64
	v_or_b32_sdwa v65, v64, v65 dst_sel:WORD_1 dst_unused:UNUSED_PAD src0_sel:BYTE_0 src1_sel:DWORD
	v_cndmask_b32_e32 v62, v64, v61, vcc
	v_cndmask_b32_e32 v61, v61, v64, vcc
	v_lshlrev_b16_e32 v64, 8, v54
	v_and_or_b32 v65, v59, s37, v65
	v_or_b32_sdwa v64, v56, v64 dst_sel:DWORD dst_unused:UNUSED_PAD src0_sel:BYTE_0 src1_sel:DWORD
	v_cndmask_b32_e32 v59, v59, v65, vcc
	v_and_b32_e32 v64, 0xffff, v64
	v_perm_b32 v65, v55, v56, s42
	v_lshl_or_b32 v64, v65, 16, v64
	v_cmp_lt_i16_e32 vcc, v54, v55
	v_cndmask_b32_e32 v56, v56, v64, vcc
	v_and_b32_sdwa v64, v56, s41 dst_sel:DWORD dst_unused:UNUSED_PAD src0_sel:WORD_1 src1_sel:DWORD
	v_max_i16_e32 v66, v54, v55
	v_min_i16_e32 v54, v54, v55
	v_lshlrev_b16_e32 v55, 8, v58
	v_or_b32_sdwa v55, v64, v55 dst_sel:WORD_1 dst_unused:UNUSED_PAD src0_sel:DWORD src1_sel:DWORD
	v_perm_b32 v65, v63, v59, s43
	v_and_or_b32 v55, v56, s37, v55
	v_cmp_lt_i16_e32 vcc, v58, v63
	v_cndmask_b32_e32 v55, v56, v55, vcc
	v_cndmask_b32_e32 v56, v59, v65, vcc
	v_and_b32_sdwa v59, v56, s44 dst_sel:DWORD dst_unused:UNUSED_PAD src0_sel:WORD_1 src1_sel:DWORD
	v_max_i16_e32 v64, v58, v63
	v_min_i16_e32 v58, v58, v63
	v_lshlrev_b16_e32 v63, 8, v61
	v_or_b32_sdwa v59, v60, v59 dst_sel:WORD_1 dst_unused:UNUSED_PAD src0_sel:BYTE_0 src1_sel:DWORD
	v_or_b32_sdwa v63, v56, v63 dst_sel:DWORD dst_unused:UNUSED_PAD src0_sel:BYTE_0 src1_sel:DWORD
	v_or_b32_sdwa v59, v63, v59 dst_sel:DWORD dst_unused:UNUSED_PAD src0_sel:WORD_0 src1_sel:DWORD
	v_lshlrev_b16_e32 v63, 8, v57
	v_or_b32_sdwa v63, v54, v63 dst_sel:DWORD dst_unused:UNUSED_PAD src0_sel:BYTE_0 src1_sel:DWORD
	v_and_b32_e32 v63, 0xffff, v63
	v_cmp_lt_i16_e32 vcc, v61, v60
	v_and_or_b32 v63, v55, s45, v63
	v_cndmask_b32_e32 v56, v56, v59, vcc
	v_max_i16_e32 v59, v61, v60
	v_min_i16_e32 v60, v61, v60
	v_cmp_lt_i16_e32 vcc, v54, v57
	v_min_i16_e32 v61, v54, v57
	v_max_i16_e32 v54, v54, v57
	v_lshlrev_b16_e32 v57, 8, v66
	v_cndmask_b32_e32 v55, v55, v63, vcc
	v_or_b32_sdwa v57, v58, v57 dst_sel:WORD_1 dst_unused:UNUSED_PAD src0_sel:BYTE_0 src1_sel:DWORD
	v_and_or_b32 v57, v55, s37, v57
	v_cmp_lt_i16_e32 vcc, v58, v66
	v_cndmask_b32_e32 v55, v55, v57, vcc
	v_lshlrev_b16_e32 v57, 8, v64
	v_or_b32_sdwa v57, v60, v57 dst_sel:DWORD dst_unused:UNUSED_PAD src0_sel:BYTE_0 src1_sel:DWORD
	v_and_b32_e32 v57, 0xffff, v57
	v_and_or_b32 v57, v56, s45, v57
	v_cmp_lt_i16_e32 vcc, v60, v64
	v_cndmask_b32_e32 v56, v56, v57, vcc
	v_max_i16_e32 v57, v60, v64
	v_min_i16_e32 v60, v60, v64
	v_lshlrev_b16_e32 v64, 8, v59
	v_or_b32_sdwa v64, v62, v64 dst_sel:WORD_1 dst_unused:UNUSED_PAD src0_sel:BYTE_0 src1_sel:DWORD
	v_max_i16_e32 v63, v58, v66
	v_min_i16_e32 v58, v58, v66
	v_and_or_b32 v64, v56, s37, v64
	v_cmp_lt_i16_e32 vcc, v62, v59
	v_cndmask_b32_e32 v56, v56, v64, vcc
	v_max_i16_e32 v64, v62, v59
	v_min_i16_e32 v59, v62, v59
	v_lshlrev_b16_e32 v62, 8, v58
	v_or_b32_sdwa v62, v55, v62 dst_sel:DWORD dst_unused:UNUSED_PAD src0_sel:BYTE_0 src1_sel:DWORD
	v_and_b32_e32 v62, 0xffff, v62
	v_perm_b32 v65, v54, v55, s42
	v_lshl_or_b32 v62, v65, 16, v62
	v_cmp_lt_i16_e32 vcc, v58, v54
	v_cndmask_b32_e32 v55, v55, v62, vcc
	v_and_b32_sdwa v62, v55, s41 dst_sel:DWORD dst_unused:UNUSED_PAD src0_sel:WORD_1 src1_sel:DWORD
	v_lshlrev_b16_e32 v67, 8, v60
	v_perm_b32 v65, v63, v56, s43
	v_or_b32_sdwa v62, v62, v67 dst_sel:WORD_1 dst_unused:UNUSED_PAD src0_sel:DWORD src1_sel:DWORD
	v_cmp_lt_i16_e32 vcc, v60, v63
	v_and_or_b32 v62, v55, s37, v62
	v_cndmask_b32_e32 v56, v56, v65, vcc
	v_cndmask_b32_e32 v55, v55, v62, vcc
	v_and_b32_sdwa v62, v56, s44 dst_sel:DWORD dst_unused:UNUSED_PAD src0_sel:WORD_1 src1_sel:DWORD
	v_max_i16_e32 v65, v60, v63
	v_min_i16_e32 v60, v60, v63
	v_lshlrev_b16_e32 v63, 8, v59
	v_or_b32_sdwa v62, v57, v62 dst_sel:WORD_1 dst_unused:UNUSED_PAD src0_sel:BYTE_0 src1_sel:DWORD
	v_or_b32_sdwa v63, v56, v63 dst_sel:DWORD dst_unused:UNUSED_PAD src0_sel:BYTE_0 src1_sel:DWORD
	v_max_i16_e32 v66, v58, v54
	v_min_i16_e32 v54, v58, v54
	v_or_b32_sdwa v62, v63, v62 dst_sel:DWORD dst_unused:UNUSED_PAD src0_sel:WORD_0 src1_sel:DWORD
	v_lshlrev_b16_e32 v63, 8, v61
	v_or_b32_sdwa v63, v54, v63 dst_sel:DWORD dst_unused:UNUSED_PAD src0_sel:BYTE_0 src1_sel:DWORD
	v_and_b32_e32 v63, 0xffff, v63
	v_cmp_lt_i16_e32 vcc, v59, v57
	v_and_or_b32 v63, v55, s45, v63
	v_cndmask_b32_e32 v56, v56, v62, vcc
	v_cmp_lt_i16_e32 vcc, v58, v61
	v_lshlrev_b16_e32 v58, 8, v66
	v_cndmask_b32_e32 v55, v55, v63, vcc
	v_or_b32_sdwa v58, v60, v58 dst_sel:WORD_1 dst_unused:UNUSED_PAD src0_sel:BYTE_0 src1_sel:DWORD
	v_cndmask_b32_e32 v54, v54, v61, vcc
	v_and_or_b32 v58, v55, s37, v58
	v_cmp_lt_i16_e32 vcc, v60, v66
	v_max_i16_e32 v62, v59, v57
	v_min_i16_e32 v59, v59, v57
	v_cndmask_b32_e32 v55, v55, v58, vcc
	v_lshlrev_b16_e32 v58, 8, v65
	v_or_b32_sdwa v58, v59, v58 dst_sel:DWORD dst_unused:UNUSED_PAD src0_sel:BYTE_0 src1_sel:DWORD
	v_and_b32_e32 v58, 0xffff, v58
	v_and_or_b32 v58, v56, s45, v58
	v_cmp_lt_i16_e32 vcc, v59, v65
	v_max_i16_e32 v61, v60, v66
	v_min_i16_e32 v60, v60, v66
	v_cndmask_b32_e32 v56, v56, v58, vcc
	v_lshlrev_b16_e32 v63, 8, v62
	v_cmp_gt_i16_e32 vcc, v57, v64
	v_or_b32_sdwa v63, v64, v63 dst_sel:WORD_1 dst_unused:UNUSED_PAD src0_sel:BYTE_0 src1_sel:DWORD
	v_cndmask_b32_e32 v57, v62, v64, vcc
	v_lshlrev_b16_e32 v62, 8, v60
	v_and_or_b32 v63, v56, s37, v63
	v_or_b32_sdwa v62, v55, v62 dst_sel:DWORD dst_unused:UNUSED_PAD src0_sel:BYTE_0 src1_sel:DWORD
	v_cndmask_b32_e32 v56, v56, v63, vcc
	v_and_b32_e32 v62, 0xffff, v62
	v_perm_b32 v63, v54, v55, s42
	v_lshl_or_b32 v62, v63, 16, v62
	v_cmp_lt_i16_e32 vcc, v60, v54
	v_max_i16_e32 v58, v59, v65
	v_min_i16_e32 v59, v59, v65
	v_cndmask_b32_e32 v54, v55, v62, vcc
	v_and_b32_sdwa v55, v54, s41 dst_sel:DWORD dst_unused:UNUSED_PAD src0_sel:WORD_1 src1_sel:DWORD
	v_lshlrev_b16_e32 v62, 8, v59
	v_or_b32_sdwa v55, v55, v62 dst_sel:WORD_1 dst_unused:UNUSED_PAD src0_sel:DWORD src1_sel:DWORD
	v_perm_b32 v60, v61, v56, s43
	v_and_or_b32 v55, v54, s37, v55
	v_cmp_lt_i16_e32 vcc, v59, v61
	v_cndmask_b32_e32 v54, v54, v55, vcc
	v_cndmask_b32_e32 v55, v56, v60, vcc
	v_and_b32_sdwa v56, v55, s44 dst_sel:DWORD dst_unused:UNUSED_PAD src0_sel:WORD_1 src1_sel:DWORD
	v_lshlrev_b16_e32 v59, 8, v57
	v_or_b32_sdwa v56, v58, v56 dst_sel:WORD_1 dst_unused:UNUSED_PAD src0_sel:BYTE_0 src1_sel:DWORD
	v_or_b32_sdwa v59, v55, v59 dst_sel:DWORD dst_unused:UNUSED_PAD src0_sel:BYTE_0 src1_sel:DWORD
	v_or_b32_sdwa v56, v59, v56 dst_sel:DWORD dst_unused:UNUSED_PAD src0_sel:WORD_0 src1_sel:DWORD
	v_cmp_lt_i16_e32 vcc, v57, v58
	v_cndmask_b32_e32 v55, v55, v56, vcc
	s_barrier
	ds_write_b64 v1, v[54:55]
	v_mov_b32_e32 v54, v32
	s_waitcnt lgkmcnt(0)
	s_barrier
	s_and_saveexec_b64 s[18:19], s[0:1]
	s_cbranch_execz .LBB78_6
; %bb.3:                                ;   in Loop: Header=BB78_2 Depth=1
	s_mov_b64 s[20:21], 0
	v_mov_b32_e32 v54, v32
	v_mov_b32_e32 v55, v29
.LBB78_4:                               ;   Parent Loop BB78_2 Depth=1
                                        ; =>  This Inner Loop Header: Depth=2
	v_sub_u32_e32 v56, v55, v54
	v_lshrrev_b32_e32 v56, 1, v56
	v_add_u32_e32 v56, v56, v54
	v_add_u32_e32 v57, v2, v56
	v_xad_u32 v58, v56, -1, v26
	ds_read_i8 v57, v57
	ds_read_i8 v58, v58
	v_add_u32_e32 v59, 1, v56
	s_waitcnt lgkmcnt(0)
	v_cmp_lt_i16_e32 vcc, v58, v57
	v_cndmask_b32_e32 v55, v55, v56, vcc
	v_cndmask_b32_e32 v54, v59, v54, vcc
	v_cmp_ge_i32_e32 vcc, v54, v55
	s_or_b64 s[20:21], vcc, s[20:21]
	s_andn2_b64 exec, exec, s[20:21]
	s_cbranch_execnz .LBB78_4
; %bb.5:                                ;   in Loop: Header=BB78_2 Depth=1
	s_or_b64 exec, exec, s[20:21]
.LBB78_6:                               ;   in Loop: Header=BB78_2 Depth=1
	s_or_b64 exec, exec, s[18:19]
	v_add_u32_e32 v58, v54, v2
	v_sub_u32_e32 v59, v26, v54
	ds_read_u8 v54, v58
	ds_read_u8 v55, v59
	v_cmp_le_i32_e64 s[18:19], v10, v58
	v_cmp_gt_i32_e32 vcc, v11, v59
                                        ; implicit-def: $vgpr56
	s_waitcnt lgkmcnt(1)
	v_bfe_i32 v54, v54, 0, 8
	s_waitcnt lgkmcnt(0)
	v_bfe_i32 v55, v55, 0, 8
	v_cmp_lt_i16_e64 s[20:21], v55, v54
	s_or_b64 s[18:19], s[18:19], s[20:21]
	s_and_b64 s[18:19], vcc, s[18:19]
	s_xor_b64 s[20:21], s[18:19], -1
	s_and_saveexec_b64 s[22:23], s[20:21]
	s_xor_b64 s[20:21], exec, s[22:23]
; %bb.7:                                ;   in Loop: Header=BB78_2 Depth=1
	ds_read_u8 v56, v58 offset:1
; %bb.8:                                ;   in Loop: Header=BB78_2 Depth=1
	s_or_saveexec_b64 s[20:21], s[20:21]
	v_mov_b32_e32 v57, v55
	s_xor_b64 exec, exec, s[20:21]
	s_cbranch_execz .LBB78_10
; %bb.9:                                ;   in Loop: Header=BB78_2 Depth=1
	ds_read_u8 v57, v59 offset:1
	s_waitcnt lgkmcnt(1)
	v_mov_b32_e32 v56, v54
.LBB78_10:                              ;   in Loop: Header=BB78_2 Depth=1
	s_or_b64 exec, exec, s[20:21]
	v_add_u32_e32 v61, 1, v58
	v_add_u32_e32 v60, 1, v59
	v_cndmask_b32_e64 v61, v61, v58, s[18:19]
	v_cndmask_b32_e64 v60, v59, v60, s[18:19]
	v_cmp_ge_i32_e64 s[20:21], v61, v10
	s_waitcnt lgkmcnt(0)
	v_cmp_lt_i16_sdwa s[22:23], sext(v57), sext(v56) src0_sel:BYTE_0 src1_sel:BYTE_0
	v_cmp_lt_i32_e32 vcc, v60, v11
	s_or_b64 s[20:21], s[20:21], s[22:23]
	s_and_b64 s[20:21], vcc, s[20:21]
	s_xor_b64 s[22:23], s[20:21], -1
                                        ; implicit-def: $vgpr58
	s_and_saveexec_b64 s[24:25], s[22:23]
	s_xor_b64 s[22:23], exec, s[24:25]
; %bb.11:                               ;   in Loop: Header=BB78_2 Depth=1
	ds_read_u8 v58, v61 offset:1
; %bb.12:                               ;   in Loop: Header=BB78_2 Depth=1
	s_or_saveexec_b64 s[22:23], s[22:23]
	v_mov_b32_e32 v59, v57
	s_xor_b64 exec, exec, s[22:23]
	s_cbranch_execz .LBB78_14
; %bb.13:                               ;   in Loop: Header=BB78_2 Depth=1
	ds_read_u8 v59, v60 offset:1
	s_waitcnt lgkmcnt(1)
	v_mov_b32_e32 v58, v56
.LBB78_14:                              ;   in Loop: Header=BB78_2 Depth=1
	s_or_b64 exec, exec, s[22:23]
	v_add_u32_e32 v63, 1, v61
	v_add_u32_e32 v62, 1, v60
	v_cndmask_b32_e64 v63, v63, v61, s[20:21]
	v_cndmask_b32_e64 v62, v60, v62, s[20:21]
	v_cmp_ge_i32_e64 s[22:23], v63, v10
	s_waitcnt lgkmcnt(0)
	v_cmp_lt_i16_sdwa s[24:25], sext(v59), sext(v58) src0_sel:BYTE_0 src1_sel:BYTE_0
	v_cmp_lt_i32_e32 vcc, v62, v11
	s_or_b64 s[22:23], s[22:23], s[24:25]
	s_and_b64 s[22:23], vcc, s[22:23]
	s_xor_b64 s[24:25], s[22:23], -1
                                        ; implicit-def: $vgpr60
	s_and_saveexec_b64 s[26:27], s[24:25]
	s_xor_b64 s[24:25], exec, s[26:27]
; %bb.15:                               ;   in Loop: Header=BB78_2 Depth=1
	ds_read_u8 v60, v63 offset:1
; %bb.16:                               ;   in Loop: Header=BB78_2 Depth=1
	s_or_saveexec_b64 s[24:25], s[24:25]
	v_mov_b32_e32 v61, v59
	s_xor_b64 exec, exec, s[24:25]
	s_cbranch_execz .LBB78_18
; %bb.17:                               ;   in Loop: Header=BB78_2 Depth=1
	ds_read_u8 v61, v62 offset:1
	s_waitcnt lgkmcnt(1)
	v_mov_b32_e32 v60, v58
.LBB78_18:                              ;   in Loop: Header=BB78_2 Depth=1
	s_or_b64 exec, exec, s[24:25]
	v_add_u32_e32 v65, 1, v63
	v_add_u32_e32 v64, 1, v62
	v_cndmask_b32_e64 v65, v65, v63, s[22:23]
	v_cndmask_b32_e64 v64, v62, v64, s[22:23]
	v_cmp_ge_i32_e64 s[24:25], v65, v10
	s_waitcnt lgkmcnt(0)
	v_cmp_lt_i16_sdwa s[26:27], sext(v61), sext(v60) src0_sel:BYTE_0 src1_sel:BYTE_0
	v_cmp_lt_i32_e32 vcc, v64, v11
	s_or_b64 s[24:25], s[24:25], s[26:27]
	s_and_b64 s[24:25], vcc, s[24:25]
	s_xor_b64 s[26:27], s[24:25], -1
                                        ; implicit-def: $vgpr62
	s_and_saveexec_b64 s[28:29], s[26:27]
	s_xor_b64 s[26:27], exec, s[28:29]
; %bb.19:                               ;   in Loop: Header=BB78_2 Depth=1
	ds_read_u8 v62, v65 offset:1
; %bb.20:                               ;   in Loop: Header=BB78_2 Depth=1
	s_or_saveexec_b64 s[26:27], s[26:27]
	v_mov_b32_e32 v63, v61
	s_xor_b64 exec, exec, s[26:27]
	s_cbranch_execz .LBB78_22
; %bb.21:                               ;   in Loop: Header=BB78_2 Depth=1
	ds_read_u8 v63, v64 offset:1
	s_waitcnt lgkmcnt(1)
	v_mov_b32_e32 v62, v60
.LBB78_22:                              ;   in Loop: Header=BB78_2 Depth=1
	s_or_b64 exec, exec, s[26:27]
	v_add_u32_e32 v67, 1, v65
	v_add_u32_e32 v66, 1, v64
	v_cndmask_b32_e64 v67, v67, v65, s[24:25]
	v_cndmask_b32_e64 v66, v64, v66, s[24:25]
	v_cmp_ge_i32_e64 s[26:27], v67, v10
	s_waitcnt lgkmcnt(0)
	v_cmp_lt_i16_sdwa s[28:29], sext(v63), sext(v62) src0_sel:BYTE_0 src1_sel:BYTE_0
	v_cmp_lt_i32_e32 vcc, v66, v11
	s_or_b64 s[26:27], s[26:27], s[28:29]
	s_and_b64 s[26:27], vcc, s[26:27]
	s_xor_b64 s[28:29], s[26:27], -1
                                        ; implicit-def: $vgpr64
	s_and_saveexec_b64 s[30:31], s[28:29]
	s_xor_b64 s[28:29], exec, s[30:31]
; %bb.23:                               ;   in Loop: Header=BB78_2 Depth=1
	ds_read_u8 v64, v67 offset:1
; %bb.24:                               ;   in Loop: Header=BB78_2 Depth=1
	s_or_saveexec_b64 s[28:29], s[28:29]
	v_mov_b32_e32 v65, v63
	s_xor_b64 exec, exec, s[28:29]
	s_cbranch_execz .LBB78_26
; %bb.25:                               ;   in Loop: Header=BB78_2 Depth=1
	ds_read_u8 v65, v66 offset:1
	s_waitcnt lgkmcnt(1)
	v_mov_b32_e32 v64, v62
.LBB78_26:                              ;   in Loop: Header=BB78_2 Depth=1
	s_or_b64 exec, exec, s[28:29]
	v_add_u32_e32 v69, 1, v67
	v_add_u32_e32 v68, 1, v66
	v_cndmask_b32_e64 v70, v69, v67, s[26:27]
	v_cndmask_b32_e64 v68, v66, v68, s[26:27]
	v_cmp_ge_i32_e64 s[28:29], v70, v10
	s_waitcnt lgkmcnt(0)
	v_cmp_lt_i16_sdwa s[30:31], sext(v65), sext(v64) src0_sel:BYTE_0 src1_sel:BYTE_0
	v_cmp_lt_i32_e32 vcc, v68, v11
	s_or_b64 s[28:29], s[28:29], s[30:31]
	s_and_b64 vcc, vcc, s[28:29]
	s_xor_b64 s[28:29], vcc, -1
                                        ; implicit-def: $vgpr66
	s_and_saveexec_b64 s[30:31], s[28:29]
	s_xor_b64 s[28:29], exec, s[30:31]
; %bb.27:                               ;   in Loop: Header=BB78_2 Depth=1
	ds_read_u8 v66, v70 offset:1
; %bb.28:                               ;   in Loop: Header=BB78_2 Depth=1
	s_or_saveexec_b64 s[28:29], s[28:29]
	v_mov_b32_e32 v67, v65
	s_xor_b64 exec, exec, s[28:29]
	s_cbranch_execz .LBB78_30
; %bb.29:                               ;   in Loop: Header=BB78_2 Depth=1
	ds_read_u8 v67, v68 offset:1
	s_waitcnt lgkmcnt(1)
	v_mov_b32_e32 v66, v64
.LBB78_30:                              ;   in Loop: Header=BB78_2 Depth=1
	s_or_b64 exec, exec, s[28:29]
	v_add_u32_e32 v71, 1, v70
	v_add_u32_e32 v69, 1, v68
	v_cndmask_b32_e32 v70, v71, v70, vcc
	v_cndmask_b32_e32 v69, v68, v69, vcc
	v_cmp_ge_i32_e64 s[30:31], v70, v10
	s_waitcnt lgkmcnt(0)
	v_cmp_lt_i16_sdwa s[48:49], sext(v67), sext(v66) src0_sel:BYTE_0 src1_sel:BYTE_0
	v_cmp_lt_i32_e64 s[28:29], v69, v11
	s_or_b64 s[30:31], s[30:31], s[48:49]
	s_and_b64 s[28:29], s[28:29], s[30:31]
	s_xor_b64 s[30:31], s[28:29], -1
                                        ; implicit-def: $vgpr68
	s_and_saveexec_b64 s[48:49], s[30:31]
	s_xor_b64 s[30:31], exec, s[48:49]
; %bb.31:                               ;   in Loop: Header=BB78_2 Depth=1
	ds_read_u8 v68, v70 offset:1
; %bb.32:                               ;   in Loop: Header=BB78_2 Depth=1
	s_or_saveexec_b64 s[30:31], s[30:31]
	v_mov_b32_e32 v71, v67
	s_xor_b64 exec, exec, s[30:31]
	s_cbranch_execz .LBB78_34
; %bb.33:                               ;   in Loop: Header=BB78_2 Depth=1
	ds_read_u8 v71, v69 offset:1
	s_waitcnt lgkmcnt(1)
	v_mov_b32_e32 v68, v66
.LBB78_34:                              ;   in Loop: Header=BB78_2 Depth=1
	s_or_b64 exec, exec, s[30:31]
	v_cndmask_b32_e64 v66, v66, v67, s[28:29]
	v_add_u32_e32 v67, 1, v69
	v_add_u32_e32 v72, 1, v70
	v_cndmask_b32_e64 v67, v69, v67, s[28:29]
	v_cndmask_b32_e64 v69, v72, v70, s[28:29]
	v_cndmask_b32_sdwa v64, v64, v65, vcc dst_sel:BYTE_1 dst_unused:UNUSED_PAD src0_sel:DWORD src1_sel:DWORD
	s_mov_b64 vcc, s[24:25]
	v_cndmask_b32_e64 v56, v56, v57, s[20:21]
	v_cndmask_b32_e64 v54, v54, v55, s[18:19]
	v_cmp_ge_i32_e64 s[18:19], v69, v10
	s_waitcnt lgkmcnt(0)
	v_cmp_lt_i16_sdwa s[20:21], sext(v71), sext(v68) src0_sel:BYTE_0 src1_sel:BYTE_0
	v_cndmask_b32_sdwa v60, v60, v61, vcc dst_sel:BYTE_1 dst_unused:UNUSED_PAD src0_sel:DWORD src1_sel:DWORD
	v_cmp_lt_i32_e32 vcc, v67, v11
	s_or_b64 s[18:19], s[18:19], s[20:21]
	s_and_b64 vcc, vcc, s[18:19]
	v_cndmask_b32_e64 v58, v58, v59, s[22:23]
	v_cndmask_b32_e32 v55, v68, v71, vcc
	v_lshlrev_b16_e32 v56, 8, v56
	v_cndmask_b32_e64 v62, v62, v63, s[26:27]
	v_or_b32_sdwa v54, v54, v56 dst_sel:DWORD dst_unused:UNUSED_PAD src0_sel:BYTE_0 src1_sel:DWORD
	v_or_b32_sdwa v56, v58, v60 dst_sel:WORD_1 dst_unused:UNUSED_PAD src0_sel:BYTE_0 src1_sel:DWORD
	v_lshlrev_b16_e32 v55, 8, v55
	v_or_b32_sdwa v54, v54, v56 dst_sel:DWORD dst_unused:UNUSED_PAD src0_sel:WORD_0 src1_sel:DWORD
	v_or_b32_sdwa v56, v62, v64 dst_sel:DWORD dst_unused:UNUSED_PAD src0_sel:BYTE_0 src1_sel:DWORD
	v_or_b32_sdwa v55, v66, v55 dst_sel:WORD_1 dst_unused:UNUSED_PAD src0_sel:BYTE_0 src1_sel:DWORD
	v_or_b32_sdwa v55, v56, v55 dst_sel:DWORD dst_unused:UNUSED_PAD src0_sel:WORD_0 src1_sel:DWORD
	s_barrier
	ds_write_b64 v1, v[54:55]
	v_mov_b32_e32 v54, v33
	s_waitcnt lgkmcnt(0)
	s_barrier
	s_and_saveexec_b64 s[18:19], s[2:3]
	s_cbranch_execz .LBB78_38
; %bb.35:                               ;   in Loop: Header=BB78_2 Depth=1
	s_mov_b64 s[20:21], 0
	v_mov_b32_e32 v54, v33
	v_mov_b32_e32 v55, v30
.LBB78_36:                              ;   Parent Loop BB78_2 Depth=1
                                        ; =>  This Inner Loop Header: Depth=2
	v_sub_u32_e32 v56, v55, v54
	v_lshrrev_b32_e32 v56, 1, v56
	v_add_u32_e32 v56, v56, v54
	v_add_u32_e32 v57, v3, v56
	v_xad_u32 v58, v56, -1, v27
	ds_read_i8 v57, v57
	ds_read_i8 v58, v58
	v_add_u32_e32 v59, 1, v56
	s_waitcnt lgkmcnt(0)
	v_cmp_lt_i16_e32 vcc, v58, v57
	v_cndmask_b32_e32 v55, v55, v56, vcc
	v_cndmask_b32_e32 v54, v59, v54, vcc
	v_cmp_ge_i32_e32 vcc, v54, v55
	s_or_b64 s[20:21], vcc, s[20:21]
	s_andn2_b64 exec, exec, s[20:21]
	s_cbranch_execnz .LBB78_36
; %bb.37:                               ;   in Loop: Header=BB78_2 Depth=1
	s_or_b64 exec, exec, s[20:21]
.LBB78_38:                              ;   in Loop: Header=BB78_2 Depth=1
	s_or_b64 exec, exec, s[18:19]
	v_add_u32_e32 v58, v54, v3
	v_sub_u32_e32 v59, v27, v54
	ds_read_u8 v54, v58
	ds_read_u8 v55, v59
	v_cmp_le_i32_e64 s[18:19], v12, v58
	v_cmp_gt_i32_e32 vcc, v13, v59
                                        ; implicit-def: $vgpr56
	s_waitcnt lgkmcnt(1)
	v_bfe_i32 v54, v54, 0, 8
	s_waitcnt lgkmcnt(0)
	v_bfe_i32 v55, v55, 0, 8
	v_cmp_lt_i16_e64 s[20:21], v55, v54
	s_or_b64 s[18:19], s[18:19], s[20:21]
	s_and_b64 s[18:19], vcc, s[18:19]
	s_xor_b64 s[20:21], s[18:19], -1
	s_and_saveexec_b64 s[22:23], s[20:21]
	s_xor_b64 s[20:21], exec, s[22:23]
; %bb.39:                               ;   in Loop: Header=BB78_2 Depth=1
	ds_read_u8 v56, v58 offset:1
; %bb.40:                               ;   in Loop: Header=BB78_2 Depth=1
	s_or_saveexec_b64 s[20:21], s[20:21]
	v_mov_b32_e32 v57, v55
	s_xor_b64 exec, exec, s[20:21]
	s_cbranch_execz .LBB78_42
; %bb.41:                               ;   in Loop: Header=BB78_2 Depth=1
	ds_read_u8 v57, v59 offset:1
	s_waitcnt lgkmcnt(1)
	v_mov_b32_e32 v56, v54
.LBB78_42:                              ;   in Loop: Header=BB78_2 Depth=1
	s_or_b64 exec, exec, s[20:21]
	v_add_u32_e32 v61, 1, v58
	v_add_u32_e32 v60, 1, v59
	v_cndmask_b32_e64 v61, v61, v58, s[18:19]
	v_cndmask_b32_e64 v60, v59, v60, s[18:19]
	v_cmp_ge_i32_e64 s[20:21], v61, v12
	s_waitcnt lgkmcnt(0)
	v_cmp_lt_i16_sdwa s[22:23], sext(v57), sext(v56) src0_sel:BYTE_0 src1_sel:BYTE_0
	v_cmp_lt_i32_e32 vcc, v60, v13
	s_or_b64 s[20:21], s[20:21], s[22:23]
	s_and_b64 s[20:21], vcc, s[20:21]
	s_xor_b64 s[22:23], s[20:21], -1
                                        ; implicit-def: $vgpr58
	s_and_saveexec_b64 s[24:25], s[22:23]
	s_xor_b64 s[22:23], exec, s[24:25]
; %bb.43:                               ;   in Loop: Header=BB78_2 Depth=1
	ds_read_u8 v58, v61 offset:1
; %bb.44:                               ;   in Loop: Header=BB78_2 Depth=1
	s_or_saveexec_b64 s[22:23], s[22:23]
	v_mov_b32_e32 v59, v57
	s_xor_b64 exec, exec, s[22:23]
	s_cbranch_execz .LBB78_46
; %bb.45:                               ;   in Loop: Header=BB78_2 Depth=1
	ds_read_u8 v59, v60 offset:1
	s_waitcnt lgkmcnt(1)
	v_mov_b32_e32 v58, v56
.LBB78_46:                              ;   in Loop: Header=BB78_2 Depth=1
	s_or_b64 exec, exec, s[22:23]
	v_add_u32_e32 v63, 1, v61
	v_add_u32_e32 v62, 1, v60
	v_cndmask_b32_e64 v63, v63, v61, s[20:21]
	v_cndmask_b32_e64 v62, v60, v62, s[20:21]
	v_cmp_ge_i32_e64 s[22:23], v63, v12
	s_waitcnt lgkmcnt(0)
	v_cmp_lt_i16_sdwa s[24:25], sext(v59), sext(v58) src0_sel:BYTE_0 src1_sel:BYTE_0
	v_cmp_lt_i32_e32 vcc, v62, v13
	s_or_b64 s[22:23], s[22:23], s[24:25]
	s_and_b64 s[22:23], vcc, s[22:23]
	s_xor_b64 s[24:25], s[22:23], -1
                                        ; implicit-def: $vgpr60
	s_and_saveexec_b64 s[26:27], s[24:25]
	s_xor_b64 s[24:25], exec, s[26:27]
; %bb.47:                               ;   in Loop: Header=BB78_2 Depth=1
	ds_read_u8 v60, v63 offset:1
; %bb.48:                               ;   in Loop: Header=BB78_2 Depth=1
	s_or_saveexec_b64 s[24:25], s[24:25]
	v_mov_b32_e32 v61, v59
	s_xor_b64 exec, exec, s[24:25]
	s_cbranch_execz .LBB78_50
; %bb.49:                               ;   in Loop: Header=BB78_2 Depth=1
	ds_read_u8 v61, v62 offset:1
	s_waitcnt lgkmcnt(1)
	v_mov_b32_e32 v60, v58
.LBB78_50:                              ;   in Loop: Header=BB78_2 Depth=1
	s_or_b64 exec, exec, s[24:25]
	v_add_u32_e32 v65, 1, v63
	v_add_u32_e32 v64, 1, v62
	v_cndmask_b32_e64 v65, v65, v63, s[22:23]
	v_cndmask_b32_e64 v64, v62, v64, s[22:23]
	v_cmp_ge_i32_e64 s[24:25], v65, v12
	s_waitcnt lgkmcnt(0)
	v_cmp_lt_i16_sdwa s[26:27], sext(v61), sext(v60) src0_sel:BYTE_0 src1_sel:BYTE_0
	v_cmp_lt_i32_e32 vcc, v64, v13
	s_or_b64 s[24:25], s[24:25], s[26:27]
	s_and_b64 s[24:25], vcc, s[24:25]
	s_xor_b64 s[26:27], s[24:25], -1
                                        ; implicit-def: $vgpr62
	s_and_saveexec_b64 s[28:29], s[26:27]
	s_xor_b64 s[26:27], exec, s[28:29]
; %bb.51:                               ;   in Loop: Header=BB78_2 Depth=1
	ds_read_u8 v62, v65 offset:1
; %bb.52:                               ;   in Loop: Header=BB78_2 Depth=1
	s_or_saveexec_b64 s[26:27], s[26:27]
	v_mov_b32_e32 v63, v61
	s_xor_b64 exec, exec, s[26:27]
	s_cbranch_execz .LBB78_54
; %bb.53:                               ;   in Loop: Header=BB78_2 Depth=1
	ds_read_u8 v63, v64 offset:1
	s_waitcnt lgkmcnt(1)
	v_mov_b32_e32 v62, v60
.LBB78_54:                              ;   in Loop: Header=BB78_2 Depth=1
	s_or_b64 exec, exec, s[26:27]
	v_add_u32_e32 v67, 1, v65
	v_add_u32_e32 v66, 1, v64
	v_cndmask_b32_e64 v67, v67, v65, s[24:25]
	v_cndmask_b32_e64 v66, v64, v66, s[24:25]
	v_cmp_ge_i32_e64 s[26:27], v67, v12
	s_waitcnt lgkmcnt(0)
	v_cmp_lt_i16_sdwa s[28:29], sext(v63), sext(v62) src0_sel:BYTE_0 src1_sel:BYTE_0
	v_cmp_lt_i32_e32 vcc, v66, v13
	s_or_b64 s[26:27], s[26:27], s[28:29]
	s_and_b64 s[26:27], vcc, s[26:27]
	s_xor_b64 s[28:29], s[26:27], -1
                                        ; implicit-def: $vgpr64
	s_and_saveexec_b64 s[30:31], s[28:29]
	s_xor_b64 s[28:29], exec, s[30:31]
; %bb.55:                               ;   in Loop: Header=BB78_2 Depth=1
	ds_read_u8 v64, v67 offset:1
; %bb.56:                               ;   in Loop: Header=BB78_2 Depth=1
	s_or_saveexec_b64 s[28:29], s[28:29]
	v_mov_b32_e32 v65, v63
	s_xor_b64 exec, exec, s[28:29]
	s_cbranch_execz .LBB78_58
; %bb.57:                               ;   in Loop: Header=BB78_2 Depth=1
	ds_read_u8 v65, v66 offset:1
	s_waitcnt lgkmcnt(1)
	v_mov_b32_e32 v64, v62
.LBB78_58:                              ;   in Loop: Header=BB78_2 Depth=1
	s_or_b64 exec, exec, s[28:29]
	v_add_u32_e32 v69, 1, v67
	v_add_u32_e32 v68, 1, v66
	v_cndmask_b32_e64 v70, v69, v67, s[26:27]
	v_cndmask_b32_e64 v68, v66, v68, s[26:27]
	v_cmp_ge_i32_e64 s[28:29], v70, v12
	s_waitcnt lgkmcnt(0)
	v_cmp_lt_i16_sdwa s[30:31], sext(v65), sext(v64) src0_sel:BYTE_0 src1_sel:BYTE_0
	v_cmp_lt_i32_e32 vcc, v68, v13
	s_or_b64 s[28:29], s[28:29], s[30:31]
	s_and_b64 vcc, vcc, s[28:29]
	s_xor_b64 s[28:29], vcc, -1
                                        ; implicit-def: $vgpr66
	s_and_saveexec_b64 s[30:31], s[28:29]
	s_xor_b64 s[28:29], exec, s[30:31]
; %bb.59:                               ;   in Loop: Header=BB78_2 Depth=1
	ds_read_u8 v66, v70 offset:1
; %bb.60:                               ;   in Loop: Header=BB78_2 Depth=1
	s_or_saveexec_b64 s[28:29], s[28:29]
	v_mov_b32_e32 v67, v65
	s_xor_b64 exec, exec, s[28:29]
	s_cbranch_execz .LBB78_62
; %bb.61:                               ;   in Loop: Header=BB78_2 Depth=1
	ds_read_u8 v67, v68 offset:1
	s_waitcnt lgkmcnt(1)
	v_mov_b32_e32 v66, v64
.LBB78_62:                              ;   in Loop: Header=BB78_2 Depth=1
	s_or_b64 exec, exec, s[28:29]
	v_add_u32_e32 v71, 1, v70
	v_add_u32_e32 v69, 1, v68
	v_cndmask_b32_e32 v70, v71, v70, vcc
	v_cndmask_b32_e32 v69, v68, v69, vcc
	v_cmp_ge_i32_e64 s[30:31], v70, v12
	s_waitcnt lgkmcnt(0)
	v_cmp_lt_i16_sdwa s[48:49], sext(v67), sext(v66) src0_sel:BYTE_0 src1_sel:BYTE_0
	v_cmp_lt_i32_e64 s[28:29], v69, v13
	s_or_b64 s[30:31], s[30:31], s[48:49]
	s_and_b64 s[28:29], s[28:29], s[30:31]
	s_xor_b64 s[30:31], s[28:29], -1
                                        ; implicit-def: $vgpr68
	s_and_saveexec_b64 s[48:49], s[30:31]
	s_xor_b64 s[30:31], exec, s[48:49]
; %bb.63:                               ;   in Loop: Header=BB78_2 Depth=1
	ds_read_u8 v68, v70 offset:1
; %bb.64:                               ;   in Loop: Header=BB78_2 Depth=1
	s_or_saveexec_b64 s[30:31], s[30:31]
	v_mov_b32_e32 v71, v67
	s_xor_b64 exec, exec, s[30:31]
	s_cbranch_execz .LBB78_66
; %bb.65:                               ;   in Loop: Header=BB78_2 Depth=1
	ds_read_u8 v71, v69 offset:1
	s_waitcnt lgkmcnt(1)
	v_mov_b32_e32 v68, v66
.LBB78_66:                              ;   in Loop: Header=BB78_2 Depth=1
	s_or_b64 exec, exec, s[30:31]
	v_cndmask_b32_e64 v66, v66, v67, s[28:29]
	v_add_u32_e32 v67, 1, v69
	v_add_u32_e32 v72, 1, v70
	v_cndmask_b32_e64 v67, v69, v67, s[28:29]
	v_cndmask_b32_e64 v69, v72, v70, s[28:29]
	v_cndmask_b32_sdwa v64, v64, v65, vcc dst_sel:BYTE_1 dst_unused:UNUSED_PAD src0_sel:DWORD src1_sel:DWORD
	s_mov_b64 vcc, s[24:25]
	v_cndmask_b32_e64 v56, v56, v57, s[20:21]
	v_cndmask_b32_e64 v54, v54, v55, s[18:19]
	v_cmp_ge_i32_e64 s[18:19], v69, v12
	s_waitcnt lgkmcnt(0)
	v_cmp_lt_i16_sdwa s[20:21], sext(v71), sext(v68) src0_sel:BYTE_0 src1_sel:BYTE_0
	v_cndmask_b32_sdwa v60, v60, v61, vcc dst_sel:BYTE_1 dst_unused:UNUSED_PAD src0_sel:DWORD src1_sel:DWORD
	v_cmp_lt_i32_e32 vcc, v67, v13
	s_or_b64 s[18:19], s[18:19], s[20:21]
	s_and_b64 vcc, vcc, s[18:19]
	v_cndmask_b32_e64 v58, v58, v59, s[22:23]
	v_cndmask_b32_e32 v55, v68, v71, vcc
	v_lshlrev_b16_e32 v56, 8, v56
	v_cndmask_b32_e64 v62, v62, v63, s[26:27]
	v_or_b32_sdwa v54, v54, v56 dst_sel:DWORD dst_unused:UNUSED_PAD src0_sel:BYTE_0 src1_sel:DWORD
	v_or_b32_sdwa v56, v58, v60 dst_sel:WORD_1 dst_unused:UNUSED_PAD src0_sel:BYTE_0 src1_sel:DWORD
	v_lshlrev_b16_e32 v55, 8, v55
	v_or_b32_sdwa v54, v54, v56 dst_sel:DWORD dst_unused:UNUSED_PAD src0_sel:WORD_0 src1_sel:DWORD
	v_or_b32_sdwa v56, v62, v64 dst_sel:DWORD dst_unused:UNUSED_PAD src0_sel:BYTE_0 src1_sel:DWORD
	v_or_b32_sdwa v55, v66, v55 dst_sel:WORD_1 dst_unused:UNUSED_PAD src0_sel:BYTE_0 src1_sel:DWORD
	v_or_b32_sdwa v55, v56, v55 dst_sel:DWORD dst_unused:UNUSED_PAD src0_sel:WORD_0 src1_sel:DWORD
	s_barrier
	ds_write_b64 v1, v[54:55]
	v_mov_b32_e32 v54, v34
	s_waitcnt lgkmcnt(0)
	s_barrier
	s_and_saveexec_b64 s[18:19], s[4:5]
	s_cbranch_execz .LBB78_70
; %bb.67:                               ;   in Loop: Header=BB78_2 Depth=1
	s_mov_b64 s[20:21], 0
	v_mov_b32_e32 v54, v34
	v_mov_b32_e32 v55, v31
.LBB78_68:                              ;   Parent Loop BB78_2 Depth=1
                                        ; =>  This Inner Loop Header: Depth=2
	v_sub_u32_e32 v56, v55, v54
	v_lshrrev_b32_e32 v56, 1, v56
	v_add_u32_e32 v56, v56, v54
	v_add_u32_e32 v57, v4, v56
	v_xad_u32 v58, v56, -1, v28
	ds_read_i8 v57, v57
	ds_read_i8 v58, v58
	v_add_u32_e32 v59, 1, v56
	s_waitcnt lgkmcnt(0)
	v_cmp_lt_i16_e32 vcc, v58, v57
	v_cndmask_b32_e32 v55, v55, v56, vcc
	v_cndmask_b32_e32 v54, v59, v54, vcc
	v_cmp_ge_i32_e32 vcc, v54, v55
	s_or_b64 s[20:21], vcc, s[20:21]
	s_andn2_b64 exec, exec, s[20:21]
	s_cbranch_execnz .LBB78_68
; %bb.69:                               ;   in Loop: Header=BB78_2 Depth=1
	s_or_b64 exec, exec, s[20:21]
.LBB78_70:                              ;   in Loop: Header=BB78_2 Depth=1
	s_or_b64 exec, exec, s[18:19]
	v_add_u32_e32 v58, v54, v4
	v_sub_u32_e32 v59, v28, v54
	ds_read_u8 v54, v58
	ds_read_u8 v55, v59
	v_cmp_le_i32_e64 s[18:19], v14, v58
	v_cmp_gt_i32_e32 vcc, v15, v59
                                        ; implicit-def: $vgpr56
	s_waitcnt lgkmcnt(1)
	v_bfe_i32 v54, v54, 0, 8
	s_waitcnt lgkmcnt(0)
	v_bfe_i32 v55, v55, 0, 8
	v_cmp_lt_i16_e64 s[20:21], v55, v54
	s_or_b64 s[18:19], s[18:19], s[20:21]
	s_and_b64 s[18:19], vcc, s[18:19]
	s_xor_b64 s[20:21], s[18:19], -1
	s_and_saveexec_b64 s[22:23], s[20:21]
	s_xor_b64 s[20:21], exec, s[22:23]
; %bb.71:                               ;   in Loop: Header=BB78_2 Depth=1
	ds_read_u8 v56, v58 offset:1
; %bb.72:                               ;   in Loop: Header=BB78_2 Depth=1
	s_or_saveexec_b64 s[20:21], s[20:21]
	v_mov_b32_e32 v57, v55
	s_xor_b64 exec, exec, s[20:21]
	s_cbranch_execz .LBB78_74
; %bb.73:                               ;   in Loop: Header=BB78_2 Depth=1
	ds_read_u8 v57, v59 offset:1
	s_waitcnt lgkmcnt(1)
	v_mov_b32_e32 v56, v54
.LBB78_74:                              ;   in Loop: Header=BB78_2 Depth=1
	s_or_b64 exec, exec, s[20:21]
	v_add_u32_e32 v61, 1, v58
	v_add_u32_e32 v60, 1, v59
	v_cndmask_b32_e64 v61, v61, v58, s[18:19]
	v_cndmask_b32_e64 v60, v59, v60, s[18:19]
	v_cmp_ge_i32_e64 s[20:21], v61, v14
	s_waitcnt lgkmcnt(0)
	v_cmp_lt_i16_sdwa s[22:23], sext(v57), sext(v56) src0_sel:BYTE_0 src1_sel:BYTE_0
	v_cmp_lt_i32_e32 vcc, v60, v15
	s_or_b64 s[20:21], s[20:21], s[22:23]
	s_and_b64 s[20:21], vcc, s[20:21]
	s_xor_b64 s[22:23], s[20:21], -1
                                        ; implicit-def: $vgpr58
	s_and_saveexec_b64 s[24:25], s[22:23]
	s_xor_b64 s[22:23], exec, s[24:25]
; %bb.75:                               ;   in Loop: Header=BB78_2 Depth=1
	ds_read_u8 v58, v61 offset:1
; %bb.76:                               ;   in Loop: Header=BB78_2 Depth=1
	s_or_saveexec_b64 s[22:23], s[22:23]
	v_mov_b32_e32 v59, v57
	s_xor_b64 exec, exec, s[22:23]
	s_cbranch_execz .LBB78_78
; %bb.77:                               ;   in Loop: Header=BB78_2 Depth=1
	ds_read_u8 v59, v60 offset:1
	s_waitcnt lgkmcnt(1)
	v_mov_b32_e32 v58, v56
.LBB78_78:                              ;   in Loop: Header=BB78_2 Depth=1
	s_or_b64 exec, exec, s[22:23]
	v_add_u32_e32 v63, 1, v61
	v_add_u32_e32 v62, 1, v60
	v_cndmask_b32_e64 v63, v63, v61, s[20:21]
	v_cndmask_b32_e64 v62, v60, v62, s[20:21]
	v_cmp_ge_i32_e64 s[22:23], v63, v14
	s_waitcnt lgkmcnt(0)
	v_cmp_lt_i16_sdwa s[24:25], sext(v59), sext(v58) src0_sel:BYTE_0 src1_sel:BYTE_0
	v_cmp_lt_i32_e32 vcc, v62, v15
	s_or_b64 s[22:23], s[22:23], s[24:25]
	s_and_b64 s[22:23], vcc, s[22:23]
	s_xor_b64 s[24:25], s[22:23], -1
                                        ; implicit-def: $vgpr60
	s_and_saveexec_b64 s[26:27], s[24:25]
	s_xor_b64 s[24:25], exec, s[26:27]
; %bb.79:                               ;   in Loop: Header=BB78_2 Depth=1
	ds_read_u8 v60, v63 offset:1
; %bb.80:                               ;   in Loop: Header=BB78_2 Depth=1
	s_or_saveexec_b64 s[24:25], s[24:25]
	v_mov_b32_e32 v61, v59
	s_xor_b64 exec, exec, s[24:25]
	s_cbranch_execz .LBB78_82
; %bb.81:                               ;   in Loop: Header=BB78_2 Depth=1
	ds_read_u8 v61, v62 offset:1
	s_waitcnt lgkmcnt(1)
	v_mov_b32_e32 v60, v58
.LBB78_82:                              ;   in Loop: Header=BB78_2 Depth=1
	s_or_b64 exec, exec, s[24:25]
	v_add_u32_e32 v65, 1, v63
	v_add_u32_e32 v64, 1, v62
	v_cndmask_b32_e64 v65, v65, v63, s[22:23]
	v_cndmask_b32_e64 v64, v62, v64, s[22:23]
	v_cmp_ge_i32_e64 s[24:25], v65, v14
	s_waitcnt lgkmcnt(0)
	v_cmp_lt_i16_sdwa s[26:27], sext(v61), sext(v60) src0_sel:BYTE_0 src1_sel:BYTE_0
	v_cmp_lt_i32_e32 vcc, v64, v15
	s_or_b64 s[24:25], s[24:25], s[26:27]
	s_and_b64 s[24:25], vcc, s[24:25]
	s_xor_b64 s[26:27], s[24:25], -1
                                        ; implicit-def: $vgpr62
	s_and_saveexec_b64 s[28:29], s[26:27]
	s_xor_b64 s[26:27], exec, s[28:29]
; %bb.83:                               ;   in Loop: Header=BB78_2 Depth=1
	ds_read_u8 v62, v65 offset:1
; %bb.84:                               ;   in Loop: Header=BB78_2 Depth=1
	s_or_saveexec_b64 s[26:27], s[26:27]
	v_mov_b32_e32 v63, v61
	s_xor_b64 exec, exec, s[26:27]
	s_cbranch_execz .LBB78_86
; %bb.85:                               ;   in Loop: Header=BB78_2 Depth=1
	ds_read_u8 v63, v64 offset:1
	s_waitcnt lgkmcnt(1)
	v_mov_b32_e32 v62, v60
.LBB78_86:                              ;   in Loop: Header=BB78_2 Depth=1
	s_or_b64 exec, exec, s[26:27]
	v_add_u32_e32 v67, 1, v65
	v_add_u32_e32 v66, 1, v64
	v_cndmask_b32_e64 v67, v67, v65, s[24:25]
	v_cndmask_b32_e64 v66, v64, v66, s[24:25]
	v_cmp_ge_i32_e64 s[26:27], v67, v14
	s_waitcnt lgkmcnt(0)
	v_cmp_lt_i16_sdwa s[28:29], sext(v63), sext(v62) src0_sel:BYTE_0 src1_sel:BYTE_0
	v_cmp_lt_i32_e32 vcc, v66, v15
	s_or_b64 s[26:27], s[26:27], s[28:29]
	s_and_b64 s[26:27], vcc, s[26:27]
	s_xor_b64 s[28:29], s[26:27], -1
                                        ; implicit-def: $vgpr64
	s_and_saveexec_b64 s[30:31], s[28:29]
	s_xor_b64 s[28:29], exec, s[30:31]
; %bb.87:                               ;   in Loop: Header=BB78_2 Depth=1
	ds_read_u8 v64, v67 offset:1
; %bb.88:                               ;   in Loop: Header=BB78_2 Depth=1
	s_or_saveexec_b64 s[28:29], s[28:29]
	v_mov_b32_e32 v65, v63
	s_xor_b64 exec, exec, s[28:29]
	s_cbranch_execz .LBB78_90
; %bb.89:                               ;   in Loop: Header=BB78_2 Depth=1
	ds_read_u8 v65, v66 offset:1
	s_waitcnt lgkmcnt(1)
	v_mov_b32_e32 v64, v62
.LBB78_90:                              ;   in Loop: Header=BB78_2 Depth=1
	s_or_b64 exec, exec, s[28:29]
	v_add_u32_e32 v69, 1, v67
	v_add_u32_e32 v68, 1, v66
	v_cndmask_b32_e64 v70, v69, v67, s[26:27]
	v_cndmask_b32_e64 v68, v66, v68, s[26:27]
	v_cmp_ge_i32_e64 s[28:29], v70, v14
	s_waitcnt lgkmcnt(0)
	v_cmp_lt_i16_sdwa s[30:31], sext(v65), sext(v64) src0_sel:BYTE_0 src1_sel:BYTE_0
	v_cmp_lt_i32_e32 vcc, v68, v15
	s_or_b64 s[28:29], s[28:29], s[30:31]
	s_and_b64 vcc, vcc, s[28:29]
	s_xor_b64 s[28:29], vcc, -1
                                        ; implicit-def: $vgpr66
	s_and_saveexec_b64 s[30:31], s[28:29]
	s_xor_b64 s[28:29], exec, s[30:31]
; %bb.91:                               ;   in Loop: Header=BB78_2 Depth=1
	ds_read_u8 v66, v70 offset:1
; %bb.92:                               ;   in Loop: Header=BB78_2 Depth=1
	s_or_saveexec_b64 s[28:29], s[28:29]
	v_mov_b32_e32 v67, v65
	s_xor_b64 exec, exec, s[28:29]
	s_cbranch_execz .LBB78_94
; %bb.93:                               ;   in Loop: Header=BB78_2 Depth=1
	ds_read_u8 v67, v68 offset:1
	s_waitcnt lgkmcnt(1)
	v_mov_b32_e32 v66, v64
.LBB78_94:                              ;   in Loop: Header=BB78_2 Depth=1
	s_or_b64 exec, exec, s[28:29]
	v_add_u32_e32 v71, 1, v70
	v_add_u32_e32 v69, 1, v68
	v_cndmask_b32_e32 v70, v71, v70, vcc
	v_cndmask_b32_e32 v69, v68, v69, vcc
	v_cmp_ge_i32_e64 s[30:31], v70, v14
	s_waitcnt lgkmcnt(0)
	v_cmp_lt_i16_sdwa s[48:49], sext(v67), sext(v66) src0_sel:BYTE_0 src1_sel:BYTE_0
	v_cmp_lt_i32_e64 s[28:29], v69, v15
	s_or_b64 s[30:31], s[30:31], s[48:49]
	s_and_b64 s[28:29], s[28:29], s[30:31]
	s_xor_b64 s[30:31], s[28:29], -1
                                        ; implicit-def: $vgpr68
	s_and_saveexec_b64 s[48:49], s[30:31]
	s_xor_b64 s[30:31], exec, s[48:49]
; %bb.95:                               ;   in Loop: Header=BB78_2 Depth=1
	ds_read_u8 v68, v70 offset:1
; %bb.96:                               ;   in Loop: Header=BB78_2 Depth=1
	s_or_saveexec_b64 s[30:31], s[30:31]
	v_mov_b32_e32 v71, v67
	s_xor_b64 exec, exec, s[30:31]
	s_cbranch_execz .LBB78_98
; %bb.97:                               ;   in Loop: Header=BB78_2 Depth=1
	ds_read_u8 v71, v69 offset:1
	s_waitcnt lgkmcnt(1)
	v_mov_b32_e32 v68, v66
.LBB78_98:                              ;   in Loop: Header=BB78_2 Depth=1
	s_or_b64 exec, exec, s[30:31]
	v_cndmask_b32_e64 v66, v66, v67, s[28:29]
	v_add_u32_e32 v67, 1, v69
	v_add_u32_e32 v72, 1, v70
	v_cndmask_b32_e64 v67, v69, v67, s[28:29]
	v_cndmask_b32_e64 v69, v72, v70, s[28:29]
	v_cndmask_b32_sdwa v64, v64, v65, vcc dst_sel:BYTE_1 dst_unused:UNUSED_PAD src0_sel:DWORD src1_sel:DWORD
	s_mov_b64 vcc, s[24:25]
	v_cndmask_b32_e64 v56, v56, v57, s[20:21]
	v_cndmask_b32_e64 v54, v54, v55, s[18:19]
	v_cmp_ge_i32_e64 s[18:19], v69, v14
	s_waitcnt lgkmcnt(0)
	v_cmp_lt_i16_sdwa s[20:21], sext(v71), sext(v68) src0_sel:BYTE_0 src1_sel:BYTE_0
	v_cndmask_b32_sdwa v60, v60, v61, vcc dst_sel:BYTE_1 dst_unused:UNUSED_PAD src0_sel:DWORD src1_sel:DWORD
	v_cmp_lt_i32_e32 vcc, v67, v15
	s_or_b64 s[18:19], s[18:19], s[20:21]
	s_and_b64 vcc, vcc, s[18:19]
	v_cndmask_b32_e64 v58, v58, v59, s[22:23]
	v_cndmask_b32_e32 v55, v68, v71, vcc
	v_lshlrev_b16_e32 v56, 8, v56
	v_cndmask_b32_e64 v62, v62, v63, s[26:27]
	v_or_b32_sdwa v54, v54, v56 dst_sel:DWORD dst_unused:UNUSED_PAD src0_sel:BYTE_0 src1_sel:DWORD
	v_or_b32_sdwa v56, v58, v60 dst_sel:WORD_1 dst_unused:UNUSED_PAD src0_sel:BYTE_0 src1_sel:DWORD
	v_lshlrev_b16_e32 v55, 8, v55
	v_or_b32_sdwa v54, v54, v56 dst_sel:DWORD dst_unused:UNUSED_PAD src0_sel:WORD_0 src1_sel:DWORD
	v_or_b32_sdwa v56, v62, v64 dst_sel:DWORD dst_unused:UNUSED_PAD src0_sel:BYTE_0 src1_sel:DWORD
	v_or_b32_sdwa v55, v66, v55 dst_sel:WORD_1 dst_unused:UNUSED_PAD src0_sel:BYTE_0 src1_sel:DWORD
	v_or_b32_sdwa v55, v56, v55 dst_sel:DWORD dst_unused:UNUSED_PAD src0_sel:WORD_0 src1_sel:DWORD
	s_barrier
	ds_write_b64 v1, v[54:55]
	v_mov_b32_e32 v54, v35
	s_waitcnt lgkmcnt(0)
	s_barrier
	s_and_saveexec_b64 s[18:19], s[6:7]
	s_cbranch_execz .LBB78_102
; %bb.99:                               ;   in Loop: Header=BB78_2 Depth=1
	s_mov_b64 s[20:21], 0
	v_mov_b32_e32 v54, v35
	v_mov_b32_e32 v55, v36
.LBB78_100:                             ;   Parent Loop BB78_2 Depth=1
                                        ; =>  This Inner Loop Header: Depth=2
	v_sub_u32_e32 v56, v55, v54
	v_lshrrev_b32_e32 v56, 1, v56
	v_add_u32_e32 v56, v56, v54
	v_add_u32_e32 v57, v5, v56
	v_xad_u32 v58, v56, -1, v37
	ds_read_i8 v57, v57
	ds_read_i8 v58, v58
	v_add_u32_e32 v59, 1, v56
	s_waitcnt lgkmcnt(0)
	v_cmp_lt_i16_e32 vcc, v58, v57
	v_cndmask_b32_e32 v55, v55, v56, vcc
	v_cndmask_b32_e32 v54, v59, v54, vcc
	v_cmp_ge_i32_e32 vcc, v54, v55
	s_or_b64 s[20:21], vcc, s[20:21]
	s_andn2_b64 exec, exec, s[20:21]
	s_cbranch_execnz .LBB78_100
; %bb.101:                              ;   in Loop: Header=BB78_2 Depth=1
	s_or_b64 exec, exec, s[20:21]
.LBB78_102:                             ;   in Loop: Header=BB78_2 Depth=1
	s_or_b64 exec, exec, s[18:19]
	v_add_u32_e32 v58, v54, v5
	v_sub_u32_e32 v59, v37, v54
	ds_read_u8 v54, v58
	ds_read_u8 v55, v59
	v_cmp_le_i32_e64 s[18:19], v16, v58
	v_cmp_gt_i32_e32 vcc, v17, v59
                                        ; implicit-def: $vgpr56
	s_waitcnt lgkmcnt(1)
	v_bfe_i32 v54, v54, 0, 8
	s_waitcnt lgkmcnt(0)
	v_bfe_i32 v55, v55, 0, 8
	v_cmp_lt_i16_e64 s[20:21], v55, v54
	s_or_b64 s[18:19], s[18:19], s[20:21]
	s_and_b64 s[18:19], vcc, s[18:19]
	s_xor_b64 s[20:21], s[18:19], -1
	s_and_saveexec_b64 s[22:23], s[20:21]
	s_xor_b64 s[20:21], exec, s[22:23]
; %bb.103:                              ;   in Loop: Header=BB78_2 Depth=1
	ds_read_u8 v56, v58 offset:1
; %bb.104:                              ;   in Loop: Header=BB78_2 Depth=1
	s_or_saveexec_b64 s[20:21], s[20:21]
	v_mov_b32_e32 v57, v55
	s_xor_b64 exec, exec, s[20:21]
	s_cbranch_execz .LBB78_106
; %bb.105:                              ;   in Loop: Header=BB78_2 Depth=1
	ds_read_u8 v57, v59 offset:1
	s_waitcnt lgkmcnt(1)
	v_mov_b32_e32 v56, v54
.LBB78_106:                             ;   in Loop: Header=BB78_2 Depth=1
	s_or_b64 exec, exec, s[20:21]
	v_add_u32_e32 v61, 1, v58
	v_add_u32_e32 v60, 1, v59
	v_cndmask_b32_e64 v61, v61, v58, s[18:19]
	v_cndmask_b32_e64 v60, v59, v60, s[18:19]
	v_cmp_ge_i32_e64 s[20:21], v61, v16
	s_waitcnt lgkmcnt(0)
	v_cmp_lt_i16_sdwa s[22:23], sext(v57), sext(v56) src0_sel:BYTE_0 src1_sel:BYTE_0
	v_cmp_lt_i32_e32 vcc, v60, v17
	s_or_b64 s[20:21], s[20:21], s[22:23]
	s_and_b64 s[20:21], vcc, s[20:21]
	s_xor_b64 s[22:23], s[20:21], -1
                                        ; implicit-def: $vgpr58
	s_and_saveexec_b64 s[24:25], s[22:23]
	s_xor_b64 s[22:23], exec, s[24:25]
; %bb.107:                              ;   in Loop: Header=BB78_2 Depth=1
	ds_read_u8 v58, v61 offset:1
; %bb.108:                              ;   in Loop: Header=BB78_2 Depth=1
	s_or_saveexec_b64 s[22:23], s[22:23]
	v_mov_b32_e32 v59, v57
	s_xor_b64 exec, exec, s[22:23]
	s_cbranch_execz .LBB78_110
; %bb.109:                              ;   in Loop: Header=BB78_2 Depth=1
	ds_read_u8 v59, v60 offset:1
	s_waitcnt lgkmcnt(1)
	v_mov_b32_e32 v58, v56
.LBB78_110:                             ;   in Loop: Header=BB78_2 Depth=1
	s_or_b64 exec, exec, s[22:23]
	v_add_u32_e32 v63, 1, v61
	v_add_u32_e32 v62, 1, v60
	v_cndmask_b32_e64 v63, v63, v61, s[20:21]
	v_cndmask_b32_e64 v62, v60, v62, s[20:21]
	v_cmp_ge_i32_e64 s[22:23], v63, v16
	s_waitcnt lgkmcnt(0)
	v_cmp_lt_i16_sdwa s[24:25], sext(v59), sext(v58) src0_sel:BYTE_0 src1_sel:BYTE_0
	v_cmp_lt_i32_e32 vcc, v62, v17
	s_or_b64 s[22:23], s[22:23], s[24:25]
	s_and_b64 s[22:23], vcc, s[22:23]
	s_xor_b64 s[24:25], s[22:23], -1
                                        ; implicit-def: $vgpr60
	s_and_saveexec_b64 s[26:27], s[24:25]
	s_xor_b64 s[24:25], exec, s[26:27]
; %bb.111:                              ;   in Loop: Header=BB78_2 Depth=1
	ds_read_u8 v60, v63 offset:1
; %bb.112:                              ;   in Loop: Header=BB78_2 Depth=1
	s_or_saveexec_b64 s[24:25], s[24:25]
	v_mov_b32_e32 v61, v59
	s_xor_b64 exec, exec, s[24:25]
	s_cbranch_execz .LBB78_114
; %bb.113:                              ;   in Loop: Header=BB78_2 Depth=1
	ds_read_u8 v61, v62 offset:1
	s_waitcnt lgkmcnt(1)
	v_mov_b32_e32 v60, v58
.LBB78_114:                             ;   in Loop: Header=BB78_2 Depth=1
	s_or_b64 exec, exec, s[24:25]
	v_add_u32_e32 v65, 1, v63
	v_add_u32_e32 v64, 1, v62
	v_cndmask_b32_e64 v65, v65, v63, s[22:23]
	v_cndmask_b32_e64 v64, v62, v64, s[22:23]
	v_cmp_ge_i32_e64 s[24:25], v65, v16
	s_waitcnt lgkmcnt(0)
	v_cmp_lt_i16_sdwa s[26:27], sext(v61), sext(v60) src0_sel:BYTE_0 src1_sel:BYTE_0
	v_cmp_lt_i32_e32 vcc, v64, v17
	s_or_b64 s[24:25], s[24:25], s[26:27]
	s_and_b64 s[24:25], vcc, s[24:25]
	s_xor_b64 s[26:27], s[24:25], -1
                                        ; implicit-def: $vgpr62
	s_and_saveexec_b64 s[28:29], s[26:27]
	s_xor_b64 s[26:27], exec, s[28:29]
; %bb.115:                              ;   in Loop: Header=BB78_2 Depth=1
	ds_read_u8 v62, v65 offset:1
; %bb.116:                              ;   in Loop: Header=BB78_2 Depth=1
	s_or_saveexec_b64 s[26:27], s[26:27]
	v_mov_b32_e32 v63, v61
	s_xor_b64 exec, exec, s[26:27]
	s_cbranch_execz .LBB78_118
; %bb.117:                              ;   in Loop: Header=BB78_2 Depth=1
	ds_read_u8 v63, v64 offset:1
	s_waitcnt lgkmcnt(1)
	v_mov_b32_e32 v62, v60
.LBB78_118:                             ;   in Loop: Header=BB78_2 Depth=1
	s_or_b64 exec, exec, s[26:27]
	v_add_u32_e32 v67, 1, v65
	v_add_u32_e32 v66, 1, v64
	v_cndmask_b32_e64 v67, v67, v65, s[24:25]
	v_cndmask_b32_e64 v66, v64, v66, s[24:25]
	v_cmp_ge_i32_e64 s[26:27], v67, v16
	s_waitcnt lgkmcnt(0)
	v_cmp_lt_i16_sdwa s[28:29], sext(v63), sext(v62) src0_sel:BYTE_0 src1_sel:BYTE_0
	v_cmp_lt_i32_e32 vcc, v66, v17
	s_or_b64 s[26:27], s[26:27], s[28:29]
	s_and_b64 s[26:27], vcc, s[26:27]
	s_xor_b64 s[28:29], s[26:27], -1
                                        ; implicit-def: $vgpr64
	s_and_saveexec_b64 s[30:31], s[28:29]
	s_xor_b64 s[28:29], exec, s[30:31]
; %bb.119:                              ;   in Loop: Header=BB78_2 Depth=1
	ds_read_u8 v64, v67 offset:1
; %bb.120:                              ;   in Loop: Header=BB78_2 Depth=1
	s_or_saveexec_b64 s[28:29], s[28:29]
	v_mov_b32_e32 v65, v63
	s_xor_b64 exec, exec, s[28:29]
	s_cbranch_execz .LBB78_122
; %bb.121:                              ;   in Loop: Header=BB78_2 Depth=1
	ds_read_u8 v65, v66 offset:1
	s_waitcnt lgkmcnt(1)
	v_mov_b32_e32 v64, v62
.LBB78_122:                             ;   in Loop: Header=BB78_2 Depth=1
	s_or_b64 exec, exec, s[28:29]
	v_add_u32_e32 v69, 1, v67
	v_add_u32_e32 v68, 1, v66
	v_cndmask_b32_e64 v70, v69, v67, s[26:27]
	v_cndmask_b32_e64 v68, v66, v68, s[26:27]
	v_cmp_ge_i32_e64 s[28:29], v70, v16
	s_waitcnt lgkmcnt(0)
	v_cmp_lt_i16_sdwa s[30:31], sext(v65), sext(v64) src0_sel:BYTE_0 src1_sel:BYTE_0
	v_cmp_lt_i32_e32 vcc, v68, v17
	s_or_b64 s[28:29], s[28:29], s[30:31]
	s_and_b64 vcc, vcc, s[28:29]
	s_xor_b64 s[28:29], vcc, -1
                                        ; implicit-def: $vgpr66
	s_and_saveexec_b64 s[30:31], s[28:29]
	s_xor_b64 s[28:29], exec, s[30:31]
; %bb.123:                              ;   in Loop: Header=BB78_2 Depth=1
	ds_read_u8 v66, v70 offset:1
; %bb.124:                              ;   in Loop: Header=BB78_2 Depth=1
	s_or_saveexec_b64 s[28:29], s[28:29]
	v_mov_b32_e32 v67, v65
	s_xor_b64 exec, exec, s[28:29]
	s_cbranch_execz .LBB78_126
; %bb.125:                              ;   in Loop: Header=BB78_2 Depth=1
	ds_read_u8 v67, v68 offset:1
	s_waitcnt lgkmcnt(1)
	v_mov_b32_e32 v66, v64
.LBB78_126:                             ;   in Loop: Header=BB78_2 Depth=1
	s_or_b64 exec, exec, s[28:29]
	v_add_u32_e32 v71, 1, v70
	v_add_u32_e32 v69, 1, v68
	v_cndmask_b32_e32 v70, v71, v70, vcc
	v_cndmask_b32_e32 v69, v68, v69, vcc
	v_cmp_ge_i32_e64 s[30:31], v70, v16
	s_waitcnt lgkmcnt(0)
	v_cmp_lt_i16_sdwa s[48:49], sext(v67), sext(v66) src0_sel:BYTE_0 src1_sel:BYTE_0
	v_cmp_lt_i32_e64 s[28:29], v69, v17
	s_or_b64 s[30:31], s[30:31], s[48:49]
	s_and_b64 s[28:29], s[28:29], s[30:31]
	s_xor_b64 s[30:31], s[28:29], -1
                                        ; implicit-def: $vgpr68
	s_and_saveexec_b64 s[48:49], s[30:31]
	s_xor_b64 s[30:31], exec, s[48:49]
; %bb.127:                              ;   in Loop: Header=BB78_2 Depth=1
	ds_read_u8 v68, v70 offset:1
; %bb.128:                              ;   in Loop: Header=BB78_2 Depth=1
	s_or_saveexec_b64 s[30:31], s[30:31]
	v_mov_b32_e32 v71, v67
	s_xor_b64 exec, exec, s[30:31]
	s_cbranch_execz .LBB78_130
; %bb.129:                              ;   in Loop: Header=BB78_2 Depth=1
	ds_read_u8 v71, v69 offset:1
	s_waitcnt lgkmcnt(1)
	v_mov_b32_e32 v68, v66
.LBB78_130:                             ;   in Loop: Header=BB78_2 Depth=1
	s_or_b64 exec, exec, s[30:31]
	v_cndmask_b32_e64 v66, v66, v67, s[28:29]
	v_add_u32_e32 v67, 1, v69
	v_add_u32_e32 v72, 1, v70
	v_cndmask_b32_e64 v67, v69, v67, s[28:29]
	v_cndmask_b32_e64 v69, v72, v70, s[28:29]
	v_cndmask_b32_sdwa v64, v64, v65, vcc dst_sel:BYTE_1 dst_unused:UNUSED_PAD src0_sel:DWORD src1_sel:DWORD
	s_mov_b64 vcc, s[24:25]
	v_cndmask_b32_e64 v56, v56, v57, s[20:21]
	v_cndmask_b32_e64 v54, v54, v55, s[18:19]
	v_cmp_ge_i32_e64 s[18:19], v69, v16
	s_waitcnt lgkmcnt(0)
	v_cmp_lt_i16_sdwa s[20:21], sext(v71), sext(v68) src0_sel:BYTE_0 src1_sel:BYTE_0
	v_cndmask_b32_sdwa v60, v60, v61, vcc dst_sel:BYTE_1 dst_unused:UNUSED_PAD src0_sel:DWORD src1_sel:DWORD
	v_cmp_lt_i32_e32 vcc, v67, v17
	s_or_b64 s[18:19], s[18:19], s[20:21]
	s_and_b64 vcc, vcc, s[18:19]
	v_cndmask_b32_e64 v58, v58, v59, s[22:23]
	v_cndmask_b32_e32 v55, v68, v71, vcc
	v_lshlrev_b16_e32 v56, 8, v56
	v_cndmask_b32_e64 v62, v62, v63, s[26:27]
	v_or_b32_sdwa v54, v54, v56 dst_sel:DWORD dst_unused:UNUSED_PAD src0_sel:BYTE_0 src1_sel:DWORD
	v_or_b32_sdwa v56, v58, v60 dst_sel:WORD_1 dst_unused:UNUSED_PAD src0_sel:BYTE_0 src1_sel:DWORD
	v_lshlrev_b16_e32 v55, 8, v55
	v_or_b32_sdwa v54, v54, v56 dst_sel:DWORD dst_unused:UNUSED_PAD src0_sel:WORD_0 src1_sel:DWORD
	v_or_b32_sdwa v56, v62, v64 dst_sel:DWORD dst_unused:UNUSED_PAD src0_sel:BYTE_0 src1_sel:DWORD
	v_or_b32_sdwa v55, v66, v55 dst_sel:WORD_1 dst_unused:UNUSED_PAD src0_sel:BYTE_0 src1_sel:DWORD
	v_or_b32_sdwa v55, v56, v55 dst_sel:DWORD dst_unused:UNUSED_PAD src0_sel:WORD_0 src1_sel:DWORD
	s_barrier
	ds_write_b64 v1, v[54:55]
	v_mov_b32_e32 v54, v38
	s_waitcnt lgkmcnt(0)
	s_barrier
	s_and_saveexec_b64 s[18:19], s[8:9]
	s_cbranch_execz .LBB78_134
; %bb.131:                              ;   in Loop: Header=BB78_2 Depth=1
	s_mov_b64 s[20:21], 0
	v_mov_b32_e32 v54, v38
	v_mov_b32_e32 v55, v39
.LBB78_132:                             ;   Parent Loop BB78_2 Depth=1
                                        ; =>  This Inner Loop Header: Depth=2
	v_sub_u32_e32 v56, v55, v54
	v_lshrrev_b32_e32 v56, 1, v56
	v_add_u32_e32 v56, v56, v54
	v_add_u32_e32 v57, v6, v56
	v_xad_u32 v58, v56, -1, v40
	ds_read_i8 v57, v57
	ds_read_i8 v58, v58
	v_add_u32_e32 v59, 1, v56
	s_waitcnt lgkmcnt(0)
	v_cmp_lt_i16_e32 vcc, v58, v57
	v_cndmask_b32_e32 v55, v55, v56, vcc
	v_cndmask_b32_e32 v54, v59, v54, vcc
	v_cmp_ge_i32_e32 vcc, v54, v55
	s_or_b64 s[20:21], vcc, s[20:21]
	s_andn2_b64 exec, exec, s[20:21]
	s_cbranch_execnz .LBB78_132
; %bb.133:                              ;   in Loop: Header=BB78_2 Depth=1
	s_or_b64 exec, exec, s[20:21]
.LBB78_134:                             ;   in Loop: Header=BB78_2 Depth=1
	s_or_b64 exec, exec, s[18:19]
	v_add_u32_e32 v58, v54, v6
	v_sub_u32_e32 v59, v40, v54
	ds_read_u8 v54, v58
	ds_read_u8 v55, v59
	v_cmp_le_i32_e64 s[18:19], v18, v58
	v_cmp_gt_i32_e32 vcc, v19, v59
                                        ; implicit-def: $vgpr56
	s_waitcnt lgkmcnt(1)
	v_bfe_i32 v54, v54, 0, 8
	s_waitcnt lgkmcnt(0)
	v_bfe_i32 v55, v55, 0, 8
	v_cmp_lt_i16_e64 s[20:21], v55, v54
	s_or_b64 s[18:19], s[18:19], s[20:21]
	s_and_b64 s[18:19], vcc, s[18:19]
	s_xor_b64 s[20:21], s[18:19], -1
	s_and_saveexec_b64 s[22:23], s[20:21]
	s_xor_b64 s[20:21], exec, s[22:23]
; %bb.135:                              ;   in Loop: Header=BB78_2 Depth=1
	ds_read_u8 v56, v58 offset:1
; %bb.136:                              ;   in Loop: Header=BB78_2 Depth=1
	s_or_saveexec_b64 s[20:21], s[20:21]
	v_mov_b32_e32 v57, v55
	s_xor_b64 exec, exec, s[20:21]
	s_cbranch_execz .LBB78_138
; %bb.137:                              ;   in Loop: Header=BB78_2 Depth=1
	ds_read_u8 v57, v59 offset:1
	s_waitcnt lgkmcnt(1)
	v_mov_b32_e32 v56, v54
.LBB78_138:                             ;   in Loop: Header=BB78_2 Depth=1
	s_or_b64 exec, exec, s[20:21]
	v_add_u32_e32 v61, 1, v58
	v_add_u32_e32 v60, 1, v59
	v_cndmask_b32_e64 v61, v61, v58, s[18:19]
	v_cndmask_b32_e64 v60, v59, v60, s[18:19]
	v_cmp_ge_i32_e64 s[20:21], v61, v18
	s_waitcnt lgkmcnt(0)
	v_cmp_lt_i16_sdwa s[22:23], sext(v57), sext(v56) src0_sel:BYTE_0 src1_sel:BYTE_0
	v_cmp_lt_i32_e32 vcc, v60, v19
	s_or_b64 s[20:21], s[20:21], s[22:23]
	s_and_b64 s[20:21], vcc, s[20:21]
	s_xor_b64 s[22:23], s[20:21], -1
                                        ; implicit-def: $vgpr58
	s_and_saveexec_b64 s[24:25], s[22:23]
	s_xor_b64 s[22:23], exec, s[24:25]
; %bb.139:                              ;   in Loop: Header=BB78_2 Depth=1
	ds_read_u8 v58, v61 offset:1
; %bb.140:                              ;   in Loop: Header=BB78_2 Depth=1
	s_or_saveexec_b64 s[22:23], s[22:23]
	v_mov_b32_e32 v59, v57
	s_xor_b64 exec, exec, s[22:23]
	s_cbranch_execz .LBB78_142
; %bb.141:                              ;   in Loop: Header=BB78_2 Depth=1
	ds_read_u8 v59, v60 offset:1
	s_waitcnt lgkmcnt(1)
	v_mov_b32_e32 v58, v56
.LBB78_142:                             ;   in Loop: Header=BB78_2 Depth=1
	s_or_b64 exec, exec, s[22:23]
	v_add_u32_e32 v63, 1, v61
	v_add_u32_e32 v62, 1, v60
	v_cndmask_b32_e64 v63, v63, v61, s[20:21]
	v_cndmask_b32_e64 v62, v60, v62, s[20:21]
	v_cmp_ge_i32_e64 s[22:23], v63, v18
	s_waitcnt lgkmcnt(0)
	v_cmp_lt_i16_sdwa s[24:25], sext(v59), sext(v58) src0_sel:BYTE_0 src1_sel:BYTE_0
	v_cmp_lt_i32_e32 vcc, v62, v19
	s_or_b64 s[22:23], s[22:23], s[24:25]
	s_and_b64 s[22:23], vcc, s[22:23]
	s_xor_b64 s[24:25], s[22:23], -1
                                        ; implicit-def: $vgpr60
	s_and_saveexec_b64 s[26:27], s[24:25]
	s_xor_b64 s[24:25], exec, s[26:27]
; %bb.143:                              ;   in Loop: Header=BB78_2 Depth=1
	ds_read_u8 v60, v63 offset:1
; %bb.144:                              ;   in Loop: Header=BB78_2 Depth=1
	s_or_saveexec_b64 s[24:25], s[24:25]
	v_mov_b32_e32 v61, v59
	s_xor_b64 exec, exec, s[24:25]
	s_cbranch_execz .LBB78_146
; %bb.145:                              ;   in Loop: Header=BB78_2 Depth=1
	ds_read_u8 v61, v62 offset:1
	s_waitcnt lgkmcnt(1)
	v_mov_b32_e32 v60, v58
.LBB78_146:                             ;   in Loop: Header=BB78_2 Depth=1
	s_or_b64 exec, exec, s[24:25]
	v_add_u32_e32 v65, 1, v63
	v_add_u32_e32 v64, 1, v62
	v_cndmask_b32_e64 v65, v65, v63, s[22:23]
	v_cndmask_b32_e64 v64, v62, v64, s[22:23]
	v_cmp_ge_i32_e64 s[24:25], v65, v18
	s_waitcnt lgkmcnt(0)
	v_cmp_lt_i16_sdwa s[26:27], sext(v61), sext(v60) src0_sel:BYTE_0 src1_sel:BYTE_0
	v_cmp_lt_i32_e32 vcc, v64, v19
	s_or_b64 s[24:25], s[24:25], s[26:27]
	s_and_b64 s[24:25], vcc, s[24:25]
	s_xor_b64 s[26:27], s[24:25], -1
                                        ; implicit-def: $vgpr62
	s_and_saveexec_b64 s[28:29], s[26:27]
	s_xor_b64 s[26:27], exec, s[28:29]
; %bb.147:                              ;   in Loop: Header=BB78_2 Depth=1
	ds_read_u8 v62, v65 offset:1
; %bb.148:                              ;   in Loop: Header=BB78_2 Depth=1
	s_or_saveexec_b64 s[26:27], s[26:27]
	v_mov_b32_e32 v63, v61
	s_xor_b64 exec, exec, s[26:27]
	s_cbranch_execz .LBB78_150
; %bb.149:                              ;   in Loop: Header=BB78_2 Depth=1
	ds_read_u8 v63, v64 offset:1
	s_waitcnt lgkmcnt(1)
	v_mov_b32_e32 v62, v60
.LBB78_150:                             ;   in Loop: Header=BB78_2 Depth=1
	s_or_b64 exec, exec, s[26:27]
	v_add_u32_e32 v67, 1, v65
	v_add_u32_e32 v66, 1, v64
	v_cndmask_b32_e64 v67, v67, v65, s[24:25]
	v_cndmask_b32_e64 v66, v64, v66, s[24:25]
	v_cmp_ge_i32_e64 s[26:27], v67, v18
	s_waitcnt lgkmcnt(0)
	v_cmp_lt_i16_sdwa s[28:29], sext(v63), sext(v62) src0_sel:BYTE_0 src1_sel:BYTE_0
	v_cmp_lt_i32_e32 vcc, v66, v19
	s_or_b64 s[26:27], s[26:27], s[28:29]
	s_and_b64 s[26:27], vcc, s[26:27]
	s_xor_b64 s[28:29], s[26:27], -1
                                        ; implicit-def: $vgpr64
	s_and_saveexec_b64 s[30:31], s[28:29]
	s_xor_b64 s[28:29], exec, s[30:31]
; %bb.151:                              ;   in Loop: Header=BB78_2 Depth=1
	ds_read_u8 v64, v67 offset:1
; %bb.152:                              ;   in Loop: Header=BB78_2 Depth=1
	s_or_saveexec_b64 s[28:29], s[28:29]
	v_mov_b32_e32 v65, v63
	s_xor_b64 exec, exec, s[28:29]
	s_cbranch_execz .LBB78_154
; %bb.153:                              ;   in Loop: Header=BB78_2 Depth=1
	ds_read_u8 v65, v66 offset:1
	s_waitcnt lgkmcnt(1)
	v_mov_b32_e32 v64, v62
.LBB78_154:                             ;   in Loop: Header=BB78_2 Depth=1
	s_or_b64 exec, exec, s[28:29]
	v_add_u32_e32 v69, 1, v67
	v_add_u32_e32 v68, 1, v66
	v_cndmask_b32_e64 v70, v69, v67, s[26:27]
	v_cndmask_b32_e64 v68, v66, v68, s[26:27]
	v_cmp_ge_i32_e64 s[28:29], v70, v18
	s_waitcnt lgkmcnt(0)
	v_cmp_lt_i16_sdwa s[30:31], sext(v65), sext(v64) src0_sel:BYTE_0 src1_sel:BYTE_0
	v_cmp_lt_i32_e32 vcc, v68, v19
	s_or_b64 s[28:29], s[28:29], s[30:31]
	s_and_b64 vcc, vcc, s[28:29]
	s_xor_b64 s[28:29], vcc, -1
                                        ; implicit-def: $vgpr66
	s_and_saveexec_b64 s[30:31], s[28:29]
	s_xor_b64 s[28:29], exec, s[30:31]
; %bb.155:                              ;   in Loop: Header=BB78_2 Depth=1
	ds_read_u8 v66, v70 offset:1
; %bb.156:                              ;   in Loop: Header=BB78_2 Depth=1
	s_or_saveexec_b64 s[28:29], s[28:29]
	v_mov_b32_e32 v67, v65
	s_xor_b64 exec, exec, s[28:29]
	s_cbranch_execz .LBB78_158
; %bb.157:                              ;   in Loop: Header=BB78_2 Depth=1
	ds_read_u8 v67, v68 offset:1
	s_waitcnt lgkmcnt(1)
	v_mov_b32_e32 v66, v64
.LBB78_158:                             ;   in Loop: Header=BB78_2 Depth=1
	s_or_b64 exec, exec, s[28:29]
	v_add_u32_e32 v71, 1, v70
	v_add_u32_e32 v69, 1, v68
	v_cndmask_b32_e32 v70, v71, v70, vcc
	v_cndmask_b32_e32 v69, v68, v69, vcc
	v_cmp_ge_i32_e64 s[30:31], v70, v18
	s_waitcnt lgkmcnt(0)
	v_cmp_lt_i16_sdwa s[48:49], sext(v67), sext(v66) src0_sel:BYTE_0 src1_sel:BYTE_0
	v_cmp_lt_i32_e64 s[28:29], v69, v19
	s_or_b64 s[30:31], s[30:31], s[48:49]
	s_and_b64 s[28:29], s[28:29], s[30:31]
	s_xor_b64 s[30:31], s[28:29], -1
                                        ; implicit-def: $vgpr68
	s_and_saveexec_b64 s[48:49], s[30:31]
	s_xor_b64 s[30:31], exec, s[48:49]
; %bb.159:                              ;   in Loop: Header=BB78_2 Depth=1
	ds_read_u8 v68, v70 offset:1
; %bb.160:                              ;   in Loop: Header=BB78_2 Depth=1
	s_or_saveexec_b64 s[30:31], s[30:31]
	v_mov_b32_e32 v71, v67
	s_xor_b64 exec, exec, s[30:31]
	s_cbranch_execz .LBB78_162
; %bb.161:                              ;   in Loop: Header=BB78_2 Depth=1
	ds_read_u8 v71, v69 offset:1
	s_waitcnt lgkmcnt(1)
	v_mov_b32_e32 v68, v66
.LBB78_162:                             ;   in Loop: Header=BB78_2 Depth=1
	s_or_b64 exec, exec, s[30:31]
	v_cndmask_b32_e64 v66, v66, v67, s[28:29]
	v_add_u32_e32 v67, 1, v69
	v_add_u32_e32 v72, 1, v70
	v_cndmask_b32_e64 v67, v69, v67, s[28:29]
	v_cndmask_b32_e64 v69, v72, v70, s[28:29]
	v_cndmask_b32_sdwa v64, v64, v65, vcc dst_sel:BYTE_1 dst_unused:UNUSED_PAD src0_sel:DWORD src1_sel:DWORD
	s_mov_b64 vcc, s[24:25]
	v_cndmask_b32_e64 v56, v56, v57, s[20:21]
	v_cndmask_b32_e64 v54, v54, v55, s[18:19]
	v_cmp_ge_i32_e64 s[18:19], v69, v18
	s_waitcnt lgkmcnt(0)
	v_cmp_lt_i16_sdwa s[20:21], sext(v71), sext(v68) src0_sel:BYTE_0 src1_sel:BYTE_0
	v_cndmask_b32_sdwa v60, v60, v61, vcc dst_sel:BYTE_1 dst_unused:UNUSED_PAD src0_sel:DWORD src1_sel:DWORD
	v_cmp_lt_i32_e32 vcc, v67, v19
	s_or_b64 s[18:19], s[18:19], s[20:21]
	s_and_b64 vcc, vcc, s[18:19]
	v_cndmask_b32_e64 v58, v58, v59, s[22:23]
	v_cndmask_b32_e32 v55, v68, v71, vcc
	v_lshlrev_b16_e32 v56, 8, v56
	v_cndmask_b32_e64 v62, v62, v63, s[26:27]
	v_or_b32_sdwa v54, v54, v56 dst_sel:DWORD dst_unused:UNUSED_PAD src0_sel:BYTE_0 src1_sel:DWORD
	v_or_b32_sdwa v56, v58, v60 dst_sel:WORD_1 dst_unused:UNUSED_PAD src0_sel:BYTE_0 src1_sel:DWORD
	v_lshlrev_b16_e32 v55, 8, v55
	v_or_b32_sdwa v54, v54, v56 dst_sel:DWORD dst_unused:UNUSED_PAD src0_sel:WORD_0 src1_sel:DWORD
	v_or_b32_sdwa v56, v62, v64 dst_sel:DWORD dst_unused:UNUSED_PAD src0_sel:BYTE_0 src1_sel:DWORD
	v_or_b32_sdwa v55, v66, v55 dst_sel:WORD_1 dst_unused:UNUSED_PAD src0_sel:BYTE_0 src1_sel:DWORD
	v_or_b32_sdwa v55, v56, v55 dst_sel:DWORD dst_unused:UNUSED_PAD src0_sel:WORD_0 src1_sel:DWORD
	s_barrier
	ds_write_b64 v1, v[54:55]
	v_mov_b32_e32 v54, v41
	s_waitcnt lgkmcnt(0)
	s_barrier
	s_and_saveexec_b64 s[18:19], s[10:11]
	s_cbranch_execz .LBB78_166
; %bb.163:                              ;   in Loop: Header=BB78_2 Depth=1
	s_mov_b64 s[20:21], 0
	v_mov_b32_e32 v54, v41
	v_mov_b32_e32 v55, v42
.LBB78_164:                             ;   Parent Loop BB78_2 Depth=1
                                        ; =>  This Inner Loop Header: Depth=2
	v_sub_u32_e32 v56, v55, v54
	v_lshrrev_b32_e32 v56, 1, v56
	v_add_u32_e32 v56, v56, v54
	v_add_u32_e32 v57, v7, v56
	v_xad_u32 v58, v56, -1, v43
	ds_read_i8 v57, v57
	ds_read_i8 v58, v58
	v_add_u32_e32 v59, 1, v56
	s_waitcnt lgkmcnt(0)
	v_cmp_lt_i16_e32 vcc, v58, v57
	v_cndmask_b32_e32 v55, v55, v56, vcc
	v_cndmask_b32_e32 v54, v59, v54, vcc
	v_cmp_ge_i32_e32 vcc, v54, v55
	s_or_b64 s[20:21], vcc, s[20:21]
	s_andn2_b64 exec, exec, s[20:21]
	s_cbranch_execnz .LBB78_164
; %bb.165:                              ;   in Loop: Header=BB78_2 Depth=1
	s_or_b64 exec, exec, s[20:21]
.LBB78_166:                             ;   in Loop: Header=BB78_2 Depth=1
	s_or_b64 exec, exec, s[18:19]
	v_add_u32_e32 v58, v54, v7
	v_sub_u32_e32 v59, v43, v54
	ds_read_u8 v54, v58
	ds_read_u8 v55, v59
	v_cmp_le_i32_e64 s[18:19], v20, v58
	v_cmp_gt_i32_e32 vcc, v21, v59
                                        ; implicit-def: $vgpr56
	s_waitcnt lgkmcnt(1)
	v_bfe_i32 v54, v54, 0, 8
	s_waitcnt lgkmcnt(0)
	v_bfe_i32 v55, v55, 0, 8
	v_cmp_lt_i16_e64 s[20:21], v55, v54
	s_or_b64 s[18:19], s[18:19], s[20:21]
	s_and_b64 s[18:19], vcc, s[18:19]
	s_xor_b64 s[20:21], s[18:19], -1
	s_and_saveexec_b64 s[22:23], s[20:21]
	s_xor_b64 s[20:21], exec, s[22:23]
; %bb.167:                              ;   in Loop: Header=BB78_2 Depth=1
	ds_read_u8 v56, v58 offset:1
; %bb.168:                              ;   in Loop: Header=BB78_2 Depth=1
	s_or_saveexec_b64 s[20:21], s[20:21]
	v_mov_b32_e32 v57, v55
	s_xor_b64 exec, exec, s[20:21]
	s_cbranch_execz .LBB78_170
; %bb.169:                              ;   in Loop: Header=BB78_2 Depth=1
	ds_read_u8 v57, v59 offset:1
	s_waitcnt lgkmcnt(1)
	v_mov_b32_e32 v56, v54
.LBB78_170:                             ;   in Loop: Header=BB78_2 Depth=1
	s_or_b64 exec, exec, s[20:21]
	v_add_u32_e32 v61, 1, v58
	v_add_u32_e32 v60, 1, v59
	v_cndmask_b32_e64 v61, v61, v58, s[18:19]
	v_cndmask_b32_e64 v60, v59, v60, s[18:19]
	v_cmp_ge_i32_e64 s[20:21], v61, v20
	s_waitcnt lgkmcnt(0)
	v_cmp_lt_i16_sdwa s[22:23], sext(v57), sext(v56) src0_sel:BYTE_0 src1_sel:BYTE_0
	v_cmp_lt_i32_e32 vcc, v60, v21
	s_or_b64 s[20:21], s[20:21], s[22:23]
	s_and_b64 s[20:21], vcc, s[20:21]
	s_xor_b64 s[22:23], s[20:21], -1
                                        ; implicit-def: $vgpr58
	s_and_saveexec_b64 s[24:25], s[22:23]
	s_xor_b64 s[22:23], exec, s[24:25]
; %bb.171:                              ;   in Loop: Header=BB78_2 Depth=1
	ds_read_u8 v58, v61 offset:1
; %bb.172:                              ;   in Loop: Header=BB78_2 Depth=1
	s_or_saveexec_b64 s[22:23], s[22:23]
	v_mov_b32_e32 v59, v57
	s_xor_b64 exec, exec, s[22:23]
	s_cbranch_execz .LBB78_174
; %bb.173:                              ;   in Loop: Header=BB78_2 Depth=1
	ds_read_u8 v59, v60 offset:1
	s_waitcnt lgkmcnt(1)
	v_mov_b32_e32 v58, v56
.LBB78_174:                             ;   in Loop: Header=BB78_2 Depth=1
	s_or_b64 exec, exec, s[22:23]
	v_add_u32_e32 v63, 1, v61
	v_add_u32_e32 v62, 1, v60
	v_cndmask_b32_e64 v63, v63, v61, s[20:21]
	v_cndmask_b32_e64 v62, v60, v62, s[20:21]
	v_cmp_ge_i32_e64 s[22:23], v63, v20
	s_waitcnt lgkmcnt(0)
	v_cmp_lt_i16_sdwa s[24:25], sext(v59), sext(v58) src0_sel:BYTE_0 src1_sel:BYTE_0
	v_cmp_lt_i32_e32 vcc, v62, v21
	s_or_b64 s[22:23], s[22:23], s[24:25]
	s_and_b64 s[22:23], vcc, s[22:23]
	s_xor_b64 s[24:25], s[22:23], -1
                                        ; implicit-def: $vgpr60
	s_and_saveexec_b64 s[26:27], s[24:25]
	s_xor_b64 s[24:25], exec, s[26:27]
; %bb.175:                              ;   in Loop: Header=BB78_2 Depth=1
	ds_read_u8 v60, v63 offset:1
; %bb.176:                              ;   in Loop: Header=BB78_2 Depth=1
	s_or_saveexec_b64 s[24:25], s[24:25]
	v_mov_b32_e32 v61, v59
	s_xor_b64 exec, exec, s[24:25]
	s_cbranch_execz .LBB78_178
; %bb.177:                              ;   in Loop: Header=BB78_2 Depth=1
	ds_read_u8 v61, v62 offset:1
	s_waitcnt lgkmcnt(1)
	v_mov_b32_e32 v60, v58
.LBB78_178:                             ;   in Loop: Header=BB78_2 Depth=1
	s_or_b64 exec, exec, s[24:25]
	v_add_u32_e32 v65, 1, v63
	v_add_u32_e32 v64, 1, v62
	v_cndmask_b32_e64 v65, v65, v63, s[22:23]
	v_cndmask_b32_e64 v64, v62, v64, s[22:23]
	v_cmp_ge_i32_e64 s[24:25], v65, v20
	s_waitcnt lgkmcnt(0)
	v_cmp_lt_i16_sdwa s[26:27], sext(v61), sext(v60) src0_sel:BYTE_0 src1_sel:BYTE_0
	v_cmp_lt_i32_e32 vcc, v64, v21
	s_or_b64 s[24:25], s[24:25], s[26:27]
	s_and_b64 s[24:25], vcc, s[24:25]
	s_xor_b64 s[26:27], s[24:25], -1
                                        ; implicit-def: $vgpr62
	s_and_saveexec_b64 s[28:29], s[26:27]
	s_xor_b64 s[26:27], exec, s[28:29]
; %bb.179:                              ;   in Loop: Header=BB78_2 Depth=1
	ds_read_u8 v62, v65 offset:1
; %bb.180:                              ;   in Loop: Header=BB78_2 Depth=1
	s_or_saveexec_b64 s[26:27], s[26:27]
	v_mov_b32_e32 v63, v61
	s_xor_b64 exec, exec, s[26:27]
	s_cbranch_execz .LBB78_182
; %bb.181:                              ;   in Loop: Header=BB78_2 Depth=1
	ds_read_u8 v63, v64 offset:1
	s_waitcnt lgkmcnt(1)
	v_mov_b32_e32 v62, v60
.LBB78_182:                             ;   in Loop: Header=BB78_2 Depth=1
	s_or_b64 exec, exec, s[26:27]
	v_add_u32_e32 v67, 1, v65
	v_add_u32_e32 v66, 1, v64
	v_cndmask_b32_e64 v67, v67, v65, s[24:25]
	v_cndmask_b32_e64 v66, v64, v66, s[24:25]
	v_cmp_ge_i32_e64 s[26:27], v67, v20
	s_waitcnt lgkmcnt(0)
	v_cmp_lt_i16_sdwa s[28:29], sext(v63), sext(v62) src0_sel:BYTE_0 src1_sel:BYTE_0
	v_cmp_lt_i32_e32 vcc, v66, v21
	s_or_b64 s[26:27], s[26:27], s[28:29]
	s_and_b64 s[26:27], vcc, s[26:27]
	s_xor_b64 s[28:29], s[26:27], -1
                                        ; implicit-def: $vgpr64
	s_and_saveexec_b64 s[30:31], s[28:29]
	s_xor_b64 s[28:29], exec, s[30:31]
; %bb.183:                              ;   in Loop: Header=BB78_2 Depth=1
	ds_read_u8 v64, v67 offset:1
; %bb.184:                              ;   in Loop: Header=BB78_2 Depth=1
	s_or_saveexec_b64 s[28:29], s[28:29]
	v_mov_b32_e32 v65, v63
	s_xor_b64 exec, exec, s[28:29]
	s_cbranch_execz .LBB78_186
; %bb.185:                              ;   in Loop: Header=BB78_2 Depth=1
	ds_read_u8 v65, v66 offset:1
	s_waitcnt lgkmcnt(1)
	v_mov_b32_e32 v64, v62
.LBB78_186:                             ;   in Loop: Header=BB78_2 Depth=1
	s_or_b64 exec, exec, s[28:29]
	v_add_u32_e32 v69, 1, v67
	v_add_u32_e32 v68, 1, v66
	v_cndmask_b32_e64 v70, v69, v67, s[26:27]
	v_cndmask_b32_e64 v68, v66, v68, s[26:27]
	v_cmp_ge_i32_e64 s[28:29], v70, v20
	s_waitcnt lgkmcnt(0)
	v_cmp_lt_i16_sdwa s[30:31], sext(v65), sext(v64) src0_sel:BYTE_0 src1_sel:BYTE_0
	v_cmp_lt_i32_e32 vcc, v68, v21
	s_or_b64 s[28:29], s[28:29], s[30:31]
	s_and_b64 vcc, vcc, s[28:29]
	s_xor_b64 s[28:29], vcc, -1
                                        ; implicit-def: $vgpr66
	s_and_saveexec_b64 s[30:31], s[28:29]
	s_xor_b64 s[28:29], exec, s[30:31]
; %bb.187:                              ;   in Loop: Header=BB78_2 Depth=1
	ds_read_u8 v66, v70 offset:1
; %bb.188:                              ;   in Loop: Header=BB78_2 Depth=1
	s_or_saveexec_b64 s[28:29], s[28:29]
	v_mov_b32_e32 v67, v65
	s_xor_b64 exec, exec, s[28:29]
	s_cbranch_execz .LBB78_190
; %bb.189:                              ;   in Loop: Header=BB78_2 Depth=1
	ds_read_u8 v67, v68 offset:1
	s_waitcnt lgkmcnt(1)
	v_mov_b32_e32 v66, v64
.LBB78_190:                             ;   in Loop: Header=BB78_2 Depth=1
	s_or_b64 exec, exec, s[28:29]
	v_add_u32_e32 v71, 1, v70
	v_add_u32_e32 v69, 1, v68
	v_cndmask_b32_e32 v70, v71, v70, vcc
	v_cndmask_b32_e32 v69, v68, v69, vcc
	v_cmp_ge_i32_e64 s[30:31], v70, v20
	s_waitcnt lgkmcnt(0)
	v_cmp_lt_i16_sdwa s[48:49], sext(v67), sext(v66) src0_sel:BYTE_0 src1_sel:BYTE_0
	v_cmp_lt_i32_e64 s[28:29], v69, v21
	s_or_b64 s[30:31], s[30:31], s[48:49]
	s_and_b64 s[28:29], s[28:29], s[30:31]
	s_xor_b64 s[30:31], s[28:29], -1
                                        ; implicit-def: $vgpr68
	s_and_saveexec_b64 s[48:49], s[30:31]
	s_xor_b64 s[30:31], exec, s[48:49]
; %bb.191:                              ;   in Loop: Header=BB78_2 Depth=1
	ds_read_u8 v68, v70 offset:1
; %bb.192:                              ;   in Loop: Header=BB78_2 Depth=1
	s_or_saveexec_b64 s[30:31], s[30:31]
	v_mov_b32_e32 v71, v67
	s_xor_b64 exec, exec, s[30:31]
	s_cbranch_execz .LBB78_194
; %bb.193:                              ;   in Loop: Header=BB78_2 Depth=1
	ds_read_u8 v71, v69 offset:1
	s_waitcnt lgkmcnt(1)
	v_mov_b32_e32 v68, v66
.LBB78_194:                             ;   in Loop: Header=BB78_2 Depth=1
	s_or_b64 exec, exec, s[30:31]
	v_cndmask_b32_e64 v66, v66, v67, s[28:29]
	v_add_u32_e32 v67, 1, v69
	v_add_u32_e32 v72, 1, v70
	v_cndmask_b32_e64 v67, v69, v67, s[28:29]
	v_cndmask_b32_e64 v69, v72, v70, s[28:29]
	v_cndmask_b32_sdwa v64, v64, v65, vcc dst_sel:BYTE_1 dst_unused:UNUSED_PAD src0_sel:DWORD src1_sel:DWORD
	s_mov_b64 vcc, s[24:25]
	v_cndmask_b32_e64 v56, v56, v57, s[20:21]
	v_cndmask_b32_e64 v54, v54, v55, s[18:19]
	v_cmp_ge_i32_e64 s[18:19], v69, v20
	s_waitcnt lgkmcnt(0)
	v_cmp_lt_i16_sdwa s[20:21], sext(v71), sext(v68) src0_sel:BYTE_0 src1_sel:BYTE_0
	v_cndmask_b32_sdwa v60, v60, v61, vcc dst_sel:BYTE_1 dst_unused:UNUSED_PAD src0_sel:DWORD src1_sel:DWORD
	v_cmp_lt_i32_e32 vcc, v67, v21
	s_or_b64 s[18:19], s[18:19], s[20:21]
	s_and_b64 vcc, vcc, s[18:19]
	v_cndmask_b32_e64 v58, v58, v59, s[22:23]
	v_cndmask_b32_e32 v55, v68, v71, vcc
	v_lshlrev_b16_e32 v56, 8, v56
	v_cndmask_b32_e64 v62, v62, v63, s[26:27]
	v_or_b32_sdwa v54, v54, v56 dst_sel:DWORD dst_unused:UNUSED_PAD src0_sel:BYTE_0 src1_sel:DWORD
	v_or_b32_sdwa v56, v58, v60 dst_sel:WORD_1 dst_unused:UNUSED_PAD src0_sel:BYTE_0 src1_sel:DWORD
	v_lshlrev_b16_e32 v55, 8, v55
	v_or_b32_sdwa v54, v54, v56 dst_sel:DWORD dst_unused:UNUSED_PAD src0_sel:WORD_0 src1_sel:DWORD
	v_or_b32_sdwa v56, v62, v64 dst_sel:DWORD dst_unused:UNUSED_PAD src0_sel:BYTE_0 src1_sel:DWORD
	v_or_b32_sdwa v55, v66, v55 dst_sel:WORD_1 dst_unused:UNUSED_PAD src0_sel:BYTE_0 src1_sel:DWORD
	v_or_b32_sdwa v55, v56, v55 dst_sel:DWORD dst_unused:UNUSED_PAD src0_sel:WORD_0 src1_sel:DWORD
	s_barrier
	ds_write_b64 v1, v[54:55]
	v_mov_b32_e32 v54, v44
	s_waitcnt lgkmcnt(0)
	s_barrier
	s_and_saveexec_b64 s[18:19], s[12:13]
	s_cbranch_execz .LBB78_198
; %bb.195:                              ;   in Loop: Header=BB78_2 Depth=1
	s_mov_b64 s[20:21], 0
	v_mov_b32_e32 v54, v44
	v_mov_b32_e32 v55, v45
.LBB78_196:                             ;   Parent Loop BB78_2 Depth=1
                                        ; =>  This Inner Loop Header: Depth=2
	v_sub_u32_e32 v56, v55, v54
	v_lshrrev_b32_e32 v56, 1, v56
	v_add_u32_e32 v56, v56, v54
	v_add_u32_e32 v57, v8, v56
	v_xad_u32 v58, v56, -1, v46
	ds_read_i8 v57, v57
	ds_read_i8 v58, v58
	v_add_u32_e32 v59, 1, v56
	s_waitcnt lgkmcnt(0)
	v_cmp_lt_i16_e32 vcc, v58, v57
	v_cndmask_b32_e32 v55, v55, v56, vcc
	v_cndmask_b32_e32 v54, v59, v54, vcc
	v_cmp_ge_i32_e32 vcc, v54, v55
	s_or_b64 s[20:21], vcc, s[20:21]
	s_andn2_b64 exec, exec, s[20:21]
	s_cbranch_execnz .LBB78_196
; %bb.197:                              ;   in Loop: Header=BB78_2 Depth=1
	s_or_b64 exec, exec, s[20:21]
.LBB78_198:                             ;   in Loop: Header=BB78_2 Depth=1
	s_or_b64 exec, exec, s[18:19]
	v_add_u32_e32 v58, v54, v8
	v_sub_u32_e32 v59, v46, v54
	ds_read_u8 v54, v58
	ds_read_u8 v55, v59
	v_cmp_le_i32_e64 s[18:19], v22, v58
	v_cmp_gt_i32_e32 vcc, v23, v59
                                        ; implicit-def: $vgpr56
	s_waitcnt lgkmcnt(1)
	v_bfe_i32 v54, v54, 0, 8
	s_waitcnt lgkmcnt(0)
	v_bfe_i32 v55, v55, 0, 8
	v_cmp_lt_i16_e64 s[20:21], v55, v54
	s_or_b64 s[18:19], s[18:19], s[20:21]
	s_and_b64 s[18:19], vcc, s[18:19]
	s_xor_b64 s[20:21], s[18:19], -1
	s_and_saveexec_b64 s[22:23], s[20:21]
	s_xor_b64 s[20:21], exec, s[22:23]
; %bb.199:                              ;   in Loop: Header=BB78_2 Depth=1
	ds_read_u8 v56, v58 offset:1
; %bb.200:                              ;   in Loop: Header=BB78_2 Depth=1
	s_or_saveexec_b64 s[20:21], s[20:21]
	v_mov_b32_e32 v57, v55
	s_xor_b64 exec, exec, s[20:21]
	s_cbranch_execz .LBB78_202
; %bb.201:                              ;   in Loop: Header=BB78_2 Depth=1
	ds_read_u8 v57, v59 offset:1
	s_waitcnt lgkmcnt(1)
	v_mov_b32_e32 v56, v54
.LBB78_202:                             ;   in Loop: Header=BB78_2 Depth=1
	s_or_b64 exec, exec, s[20:21]
	v_add_u32_e32 v61, 1, v58
	v_add_u32_e32 v60, 1, v59
	v_cndmask_b32_e64 v61, v61, v58, s[18:19]
	v_cndmask_b32_e64 v60, v59, v60, s[18:19]
	v_cmp_ge_i32_e64 s[20:21], v61, v22
	s_waitcnt lgkmcnt(0)
	v_cmp_lt_i16_sdwa s[22:23], sext(v57), sext(v56) src0_sel:BYTE_0 src1_sel:BYTE_0
	v_cmp_lt_i32_e32 vcc, v60, v23
	s_or_b64 s[20:21], s[20:21], s[22:23]
	s_and_b64 s[20:21], vcc, s[20:21]
	s_xor_b64 s[22:23], s[20:21], -1
                                        ; implicit-def: $vgpr58
	s_and_saveexec_b64 s[24:25], s[22:23]
	s_xor_b64 s[22:23], exec, s[24:25]
; %bb.203:                              ;   in Loop: Header=BB78_2 Depth=1
	ds_read_u8 v58, v61 offset:1
; %bb.204:                              ;   in Loop: Header=BB78_2 Depth=1
	s_or_saveexec_b64 s[22:23], s[22:23]
	v_mov_b32_e32 v59, v57
	s_xor_b64 exec, exec, s[22:23]
	s_cbranch_execz .LBB78_206
; %bb.205:                              ;   in Loop: Header=BB78_2 Depth=1
	ds_read_u8 v59, v60 offset:1
	s_waitcnt lgkmcnt(1)
	v_mov_b32_e32 v58, v56
.LBB78_206:                             ;   in Loop: Header=BB78_2 Depth=1
	s_or_b64 exec, exec, s[22:23]
	v_add_u32_e32 v63, 1, v61
	v_add_u32_e32 v62, 1, v60
	v_cndmask_b32_e64 v63, v63, v61, s[20:21]
	v_cndmask_b32_e64 v62, v60, v62, s[20:21]
	v_cmp_ge_i32_e64 s[22:23], v63, v22
	s_waitcnt lgkmcnt(0)
	v_cmp_lt_i16_sdwa s[24:25], sext(v59), sext(v58) src0_sel:BYTE_0 src1_sel:BYTE_0
	v_cmp_lt_i32_e32 vcc, v62, v23
	s_or_b64 s[22:23], s[22:23], s[24:25]
	s_and_b64 s[22:23], vcc, s[22:23]
	s_xor_b64 s[24:25], s[22:23], -1
                                        ; implicit-def: $vgpr60
	s_and_saveexec_b64 s[26:27], s[24:25]
	s_xor_b64 s[24:25], exec, s[26:27]
; %bb.207:                              ;   in Loop: Header=BB78_2 Depth=1
	ds_read_u8 v60, v63 offset:1
; %bb.208:                              ;   in Loop: Header=BB78_2 Depth=1
	s_or_saveexec_b64 s[24:25], s[24:25]
	v_mov_b32_e32 v61, v59
	s_xor_b64 exec, exec, s[24:25]
	s_cbranch_execz .LBB78_210
; %bb.209:                              ;   in Loop: Header=BB78_2 Depth=1
	ds_read_u8 v61, v62 offset:1
	s_waitcnt lgkmcnt(1)
	v_mov_b32_e32 v60, v58
.LBB78_210:                             ;   in Loop: Header=BB78_2 Depth=1
	s_or_b64 exec, exec, s[24:25]
	v_add_u32_e32 v65, 1, v63
	v_add_u32_e32 v64, 1, v62
	v_cndmask_b32_e64 v65, v65, v63, s[22:23]
	v_cndmask_b32_e64 v64, v62, v64, s[22:23]
	v_cmp_ge_i32_e64 s[24:25], v65, v22
	s_waitcnt lgkmcnt(0)
	v_cmp_lt_i16_sdwa s[26:27], sext(v61), sext(v60) src0_sel:BYTE_0 src1_sel:BYTE_0
	v_cmp_lt_i32_e32 vcc, v64, v23
	s_or_b64 s[24:25], s[24:25], s[26:27]
	s_and_b64 s[24:25], vcc, s[24:25]
	s_xor_b64 s[26:27], s[24:25], -1
                                        ; implicit-def: $vgpr62
	s_and_saveexec_b64 s[28:29], s[26:27]
	s_xor_b64 s[26:27], exec, s[28:29]
; %bb.211:                              ;   in Loop: Header=BB78_2 Depth=1
	ds_read_u8 v62, v65 offset:1
; %bb.212:                              ;   in Loop: Header=BB78_2 Depth=1
	s_or_saveexec_b64 s[26:27], s[26:27]
	v_mov_b32_e32 v63, v61
	s_xor_b64 exec, exec, s[26:27]
	s_cbranch_execz .LBB78_214
; %bb.213:                              ;   in Loop: Header=BB78_2 Depth=1
	ds_read_u8 v63, v64 offset:1
	s_waitcnt lgkmcnt(1)
	v_mov_b32_e32 v62, v60
.LBB78_214:                             ;   in Loop: Header=BB78_2 Depth=1
	s_or_b64 exec, exec, s[26:27]
	v_add_u32_e32 v67, 1, v65
	v_add_u32_e32 v66, 1, v64
	v_cndmask_b32_e64 v67, v67, v65, s[24:25]
	v_cndmask_b32_e64 v66, v64, v66, s[24:25]
	v_cmp_ge_i32_e64 s[26:27], v67, v22
	s_waitcnt lgkmcnt(0)
	v_cmp_lt_i16_sdwa s[28:29], sext(v63), sext(v62) src0_sel:BYTE_0 src1_sel:BYTE_0
	v_cmp_lt_i32_e32 vcc, v66, v23
	s_or_b64 s[26:27], s[26:27], s[28:29]
	s_and_b64 s[26:27], vcc, s[26:27]
	s_xor_b64 s[28:29], s[26:27], -1
                                        ; implicit-def: $vgpr64
	s_and_saveexec_b64 s[30:31], s[28:29]
	s_xor_b64 s[28:29], exec, s[30:31]
; %bb.215:                              ;   in Loop: Header=BB78_2 Depth=1
	ds_read_u8 v64, v67 offset:1
; %bb.216:                              ;   in Loop: Header=BB78_2 Depth=1
	s_or_saveexec_b64 s[28:29], s[28:29]
	v_mov_b32_e32 v65, v63
	s_xor_b64 exec, exec, s[28:29]
	s_cbranch_execz .LBB78_218
; %bb.217:                              ;   in Loop: Header=BB78_2 Depth=1
	ds_read_u8 v65, v66 offset:1
	s_waitcnt lgkmcnt(1)
	v_mov_b32_e32 v64, v62
.LBB78_218:                             ;   in Loop: Header=BB78_2 Depth=1
	s_or_b64 exec, exec, s[28:29]
	v_add_u32_e32 v69, 1, v67
	v_add_u32_e32 v68, 1, v66
	v_cndmask_b32_e64 v70, v69, v67, s[26:27]
	v_cndmask_b32_e64 v68, v66, v68, s[26:27]
	v_cmp_ge_i32_e64 s[28:29], v70, v22
	s_waitcnt lgkmcnt(0)
	v_cmp_lt_i16_sdwa s[30:31], sext(v65), sext(v64) src0_sel:BYTE_0 src1_sel:BYTE_0
	v_cmp_lt_i32_e32 vcc, v68, v23
	s_or_b64 s[28:29], s[28:29], s[30:31]
	s_and_b64 vcc, vcc, s[28:29]
	s_xor_b64 s[28:29], vcc, -1
                                        ; implicit-def: $vgpr66
	s_and_saveexec_b64 s[30:31], s[28:29]
	s_xor_b64 s[28:29], exec, s[30:31]
; %bb.219:                              ;   in Loop: Header=BB78_2 Depth=1
	ds_read_u8 v66, v70 offset:1
; %bb.220:                              ;   in Loop: Header=BB78_2 Depth=1
	s_or_saveexec_b64 s[28:29], s[28:29]
	v_mov_b32_e32 v67, v65
	s_xor_b64 exec, exec, s[28:29]
	s_cbranch_execz .LBB78_222
; %bb.221:                              ;   in Loop: Header=BB78_2 Depth=1
	ds_read_u8 v67, v68 offset:1
	s_waitcnt lgkmcnt(1)
	v_mov_b32_e32 v66, v64
.LBB78_222:                             ;   in Loop: Header=BB78_2 Depth=1
	s_or_b64 exec, exec, s[28:29]
	v_add_u32_e32 v71, 1, v70
	v_add_u32_e32 v69, 1, v68
	v_cndmask_b32_e32 v70, v71, v70, vcc
	v_cndmask_b32_e32 v69, v68, v69, vcc
	v_cmp_ge_i32_e64 s[30:31], v70, v22
	s_waitcnt lgkmcnt(0)
	v_cmp_lt_i16_sdwa s[48:49], sext(v67), sext(v66) src0_sel:BYTE_0 src1_sel:BYTE_0
	v_cmp_lt_i32_e64 s[28:29], v69, v23
	s_or_b64 s[30:31], s[30:31], s[48:49]
	s_and_b64 s[28:29], s[28:29], s[30:31]
	s_xor_b64 s[30:31], s[28:29], -1
                                        ; implicit-def: $vgpr68
	s_and_saveexec_b64 s[48:49], s[30:31]
	s_xor_b64 s[30:31], exec, s[48:49]
; %bb.223:                              ;   in Loop: Header=BB78_2 Depth=1
	ds_read_u8 v68, v70 offset:1
; %bb.224:                              ;   in Loop: Header=BB78_2 Depth=1
	s_or_saveexec_b64 s[30:31], s[30:31]
	v_mov_b32_e32 v71, v67
	s_xor_b64 exec, exec, s[30:31]
	s_cbranch_execz .LBB78_226
; %bb.225:                              ;   in Loop: Header=BB78_2 Depth=1
	ds_read_u8 v71, v69 offset:1
	s_waitcnt lgkmcnt(1)
	v_mov_b32_e32 v68, v66
.LBB78_226:                             ;   in Loop: Header=BB78_2 Depth=1
	s_or_b64 exec, exec, s[30:31]
	v_cndmask_b32_e64 v66, v66, v67, s[28:29]
	v_add_u32_e32 v67, 1, v69
	v_add_u32_e32 v72, 1, v70
	v_cndmask_b32_e64 v67, v69, v67, s[28:29]
	v_cndmask_b32_e64 v69, v72, v70, s[28:29]
	v_cndmask_b32_sdwa v64, v64, v65, vcc dst_sel:BYTE_1 dst_unused:UNUSED_PAD src0_sel:DWORD src1_sel:DWORD
	s_mov_b64 vcc, s[24:25]
	v_cndmask_b32_e64 v56, v56, v57, s[20:21]
	v_cndmask_b32_e64 v54, v54, v55, s[18:19]
	v_cmp_ge_i32_e64 s[18:19], v69, v22
	s_waitcnt lgkmcnt(0)
	v_cmp_lt_i16_sdwa s[20:21], sext(v71), sext(v68) src0_sel:BYTE_0 src1_sel:BYTE_0
	v_cndmask_b32_sdwa v60, v60, v61, vcc dst_sel:BYTE_1 dst_unused:UNUSED_PAD src0_sel:DWORD src1_sel:DWORD
	v_cmp_lt_i32_e32 vcc, v67, v23
	s_or_b64 s[18:19], s[18:19], s[20:21]
	s_and_b64 vcc, vcc, s[18:19]
	v_cndmask_b32_e64 v58, v58, v59, s[22:23]
	v_cndmask_b32_e32 v55, v68, v71, vcc
	v_lshlrev_b16_e32 v56, 8, v56
	v_cndmask_b32_e64 v62, v62, v63, s[26:27]
	v_or_b32_sdwa v54, v54, v56 dst_sel:DWORD dst_unused:UNUSED_PAD src0_sel:BYTE_0 src1_sel:DWORD
	v_or_b32_sdwa v56, v58, v60 dst_sel:WORD_1 dst_unused:UNUSED_PAD src0_sel:BYTE_0 src1_sel:DWORD
	v_lshlrev_b16_e32 v55, 8, v55
	v_or_b32_sdwa v54, v54, v56 dst_sel:DWORD dst_unused:UNUSED_PAD src0_sel:WORD_0 src1_sel:DWORD
	v_or_b32_sdwa v56, v62, v64 dst_sel:DWORD dst_unused:UNUSED_PAD src0_sel:BYTE_0 src1_sel:DWORD
	v_or_b32_sdwa v55, v66, v55 dst_sel:WORD_1 dst_unused:UNUSED_PAD src0_sel:BYTE_0 src1_sel:DWORD
	v_or_b32_sdwa v55, v56, v55 dst_sel:DWORD dst_unused:UNUSED_PAD src0_sel:WORD_0 src1_sel:DWORD
	s_barrier
	ds_write_b64 v1, v[54:55]
	v_mov_b32_e32 v54, v47
	s_waitcnt lgkmcnt(0)
	s_barrier
	s_and_saveexec_b64 s[18:19], s[14:15]
	s_cbranch_execz .LBB78_230
; %bb.227:                              ;   in Loop: Header=BB78_2 Depth=1
	s_mov_b64 s[20:21], 0
	v_mov_b32_e32 v54, v47
	v_mov_b32_e32 v55, v48
.LBB78_228:                             ;   Parent Loop BB78_2 Depth=1
                                        ; =>  This Inner Loop Header: Depth=2
	v_sub_u32_e32 v56, v55, v54
	v_lshrrev_b32_e32 v56, 1, v56
	v_add_u32_e32 v56, v56, v54
	v_add_u32_e32 v57, v9, v56
	v_xad_u32 v58, v56, -1, v49
	ds_read_i8 v57, v57
	ds_read_i8 v58, v58
	v_add_u32_e32 v59, 1, v56
	s_waitcnt lgkmcnt(0)
	v_cmp_lt_i16_e32 vcc, v58, v57
	v_cndmask_b32_e32 v55, v55, v56, vcc
	v_cndmask_b32_e32 v54, v59, v54, vcc
	v_cmp_ge_i32_e32 vcc, v54, v55
	s_or_b64 s[20:21], vcc, s[20:21]
	s_andn2_b64 exec, exec, s[20:21]
	s_cbranch_execnz .LBB78_228
; %bb.229:                              ;   in Loop: Header=BB78_2 Depth=1
	s_or_b64 exec, exec, s[20:21]
.LBB78_230:                             ;   in Loop: Header=BB78_2 Depth=1
	s_or_b64 exec, exec, s[18:19]
	v_add_u32_e32 v58, v54, v9
	v_sub_u32_e32 v59, v49, v54
	ds_read_u8 v54, v58
	ds_read_u8 v55, v59
	v_cmp_le_i32_e64 s[18:19], v24, v58
	v_cmp_gt_i32_e32 vcc, v25, v59
                                        ; implicit-def: $vgpr56
	s_waitcnt lgkmcnt(1)
	v_bfe_i32 v54, v54, 0, 8
	s_waitcnt lgkmcnt(0)
	v_bfe_i32 v55, v55, 0, 8
	v_cmp_lt_i16_e64 s[20:21], v55, v54
	s_or_b64 s[18:19], s[18:19], s[20:21]
	s_and_b64 s[18:19], vcc, s[18:19]
	s_xor_b64 s[20:21], s[18:19], -1
	s_and_saveexec_b64 s[22:23], s[20:21]
	s_xor_b64 s[20:21], exec, s[22:23]
; %bb.231:                              ;   in Loop: Header=BB78_2 Depth=1
	ds_read_u8 v56, v58 offset:1
; %bb.232:                              ;   in Loop: Header=BB78_2 Depth=1
	s_or_saveexec_b64 s[20:21], s[20:21]
	v_mov_b32_e32 v57, v55
	s_xor_b64 exec, exec, s[20:21]
	s_cbranch_execz .LBB78_234
; %bb.233:                              ;   in Loop: Header=BB78_2 Depth=1
	ds_read_u8 v57, v59 offset:1
	s_waitcnt lgkmcnt(1)
	v_mov_b32_e32 v56, v54
.LBB78_234:                             ;   in Loop: Header=BB78_2 Depth=1
	s_or_b64 exec, exec, s[20:21]
	v_add_u32_e32 v61, 1, v58
	v_add_u32_e32 v60, 1, v59
	v_cndmask_b32_e64 v61, v61, v58, s[18:19]
	v_cndmask_b32_e64 v60, v59, v60, s[18:19]
	v_cmp_ge_i32_e64 s[20:21], v61, v24
	s_waitcnt lgkmcnt(0)
	v_cmp_lt_i16_sdwa s[22:23], sext(v57), sext(v56) src0_sel:BYTE_0 src1_sel:BYTE_0
	v_cmp_lt_i32_e32 vcc, v60, v25
	s_or_b64 s[20:21], s[20:21], s[22:23]
	s_and_b64 s[20:21], vcc, s[20:21]
	s_xor_b64 s[22:23], s[20:21], -1
                                        ; implicit-def: $vgpr58
	s_and_saveexec_b64 s[24:25], s[22:23]
	s_xor_b64 s[22:23], exec, s[24:25]
; %bb.235:                              ;   in Loop: Header=BB78_2 Depth=1
	ds_read_u8 v58, v61 offset:1
; %bb.236:                              ;   in Loop: Header=BB78_2 Depth=1
	s_or_saveexec_b64 s[22:23], s[22:23]
	v_mov_b32_e32 v59, v57
	s_xor_b64 exec, exec, s[22:23]
	s_cbranch_execz .LBB78_238
; %bb.237:                              ;   in Loop: Header=BB78_2 Depth=1
	ds_read_u8 v59, v60 offset:1
	s_waitcnt lgkmcnt(1)
	v_mov_b32_e32 v58, v56
.LBB78_238:                             ;   in Loop: Header=BB78_2 Depth=1
	s_or_b64 exec, exec, s[22:23]
	v_add_u32_e32 v63, 1, v61
	v_add_u32_e32 v62, 1, v60
	v_cndmask_b32_e64 v63, v63, v61, s[20:21]
	v_cndmask_b32_e64 v62, v60, v62, s[20:21]
	v_cmp_ge_i32_e64 s[22:23], v63, v24
	s_waitcnt lgkmcnt(0)
	v_cmp_lt_i16_sdwa s[24:25], sext(v59), sext(v58) src0_sel:BYTE_0 src1_sel:BYTE_0
	v_cmp_lt_i32_e32 vcc, v62, v25
	s_or_b64 s[22:23], s[22:23], s[24:25]
	s_and_b64 s[22:23], vcc, s[22:23]
	s_xor_b64 s[24:25], s[22:23], -1
                                        ; implicit-def: $vgpr60
	s_and_saveexec_b64 s[26:27], s[24:25]
	s_xor_b64 s[24:25], exec, s[26:27]
; %bb.239:                              ;   in Loop: Header=BB78_2 Depth=1
	ds_read_u8 v60, v63 offset:1
; %bb.240:                              ;   in Loop: Header=BB78_2 Depth=1
	s_or_saveexec_b64 s[24:25], s[24:25]
	v_mov_b32_e32 v61, v59
	s_xor_b64 exec, exec, s[24:25]
	s_cbranch_execz .LBB78_242
; %bb.241:                              ;   in Loop: Header=BB78_2 Depth=1
	ds_read_u8 v61, v62 offset:1
	s_waitcnt lgkmcnt(1)
	v_mov_b32_e32 v60, v58
.LBB78_242:                             ;   in Loop: Header=BB78_2 Depth=1
	s_or_b64 exec, exec, s[24:25]
	v_add_u32_e32 v65, 1, v63
	v_add_u32_e32 v64, 1, v62
	v_cndmask_b32_e64 v65, v65, v63, s[22:23]
	v_cndmask_b32_e64 v64, v62, v64, s[22:23]
	v_cmp_ge_i32_e64 s[24:25], v65, v24
	s_waitcnt lgkmcnt(0)
	v_cmp_lt_i16_sdwa s[26:27], sext(v61), sext(v60) src0_sel:BYTE_0 src1_sel:BYTE_0
	v_cmp_lt_i32_e32 vcc, v64, v25
	s_or_b64 s[24:25], s[24:25], s[26:27]
	s_and_b64 s[24:25], vcc, s[24:25]
	s_xor_b64 s[26:27], s[24:25], -1
                                        ; implicit-def: $vgpr62
	s_and_saveexec_b64 s[28:29], s[26:27]
	s_xor_b64 s[26:27], exec, s[28:29]
; %bb.243:                              ;   in Loop: Header=BB78_2 Depth=1
	ds_read_u8 v62, v65 offset:1
; %bb.244:                              ;   in Loop: Header=BB78_2 Depth=1
	s_or_saveexec_b64 s[26:27], s[26:27]
	v_mov_b32_e32 v63, v61
	s_xor_b64 exec, exec, s[26:27]
	s_cbranch_execz .LBB78_246
; %bb.245:                              ;   in Loop: Header=BB78_2 Depth=1
	ds_read_u8 v63, v64 offset:1
	s_waitcnt lgkmcnt(1)
	v_mov_b32_e32 v62, v60
.LBB78_246:                             ;   in Loop: Header=BB78_2 Depth=1
	s_or_b64 exec, exec, s[26:27]
	v_add_u32_e32 v67, 1, v65
	v_add_u32_e32 v66, 1, v64
	v_cndmask_b32_e64 v67, v67, v65, s[24:25]
	v_cndmask_b32_e64 v66, v64, v66, s[24:25]
	v_cmp_ge_i32_e64 s[26:27], v67, v24
	s_waitcnt lgkmcnt(0)
	v_cmp_lt_i16_sdwa s[28:29], sext(v63), sext(v62) src0_sel:BYTE_0 src1_sel:BYTE_0
	v_cmp_lt_i32_e32 vcc, v66, v25
	s_or_b64 s[26:27], s[26:27], s[28:29]
	s_and_b64 s[26:27], vcc, s[26:27]
	s_xor_b64 s[28:29], s[26:27], -1
                                        ; implicit-def: $vgpr64
	s_and_saveexec_b64 s[30:31], s[28:29]
	s_xor_b64 s[28:29], exec, s[30:31]
; %bb.247:                              ;   in Loop: Header=BB78_2 Depth=1
	ds_read_u8 v64, v67 offset:1
; %bb.248:                              ;   in Loop: Header=BB78_2 Depth=1
	s_or_saveexec_b64 s[28:29], s[28:29]
	v_mov_b32_e32 v65, v63
	s_xor_b64 exec, exec, s[28:29]
	s_cbranch_execz .LBB78_250
; %bb.249:                              ;   in Loop: Header=BB78_2 Depth=1
	ds_read_u8 v65, v66 offset:1
	s_waitcnt lgkmcnt(1)
	v_mov_b32_e32 v64, v62
.LBB78_250:                             ;   in Loop: Header=BB78_2 Depth=1
	s_or_b64 exec, exec, s[28:29]
	v_add_u32_e32 v69, 1, v67
	v_add_u32_e32 v68, 1, v66
	v_cndmask_b32_e64 v70, v69, v67, s[26:27]
	v_cndmask_b32_e64 v68, v66, v68, s[26:27]
	v_cmp_ge_i32_e64 s[28:29], v70, v24
	s_waitcnt lgkmcnt(0)
	v_cmp_lt_i16_sdwa s[30:31], sext(v65), sext(v64) src0_sel:BYTE_0 src1_sel:BYTE_0
	v_cmp_lt_i32_e32 vcc, v68, v25
	s_or_b64 s[28:29], s[28:29], s[30:31]
	s_and_b64 vcc, vcc, s[28:29]
	s_xor_b64 s[28:29], vcc, -1
                                        ; implicit-def: $vgpr66
	s_and_saveexec_b64 s[30:31], s[28:29]
	s_xor_b64 s[28:29], exec, s[30:31]
; %bb.251:                              ;   in Loop: Header=BB78_2 Depth=1
	ds_read_u8 v66, v70 offset:1
; %bb.252:                              ;   in Loop: Header=BB78_2 Depth=1
	s_or_saveexec_b64 s[28:29], s[28:29]
	v_mov_b32_e32 v67, v65
	s_xor_b64 exec, exec, s[28:29]
	s_cbranch_execz .LBB78_254
; %bb.253:                              ;   in Loop: Header=BB78_2 Depth=1
	ds_read_u8 v67, v68 offset:1
	s_waitcnt lgkmcnt(1)
	v_mov_b32_e32 v66, v64
.LBB78_254:                             ;   in Loop: Header=BB78_2 Depth=1
	s_or_b64 exec, exec, s[28:29]
	v_add_u32_e32 v71, 1, v70
	v_add_u32_e32 v69, 1, v68
	v_cndmask_b32_e32 v70, v71, v70, vcc
	v_cndmask_b32_e32 v69, v68, v69, vcc
	v_cmp_ge_i32_e64 s[30:31], v70, v24
	s_waitcnt lgkmcnt(0)
	v_cmp_lt_i16_sdwa s[48:49], sext(v67), sext(v66) src0_sel:BYTE_0 src1_sel:BYTE_0
	v_cmp_lt_i32_e64 s[28:29], v69, v25
	s_or_b64 s[30:31], s[30:31], s[48:49]
	s_and_b64 s[28:29], s[28:29], s[30:31]
	s_xor_b64 s[30:31], s[28:29], -1
                                        ; implicit-def: $vgpr68
	s_and_saveexec_b64 s[48:49], s[30:31]
	s_xor_b64 s[30:31], exec, s[48:49]
; %bb.255:                              ;   in Loop: Header=BB78_2 Depth=1
	ds_read_u8 v68, v70 offset:1
; %bb.256:                              ;   in Loop: Header=BB78_2 Depth=1
	s_or_saveexec_b64 s[30:31], s[30:31]
	v_mov_b32_e32 v71, v67
	s_xor_b64 exec, exec, s[30:31]
	s_cbranch_execz .LBB78_258
; %bb.257:                              ;   in Loop: Header=BB78_2 Depth=1
	ds_read_u8 v71, v69 offset:1
	s_waitcnt lgkmcnt(1)
	v_mov_b32_e32 v68, v66
.LBB78_258:                             ;   in Loop: Header=BB78_2 Depth=1
	s_or_b64 exec, exec, s[30:31]
	v_cndmask_b32_e64 v66, v66, v67, s[28:29]
	v_add_u32_e32 v67, 1, v69
	v_add_u32_e32 v72, 1, v70
	v_cndmask_b32_e64 v67, v69, v67, s[28:29]
	v_cndmask_b32_e64 v69, v72, v70, s[28:29]
	v_cndmask_b32_sdwa v64, v64, v65, vcc dst_sel:BYTE_1 dst_unused:UNUSED_PAD src0_sel:DWORD src1_sel:DWORD
	s_mov_b64 vcc, s[24:25]
	v_cndmask_b32_e64 v56, v56, v57, s[20:21]
	v_cndmask_b32_e64 v54, v54, v55, s[18:19]
	v_cmp_ge_i32_e64 s[18:19], v69, v24
	s_waitcnt lgkmcnt(0)
	v_cmp_lt_i16_sdwa s[20:21], sext(v71), sext(v68) src0_sel:BYTE_0 src1_sel:BYTE_0
	v_cndmask_b32_sdwa v60, v60, v61, vcc dst_sel:BYTE_1 dst_unused:UNUSED_PAD src0_sel:DWORD src1_sel:DWORD
	v_cmp_lt_i32_e32 vcc, v67, v25
	s_or_b64 s[18:19], s[18:19], s[20:21]
	s_and_b64 vcc, vcc, s[18:19]
	v_cndmask_b32_e64 v58, v58, v59, s[22:23]
	v_cndmask_b32_e32 v55, v68, v71, vcc
	v_lshlrev_b16_e32 v56, 8, v56
	v_cndmask_b32_e64 v62, v62, v63, s[26:27]
	v_or_b32_sdwa v54, v54, v56 dst_sel:DWORD dst_unused:UNUSED_PAD src0_sel:BYTE_0 src1_sel:DWORD
	v_or_b32_sdwa v56, v58, v60 dst_sel:WORD_1 dst_unused:UNUSED_PAD src0_sel:BYTE_0 src1_sel:DWORD
	v_lshlrev_b16_e32 v55, 8, v55
	v_or_b32_sdwa v54, v54, v56 dst_sel:DWORD dst_unused:UNUSED_PAD src0_sel:WORD_0 src1_sel:DWORD
	v_or_b32_sdwa v56, v62, v64 dst_sel:DWORD dst_unused:UNUSED_PAD src0_sel:BYTE_0 src1_sel:DWORD
	v_or_b32_sdwa v55, v66, v55 dst_sel:WORD_1 dst_unused:UNUSED_PAD src0_sel:BYTE_0 src1_sel:DWORD
	v_or_b32_sdwa v55, v56, v55 dst_sel:DWORD dst_unused:UNUSED_PAD src0_sel:WORD_0 src1_sel:DWORD
	v_mov_b32_e32 v58, v51
	s_barrier
	ds_write_b64 v1, v[54:55]
	s_waitcnt lgkmcnt(0)
	s_barrier
	s_and_saveexec_b64 s[18:19], s[16:17]
	s_cbranch_execz .LBB78_262
; %bb.259:                              ;   in Loop: Header=BB78_2 Depth=1
	s_mov_b64 s[20:21], 0
	v_mov_b32_e32 v58, v51
	v_mov_b32_e32 v54, v52
.LBB78_260:                             ;   Parent Loop BB78_2 Depth=1
                                        ; =>  This Inner Loop Header: Depth=2
	v_sub_u32_e32 v55, v54, v58
	v_lshrrev_b32_e32 v55, 1, v55
	v_add_u32_e32 v55, v55, v58
	v_xad_u32 v56, v55, -1, v53
	ds_read_i8 v57, v55
	ds_read_i8 v56, v56
	v_add_u32_e32 v59, 1, v55
	s_waitcnt lgkmcnt(0)
	v_cmp_lt_i16_e32 vcc, v56, v57
	v_cndmask_b32_e32 v54, v54, v55, vcc
	v_cndmask_b32_e32 v58, v59, v58, vcc
	v_cmp_ge_i32_e32 vcc, v58, v54
	s_or_b64 s[20:21], vcc, s[20:21]
	s_andn2_b64 exec, exec, s[20:21]
	s_cbranch_execnz .LBB78_260
; %bb.261:                              ;   in Loop: Header=BB78_2 Depth=1
	s_or_b64 exec, exec, s[20:21]
.LBB78_262:                             ;   in Loop: Header=BB78_2 Depth=1
	s_or_b64 exec, exec, s[18:19]
	v_sub_u32_e32 v59, v53, v58
	ds_read_u8 v54, v58
	ds_read_u8 v55, v59
	v_cmp_le_i32_e64 s[18:19], v50, v58
	v_cmp_gt_i32_e32 vcc, s46, v59
                                        ; implicit-def: $vgpr56
	s_waitcnt lgkmcnt(1)
	v_bfe_i32 v54, v54, 0, 8
	s_waitcnt lgkmcnt(0)
	v_bfe_i32 v55, v55, 0, 8
	v_cmp_lt_i16_e64 s[20:21], v55, v54
	s_or_b64 s[18:19], s[18:19], s[20:21]
	s_and_b64 vcc, vcc, s[18:19]
	s_xor_b64 s[18:19], vcc, -1
	s_and_saveexec_b64 s[20:21], s[18:19]
	s_xor_b64 s[18:19], exec, s[20:21]
; %bb.263:                              ;   in Loop: Header=BB78_2 Depth=1
	ds_read_u8 v56, v58 offset:1
; %bb.264:                              ;   in Loop: Header=BB78_2 Depth=1
	s_or_saveexec_b64 s[18:19], s[18:19]
	v_mov_b32_e32 v57, v55
	s_xor_b64 exec, exec, s[18:19]
	s_cbranch_execz .LBB78_266
; %bb.265:                              ;   in Loop: Header=BB78_2 Depth=1
	ds_read_u8 v57, v59 offset:1
	s_waitcnt lgkmcnt(1)
	v_mov_b32_e32 v56, v54
.LBB78_266:                             ;   in Loop: Header=BB78_2 Depth=1
	s_or_b64 exec, exec, s[18:19]
	v_add_u32_e32 v61, 1, v58
	v_add_u32_e32 v60, 1, v59
	v_cndmask_b32_e32 v61, v61, v58, vcc
	v_cndmask_b32_e32 v60, v59, v60, vcc
	v_cmp_ge_i32_e64 s[20:21], v61, v50
	s_waitcnt lgkmcnt(0)
	v_cmp_lt_i16_sdwa s[22:23], sext(v57), sext(v56) src0_sel:BYTE_0 src1_sel:BYTE_0
	v_cmp_gt_i32_e64 s[18:19], s46, v60
	s_or_b64 s[20:21], s[20:21], s[22:23]
	s_and_b64 s[18:19], s[18:19], s[20:21]
	s_xor_b64 s[20:21], s[18:19], -1
                                        ; implicit-def: $vgpr58
	s_and_saveexec_b64 s[22:23], s[20:21]
	s_xor_b64 s[20:21], exec, s[22:23]
; %bb.267:                              ;   in Loop: Header=BB78_2 Depth=1
	ds_read_u8 v58, v61 offset:1
; %bb.268:                              ;   in Loop: Header=BB78_2 Depth=1
	s_or_saveexec_b64 s[20:21], s[20:21]
	v_mov_b32_e32 v59, v57
	s_xor_b64 exec, exec, s[20:21]
	s_cbranch_execz .LBB78_270
; %bb.269:                              ;   in Loop: Header=BB78_2 Depth=1
	ds_read_u8 v59, v60 offset:1
	s_waitcnt lgkmcnt(1)
	v_mov_b32_e32 v58, v56
.LBB78_270:                             ;   in Loop: Header=BB78_2 Depth=1
	s_or_b64 exec, exec, s[20:21]
	v_add_u32_e32 v63, 1, v61
	v_add_u32_e32 v62, 1, v60
	v_cndmask_b32_e64 v63, v63, v61, s[18:19]
	v_cndmask_b32_e64 v62, v60, v62, s[18:19]
	v_cmp_ge_i32_e64 s[22:23], v63, v50
	s_waitcnt lgkmcnt(0)
	v_cmp_lt_i16_sdwa s[24:25], sext(v59), sext(v58) src0_sel:BYTE_0 src1_sel:BYTE_0
	v_cmp_gt_i32_e64 s[20:21], s46, v62
	s_or_b64 s[22:23], s[22:23], s[24:25]
	s_and_b64 s[20:21], s[20:21], s[22:23]
	s_xor_b64 s[22:23], s[20:21], -1
                                        ; implicit-def: $vgpr60
	s_and_saveexec_b64 s[24:25], s[22:23]
	s_xor_b64 s[22:23], exec, s[24:25]
; %bb.271:                              ;   in Loop: Header=BB78_2 Depth=1
	ds_read_u8 v60, v63 offset:1
; %bb.272:                              ;   in Loop: Header=BB78_2 Depth=1
	s_or_saveexec_b64 s[22:23], s[22:23]
	v_mov_b32_e32 v61, v59
	s_xor_b64 exec, exec, s[22:23]
	s_cbranch_execz .LBB78_274
; %bb.273:                              ;   in Loop: Header=BB78_2 Depth=1
	ds_read_u8 v61, v62 offset:1
	s_waitcnt lgkmcnt(1)
	v_mov_b32_e32 v60, v58
.LBB78_274:                             ;   in Loop: Header=BB78_2 Depth=1
	s_or_b64 exec, exec, s[22:23]
	v_add_u32_e32 v65, 1, v63
	v_add_u32_e32 v64, 1, v62
	v_cndmask_b32_e64 v65, v65, v63, s[20:21]
	v_cndmask_b32_e64 v64, v62, v64, s[20:21]
	v_cmp_ge_i32_e64 s[24:25], v65, v50
	s_waitcnt lgkmcnt(0)
	v_cmp_lt_i16_sdwa s[26:27], sext(v61), sext(v60) src0_sel:BYTE_0 src1_sel:BYTE_0
	v_cmp_gt_i32_e64 s[22:23], s46, v64
	s_or_b64 s[24:25], s[24:25], s[26:27]
	s_and_b64 s[22:23], s[22:23], s[24:25]
	s_xor_b64 s[24:25], s[22:23], -1
                                        ; implicit-def: $vgpr62
	s_and_saveexec_b64 s[26:27], s[24:25]
	s_xor_b64 s[24:25], exec, s[26:27]
; %bb.275:                              ;   in Loop: Header=BB78_2 Depth=1
	ds_read_u8 v62, v65 offset:1
; %bb.276:                              ;   in Loop: Header=BB78_2 Depth=1
	s_or_saveexec_b64 s[24:25], s[24:25]
	v_mov_b32_e32 v63, v61
	s_xor_b64 exec, exec, s[24:25]
	s_cbranch_execz .LBB78_278
; %bb.277:                              ;   in Loop: Header=BB78_2 Depth=1
	ds_read_u8 v63, v64 offset:1
	s_waitcnt lgkmcnt(1)
	v_mov_b32_e32 v62, v60
.LBB78_278:                             ;   in Loop: Header=BB78_2 Depth=1
	s_or_b64 exec, exec, s[24:25]
	v_add_u32_e32 v67, 1, v65
	v_add_u32_e32 v66, 1, v64
	v_cndmask_b32_e64 v67, v67, v65, s[22:23]
	v_cndmask_b32_e64 v66, v64, v66, s[22:23]
	v_cmp_ge_i32_e64 s[26:27], v67, v50
	s_waitcnt lgkmcnt(0)
	v_cmp_lt_i16_sdwa s[28:29], sext(v63), sext(v62) src0_sel:BYTE_0 src1_sel:BYTE_0
	v_cmp_gt_i32_e64 s[24:25], s46, v66
	s_or_b64 s[26:27], s[26:27], s[28:29]
	s_and_b64 s[24:25], s[24:25], s[26:27]
	s_xor_b64 s[26:27], s[24:25], -1
                                        ; implicit-def: $vgpr64
	s_and_saveexec_b64 s[28:29], s[26:27]
	s_xor_b64 s[26:27], exec, s[28:29]
; %bb.279:                              ;   in Loop: Header=BB78_2 Depth=1
	ds_read_u8 v64, v67 offset:1
; %bb.280:                              ;   in Loop: Header=BB78_2 Depth=1
	s_or_saveexec_b64 s[26:27], s[26:27]
	v_mov_b32_e32 v65, v63
	s_xor_b64 exec, exec, s[26:27]
	s_cbranch_execz .LBB78_282
; %bb.281:                              ;   in Loop: Header=BB78_2 Depth=1
	ds_read_u8 v65, v66 offset:1
	s_waitcnt lgkmcnt(1)
	v_mov_b32_e32 v64, v62
.LBB78_282:                             ;   in Loop: Header=BB78_2 Depth=1
	s_or_b64 exec, exec, s[26:27]
	v_add_u32_e32 v69, 1, v67
	v_add_u32_e32 v68, 1, v66
	v_cndmask_b32_e64 v69, v69, v67, s[24:25]
	v_cndmask_b32_e64 v68, v66, v68, s[24:25]
	v_cmp_ge_i32_e64 s[28:29], v69, v50
	s_waitcnt lgkmcnt(0)
	v_cmp_lt_i16_sdwa s[30:31], sext(v65), sext(v64) src0_sel:BYTE_0 src1_sel:BYTE_0
	v_cmp_gt_i32_e64 s[26:27], s46, v68
	s_or_b64 s[28:29], s[28:29], s[30:31]
	s_and_b64 s[26:27], s[26:27], s[28:29]
	s_xor_b64 s[28:29], s[26:27], -1
                                        ; implicit-def: $vgpr66
	s_and_saveexec_b64 s[30:31], s[28:29]
	s_xor_b64 s[28:29], exec, s[30:31]
; %bb.283:                              ;   in Loop: Header=BB78_2 Depth=1
	ds_read_u8 v66, v69 offset:1
; %bb.284:                              ;   in Loop: Header=BB78_2 Depth=1
	s_or_saveexec_b64 s[28:29], s[28:29]
	v_mov_b32_e32 v67, v65
	s_xor_b64 exec, exec, s[28:29]
	s_cbranch_execz .LBB78_286
; %bb.285:                              ;   in Loop: Header=BB78_2 Depth=1
	ds_read_u8 v67, v68 offset:1
	s_waitcnt lgkmcnt(1)
	v_mov_b32_e32 v66, v64
.LBB78_286:                             ;   in Loop: Header=BB78_2 Depth=1
	s_or_b64 exec, exec, s[28:29]
	v_add_u32_e32 v71, 1, v69
	v_add_u32_e32 v70, 1, v68
	v_cndmask_b32_e64 v71, v71, v69, s[26:27]
	v_cndmask_b32_e64 v68, v68, v70, s[26:27]
	v_cmp_ge_i32_e64 s[30:31], v71, v50
	s_waitcnt lgkmcnt(0)
	v_cmp_lt_i16_sdwa s[48:49], sext(v67), sext(v66) src0_sel:BYTE_0 src1_sel:BYTE_0
	v_cmp_gt_i32_e64 s[28:29], s46, v68
	s_or_b64 s[30:31], s[30:31], s[48:49]
	s_and_b64 s[28:29], s[28:29], s[30:31]
	s_xor_b64 s[30:31], s[28:29], -1
                                        ; implicit-def: $vgpr69
                                        ; implicit-def: $vgpr70
	s_and_saveexec_b64 s[48:49], s[30:31]
	s_xor_b64 s[30:31], exec, s[48:49]
; %bb.287:                              ;   in Loop: Header=BB78_2 Depth=1
	ds_read_u8 v69, v71 offset:1
	v_add_u32_e32 v70, 1, v71
                                        ; implicit-def: $vgpr71
; %bb.288:                              ;   in Loop: Header=BB78_2 Depth=1
	s_or_saveexec_b64 s[30:31], s[30:31]
	v_mov_b32_e32 v72, v67
	s_xor_b64 exec, exec, s[30:31]
	s_cbranch_execz .LBB78_1
; %bb.289:                              ;   in Loop: Header=BB78_2 Depth=1
	ds_read_u8 v72, v68 offset:1
	v_add_u32_e32 v68, 1, v68
	v_mov_b32_e32 v70, v71
	s_waitcnt lgkmcnt(1)
	v_mov_b32_e32 v69, v66
	s_branch .LBB78_1
.LBB78_290:
	s_add_u32 s0, s38, s33
	s_addc_u32 s1, s39, 0
	v_mov_b32_e32 v1, s1
	v_add_co_u32_e32 v0, vcc, s0, v0
	v_addc_co_u32_e32 v1, vcc, 0, v1, vcc
	global_store_byte v[0:1], v71, off
	global_store_byte v[0:1], v56, off offset:512
	global_store_byte v[0:1], v57, off offset:1024
	;; [unrolled: 1-line block ×7, first 2 shown]
	s_endpgm
	.section	.rodata,"a",@progbits
	.p2align	6, 0x0
	.amdhsa_kernel _Z16sort_keys_kernelIaLj512ELj8EN10test_utils4lessELj10EEvPKT_PS2_T2_
		.amdhsa_group_segment_fixed_size 4097
		.amdhsa_private_segment_fixed_size 0
		.amdhsa_kernarg_size 20
		.amdhsa_user_sgpr_count 6
		.amdhsa_user_sgpr_private_segment_buffer 1
		.amdhsa_user_sgpr_dispatch_ptr 0
		.amdhsa_user_sgpr_queue_ptr 0
		.amdhsa_user_sgpr_kernarg_segment_ptr 1
		.amdhsa_user_sgpr_dispatch_id 0
		.amdhsa_user_sgpr_flat_scratch_init 0
		.amdhsa_user_sgpr_private_segment_size 0
		.amdhsa_uses_dynamic_stack 0
		.amdhsa_system_sgpr_private_segment_wavefront_offset 0
		.amdhsa_system_sgpr_workgroup_id_x 1
		.amdhsa_system_sgpr_workgroup_id_y 0
		.amdhsa_system_sgpr_workgroup_id_z 0
		.amdhsa_system_sgpr_workgroup_info 0
		.amdhsa_system_vgpr_workitem_id 0
		.amdhsa_next_free_vgpr 73
		.amdhsa_next_free_sgpr 50
		.amdhsa_reserve_vcc 1
		.amdhsa_reserve_flat_scratch 0
		.amdhsa_float_round_mode_32 0
		.amdhsa_float_round_mode_16_64 0
		.amdhsa_float_denorm_mode_32 3
		.amdhsa_float_denorm_mode_16_64 3
		.amdhsa_dx10_clamp 1
		.amdhsa_ieee_mode 1
		.amdhsa_fp16_overflow 0
		.amdhsa_exception_fp_ieee_invalid_op 0
		.amdhsa_exception_fp_denorm_src 0
		.amdhsa_exception_fp_ieee_div_zero 0
		.amdhsa_exception_fp_ieee_overflow 0
		.amdhsa_exception_fp_ieee_underflow 0
		.amdhsa_exception_fp_ieee_inexact 0
		.amdhsa_exception_int_div_zero 0
	.end_amdhsa_kernel
	.section	.text._Z16sort_keys_kernelIaLj512ELj8EN10test_utils4lessELj10EEvPKT_PS2_T2_,"axG",@progbits,_Z16sort_keys_kernelIaLj512ELj8EN10test_utils4lessELj10EEvPKT_PS2_T2_,comdat
.Lfunc_end78:
	.size	_Z16sort_keys_kernelIaLj512ELj8EN10test_utils4lessELj10EEvPKT_PS2_T2_, .Lfunc_end78-_Z16sort_keys_kernelIaLj512ELj8EN10test_utils4lessELj10EEvPKT_PS2_T2_
                                        ; -- End function
	.set _Z16sort_keys_kernelIaLj512ELj8EN10test_utils4lessELj10EEvPKT_PS2_T2_.num_vgpr, 73
	.set _Z16sort_keys_kernelIaLj512ELj8EN10test_utils4lessELj10EEvPKT_PS2_T2_.num_agpr, 0
	.set _Z16sort_keys_kernelIaLj512ELj8EN10test_utils4lessELj10EEvPKT_PS2_T2_.numbered_sgpr, 50
	.set _Z16sort_keys_kernelIaLj512ELj8EN10test_utils4lessELj10EEvPKT_PS2_T2_.num_named_barrier, 0
	.set _Z16sort_keys_kernelIaLj512ELj8EN10test_utils4lessELj10EEvPKT_PS2_T2_.private_seg_size, 0
	.set _Z16sort_keys_kernelIaLj512ELj8EN10test_utils4lessELj10EEvPKT_PS2_T2_.uses_vcc, 1
	.set _Z16sort_keys_kernelIaLj512ELj8EN10test_utils4lessELj10EEvPKT_PS2_T2_.uses_flat_scratch, 0
	.set _Z16sort_keys_kernelIaLj512ELj8EN10test_utils4lessELj10EEvPKT_PS2_T2_.has_dyn_sized_stack, 0
	.set _Z16sort_keys_kernelIaLj512ELj8EN10test_utils4lessELj10EEvPKT_PS2_T2_.has_recursion, 0
	.set _Z16sort_keys_kernelIaLj512ELj8EN10test_utils4lessELj10EEvPKT_PS2_T2_.has_indirect_call, 0
	.section	.AMDGPU.csdata,"",@progbits
; Kernel info:
; codeLenInByte = 12092
; TotalNumSgprs: 54
; NumVgprs: 73
; ScratchSize: 0
; MemoryBound: 0
; FloatMode: 240
; IeeeMode: 1
; LDSByteSize: 4097 bytes/workgroup (compile time only)
; SGPRBlocks: 6
; VGPRBlocks: 18
; NumSGPRsForWavesPerEU: 54
; NumVGPRsForWavesPerEU: 73
; Occupancy: 3
; WaveLimiterHint : 1
; COMPUTE_PGM_RSRC2:SCRATCH_EN: 0
; COMPUTE_PGM_RSRC2:USER_SGPR: 6
; COMPUTE_PGM_RSRC2:TRAP_HANDLER: 0
; COMPUTE_PGM_RSRC2:TGID_X_EN: 1
; COMPUTE_PGM_RSRC2:TGID_Y_EN: 0
; COMPUTE_PGM_RSRC2:TGID_Z_EN: 0
; COMPUTE_PGM_RSRC2:TIDIG_COMP_CNT: 0
	.section	.text._Z17sort_pairs_kernelIaLj512ELj8EN10test_utils4lessELj10EEvPKT_PS2_T2_,"axG",@progbits,_Z17sort_pairs_kernelIaLj512ELj8EN10test_utils4lessELj10EEvPKT_PS2_T2_,comdat
	.protected	_Z17sort_pairs_kernelIaLj512ELj8EN10test_utils4lessELj10EEvPKT_PS2_T2_ ; -- Begin function _Z17sort_pairs_kernelIaLj512ELj8EN10test_utils4lessELj10EEvPKT_PS2_T2_
	.globl	_Z17sort_pairs_kernelIaLj512ELj8EN10test_utils4lessELj10EEvPKT_PS2_T2_
	.p2align	8
	.type	_Z17sort_pairs_kernelIaLj512ELj8EN10test_utils4lessELj10EEvPKT_PS2_T2_,@function
_Z17sort_pairs_kernelIaLj512ELj8EN10test_utils4lessELj10EEvPKT_PS2_T2_: ; @_Z17sort_pairs_kernelIaLj512ELj8EN10test_utils4lessELj10EEvPKT_PS2_T2_
; %bb.0:
	s_load_dwordx4 s[0:3], s[4:5], 0x0
	s_lshl_b32 s4, s6, 12
                                        ; implicit-def: $vgpr94 : SGPR spill to VGPR lane
	v_lshlrev_b32_e32 v5, 3, v0
	v_writelane_b32 v94, s4, 0
	v_and_b32_e32 v6, 0xff0, v5
	s_waitcnt lgkmcnt(0)
	s_add_u32 s0, s0, s4
	v_writelane_b32 v94, s0, 1
	v_writelane_b32 v94, s1, 2
	;; [unrolled: 1-line block ×4, first 2 shown]
	s_addc_u32 s1, s1, 0
	s_nop 0
	global_load_ubyte v1, v0, s[0:1]
	global_load_ubyte v2, v0, s[0:1] offset:1024
	global_load_ubyte v3, v0, s[0:1] offset:2048
	;; [unrolled: 1-line block ×7, first 2 shown]
	s_mov_b32 s92, 0xc0c0004
	v_and_b32_e32 v7, 0xfe0, v5
	v_or_b32_e32 v14, 8, v6
	v_add_u32_e32 v15, 16, v6
	s_movk_i32 s0, 0x100
	v_and_b32_e32 v34, 8, v5
	v_and_b32_e32 v8, 0xfc0, v5
	v_or_b32_e32 v16, 16, v7
	v_add_u32_e32 v17, 32, v7
	v_sub_u32_e32 v36, v15, v14
	v_and_b32_e32 v35, 24, v5
	v_and_b32_e32 v9, 0xf80, v5
	v_or_b32_e32 v18, 32, v8
	v_add_u32_e32 v19, 64, v8
	v_sub_u32_e32 v37, v17, v16
	v_sub_u32_e32 v43, v34, v36
	v_cmp_ge_i32_e32 vcc, v34, v36
	v_and_b32_e32 v38, 56, v5
	v_and_b32_e32 v10, 0xf00, v5
	v_or_b32_e32 v20, 64, v9
	v_add_u32_e32 v21, 0x80, v9
	v_sub_u32_e32 v39, v19, v18
	v_sub_u32_e32 v46, v35, v37
	v_and_b32_e32 v41, 0x78, v5
	v_and_b32_e32 v11, 0xe00, v5
	v_or_b32_e32 v22, 0x80, v10
	v_add_u32_e32 v23, 0x100, v10
	v_sub_u32_e32 v40, v21, v20
	v_sub_u32_e32 v49, v38, v39
	;; [unrolled: 6-line block ×4, first 2 shown]
	v_and_b32_e32 v50, 0x3f8, v5
	v_or_b32_e32 v28, 0x400, v13
	v_add_u32_e32 v29, 0x800, v13
	v_sub_u32_e32 v48, v27, v26
	v_sub_u32_e32 v55, v47, v45
	v_and_b32_e32 v53, 0x7f8, v5
	v_sub_u32_e32 v51, v29, v28
	v_sub_u32_e32 v56, v50, v48
	v_sub_u32_e32 v57, v53, v51
	s_mov_b32 s93, 0
	s_movk_i32 s94, 0xff
	s_mov_b32 s95, 0x7060405
	s_mov_b32 s33, 0xc0c0001
	;; [unrolled: 1-line block ×5, first 2 shown]
	s_movk_i32 s3, 0x1000
	s_waitcnt vmcnt(7)
	v_add_u16_e32 v58, 1, v1
	s_waitcnt vmcnt(6)
	v_add_u16_e32 v59, 1, v2
	;; [unrolled: 2-line block ×4, first 2 shown]
	s_waitcnt vmcnt(3)
	v_lshlrev_b16_e32 v65, 8, v30
	s_waitcnt vmcnt(2)
	v_lshlrev_b16_e32 v64, 8, v31
	;; [unrolled: 2-line block ×4, first 2 shown]
	v_perm_b32 v1, v1, v33, s92
	v_perm_b32 v2, v2, v32, s92
	;; [unrolled: 1-line block ×4, first 2 shown]
	v_or_b32_sdwa v31, v62, v58 dst_sel:DWORD dst_unused:UNUSED_PAD src0_sel:DWORD src1_sel:BYTE_0
	v_or_b32_sdwa v32, v63, v59 dst_sel:DWORD dst_unused:UNUSED_PAD src0_sel:DWORD src1_sel:BYTE_0
	;; [unrolled: 1-line block ×4, first 2 shown]
	v_lshl_or_b32 v4, v2, 16, v1
	v_lshl_or_b32 v3, v30, 16, v3
	v_add_u16_e32 v1, 0x100, v31
	v_add_u16_sdwa v2, v32, s0 dst_sel:WORD_1 dst_unused:UNUSED_PAD src0_sel:DWORD src1_sel:DWORD
	v_add_u16_e32 v30, 0x100, v33
	v_add_u16_sdwa v31, v58, s0 dst_sel:WORD_1 dst_unused:UNUSED_PAD src0_sel:DWORD src1_sel:DWORD
	v_or_b32_e32 v1, v1, v2
	v_or_b32_e32 v2, v30, v31
	v_cndmask_b32_e32 v30, 0, v43, vcc
	v_sub_u32_e32 v31, v14, v6
	v_cmp_ge_i32_e32 vcc, v35, v37
	v_min_i32_e32 v31, v34, v31
	v_cndmask_b32_e32 v33, 0, v46, vcc
	v_cmp_ge_i32_e32 vcc, v38, v39
	v_cmp_lt_i32_e64 s[0:1], v30, v31
	v_add_u32_e32 v32, v14, v34
	v_sub_u32_e32 v34, v16, v7
	v_cndmask_b32_e32 v36, 0, v49, vcc
	v_cmp_ge_i32_e32 vcc, v41, v40
	v_writelane_b32 v94, s0, 5
	v_min_i32_e32 v34, v35, v34
	v_cndmask_b32_e32 v39, 0, v52, vcc
	v_cmp_ge_i32_e32 vcc, v44, v42
	v_writelane_b32 v94, s1, 6
	v_cmp_lt_i32_e64 s[0:1], v33, v34
	v_sub_u32_e32 v37, v18, v8
	v_cndmask_b32_e32 v42, 0, v54, vcc
	v_cmp_ge_i32_e32 vcc, v47, v45
	v_writelane_b32 v94, s0, 7
	v_min_i32_e32 v37, v38, v37
	v_cndmask_b32_e32 v45, 0, v55, vcc
	v_cmp_ge_i32_e32 vcc, v50, v48
	v_writelane_b32 v94, s1, 8
	v_cmp_lt_i32_e64 s[0:1], v36, v37
	v_sub_u32_e32 v40, v20, v9
	v_sub_u32_e32 v43, v22, v10
	;; [unrolled: 1-line block ×3, first 2 shown]
	v_cndmask_b32_e32 v48, 0, v56, vcc
	v_sub_u32_e32 v49, v26, v12
	v_cmp_ge_i32_e32 vcc, v53, v51
	v_sub_u32_e32 v52, v28, v13
	v_mov_b32_e32 v54, 0x800
	v_writelane_b32 v94, s0, 9
	v_min_i32_e32 v40, v41, v40
	v_min_i32_e32 v43, v44, v43
	;; [unrolled: 1-line block ×4, first 2 shown]
	v_cndmask_b32_e32 v51, 0, v57, vcc
	v_min_i32_e32 v52, v53, v52
	v_sub_u32_e64 v55, v5, v54 clamp
	v_min_i32_e32 v56, 0x800, v5
	v_add_u32_e32 v35, v16, v35
	v_writelane_b32 v94, s1, 10
	v_add_u32_e32 v38, v18, v38
	v_cmp_lt_i32_e64 s[6:7], v39, v40
	v_add_u32_e32 v41, v20, v41
	v_cmp_lt_i32_e64 s[8:9], v42, v43
	;; [unrolled: 2-line block ×6, first 2 shown]
	s_mov_b32 s0, 0x7050604
	s_mov_b32 s1, 0x3020107
	v_add_u32_e32 v57, 0x800, v5
	s_branch .LBB79_2
.LBB79_1:                               ;   in Loop: Header=BB79_2 Depth=1
	s_or_b64 exec, exec, s[30:31]
	v_cndmask_b32_e32 v64, v64, v65, vcc
	v_cndmask_b32_e64 v65, v66, v67, s[18:19]
	v_cndmask_b32_e64 v68, v69, v68, s[18:19]
	v_cmp_ge_i32_e64 s[18:19], v90, v54
	s_waitcnt lgkmcnt(0)
	v_cmp_lt_i16_sdwa s[4:5], sext(v93), sext(v91) src0_sel:BYTE_0 src1_sel:BYTE_0
	v_cndmask_b32_e32 v63, v62, v63, vcc
	v_cmp_gt_i32_e32 vcc, s3, v88
	s_or_b64 s[4:5], s[18:19], s[4:5]
	s_and_b64 vcc, vcc, s[4:5]
	v_perm_b32 v59, v59, v60, s92
	v_perm_b32 v58, v61, v58, s92
	;; [unrolled: 1-line block ×4, first 2 shown]
	v_cndmask_b32_e64 v67, v74, v75, s[22:23]
	v_cndmask_b32_e64 v72, v73, v72, s[20:21]
	v_cndmask_b32_e32 v69, v90, v88, vcc
	v_lshl_or_b32 v59, v58, 16, v59
	v_lshl_or_b32 v58, v2, 16, v1
	v_cndmask_b32_e64 v66, v70, v71, s[20:21]
	v_cndmask_b32_e64 v70, v78, v79, s[24:25]
	;; [unrolled: 1-line block ×5, first 2 shown]
	s_barrier
	ds_write_b64 v5, v[58:59]
	s_waitcnt lgkmcnt(0)
	s_barrier
	ds_read_u8 v58, v63
	ds_read_u8 v59, v89
	ds_read_u8 v60, v69
	ds_read_u8 v61, v68
	ds_read_u8 v63, v72
	ds_read_u8 v68, v76
	ds_read_u8 v69, v78
	ds_read_u8 v72, v75
	v_lshlrev_b16_e32 v1, 8, v65
	v_lshlrev_b16_e32 v2, 8, v67
	v_cndmask_b32_e64 v71, v82, v83, s[26:27]
	v_cndmask_b32_e32 v62, v91, v93, vcc
	v_or_b32_sdwa v1, v64, v1 dst_sel:DWORD dst_unused:UNUSED_PAD src0_sel:BYTE_0 src1_sel:DWORD
	v_or_b32_sdwa v2, v66, v2 dst_sel:WORD_1 dst_unused:UNUSED_PAD src0_sel:BYTE_0 src1_sel:DWORD
	v_cndmask_b32_e64 v74, v86, v87, s[28:29]
	v_or_b32_sdwa v4, v1, v2 dst_sel:DWORD dst_unused:UNUSED_PAD src0_sel:WORD_0 src1_sel:DWORD
	v_lshlrev_b16_e32 v1, 8, v71
	v_lshlrev_b16_e32 v2, 8, v62
	v_or_b32_sdwa v1, v70, v1 dst_sel:DWORD dst_unused:UNUSED_PAD src0_sel:BYTE_0 src1_sel:DWORD
	v_or_b32_sdwa v2, v74, v2 dst_sel:WORD_1 dst_unused:UNUSED_PAD src0_sel:BYTE_0 src1_sel:DWORD
	v_or_b32_sdwa v3, v1, v2 dst_sel:DWORD dst_unused:UNUSED_PAD src0_sel:WORD_0 src1_sel:DWORD
	s_waitcnt lgkmcnt(4)
	v_perm_b32 v1, v58, v61, s92
	s_waitcnt lgkmcnt(2)
	v_perm_b32 v2, v63, v68, s92
	s_add_i32 s93, s93, 1
	v_lshl_or_b32 v1, v2, 16, v1
	s_waitcnt lgkmcnt(0)
	v_perm_b32 v2, v69, v72, s92
	v_perm_b32 v73, v59, v60, s92
	s_cmp_eq_u32 s93, 10
	v_lshl_or_b32 v2, v73, 16, v2
	s_cbranch_scc1 .LBB79_290
.LBB79_2:                               ; =>This Loop Header: Depth=1
                                        ;     Child Loop BB79_4 Depth 2
                                        ;     Child Loop BB79_36 Depth 2
	;; [unrolled: 1-line block ×9, first 2 shown]
	v_lshrrev_b32_e32 v59, 8, v4
	v_perm_b32 v58, v4, v4, s95
	v_cmp_lt_i16_sdwa s[18:19], sext(v59), sext(v4) src0_sel:BYTE_0 src1_sel:BYTE_0
	v_cndmask_b32_e64 v4, v4, v58, s[18:19]
	v_lshrrev_b32_e32 v58, 16, v4
	v_perm_b32 v59, 0, v58, s33
	v_lshrrev_b32_e32 v60, 24, v4
	v_lshlrev_b32_e32 v59, 16, v59
	v_and_or_b32 v59, v4, s90, v59
	v_cmp_lt_i16_sdwa s[20:21], sext(v60), sext(v58) src0_sel:BYTE_0 src1_sel:BYTE_0
	v_cndmask_b32_e64 v4, v4, v59, s[20:21]
	v_lshrrev_b32_e32 v59, 8, v3
	v_perm_b32 v58, v3, v3, s95
	v_cmp_lt_i16_sdwa s[22:23], sext(v59), sext(v3) src0_sel:BYTE_0 src1_sel:BYTE_0
	v_cndmask_b32_e64 v3, v3, v58, s[22:23]
	v_lshrrev_b32_e32 v58, 24, v3
	v_lshrrev_b32_e32 v59, 16, v3
	v_perm_b32 v60, v3, v3, s91
	v_cmp_lt_i16_sdwa s[24:25], sext(v58), sext(v59) src0_sel:BYTE_0 src1_sel:BYTE_0
	v_lshrrev_b32_e32 v58, 16, v4
	v_lshrrev_b32_e32 v59, 8, v4
	v_cndmask_b32_e64 v3, v3, v60, s[24:25]
	v_perm_b32 v60, v4, v4, s0
	v_cmp_lt_i16_sdwa s[26:27], sext(v58), sext(v59) src0_sel:BYTE_0 src1_sel:BYTE_0
	v_cndmask_b32_e64 v4, v4, v60, s[26:27]
	v_and_b32_sdwa v59, v4, s94 dst_sel:DWORD dst_unused:UNUSED_PAD src0_sel:WORD_1 src1_sel:DWORD
	v_lshlrev_b16_e32 v60, 8, v3
	v_or_b32_sdwa v59, v59, v60 dst_sel:WORD_1 dst_unused:UNUSED_PAD src0_sel:DWORD src1_sel:DWORD
	v_lshrrev_b32_e32 v60, 24, v4
	v_perm_b32 v58, v4, v3, s1
	v_cmp_lt_i16_sdwa s[28:29], sext(v3), sext(v60) src0_sel:BYTE_0 src1_sel:BYTE_0
	v_and_or_b32 v59, v4, s90, v59
	v_cndmask_b32_e64 v3, v3, v58, s[28:29]
	v_cndmask_b32_e64 v4, v4, v59, s[28:29]
	v_lshrrev_b32_e32 v58, 16, v3
	v_lshrrev_b32_e32 v59, 8, v3
	v_cmp_lt_i16_sdwa s[30:31], sext(v58), sext(v59) src0_sel:BYTE_0 src1_sel:BYTE_0
	v_perm_b32 v58, 0, v4, s33
	v_lshrrev_b32_e32 v59, 8, v4
	v_and_or_b32 v58, v4, s2, v58
	v_cmp_lt_i16_sdwa s[34:35], sext(v59), sext(v4) src0_sel:BYTE_0 src1_sel:BYTE_0
	v_cndmask_b32_e64 v4, v4, v58, s[34:35]
	v_lshrrev_b32_e32 v58, 16, v4
	v_perm_b32 v60, v3, v3, s0
	v_perm_b32 v59, 0, v58, s33
	v_cndmask_b32_e64 v3, v3, v60, s[30:31]
	v_lshrrev_b32_e32 v60, 24, v4
	v_lshlrev_b32_e32 v59, 16, v59
	v_and_or_b32 v59, v4, s90, v59
	v_cmp_lt_i16_sdwa s[36:37], sext(v60), sext(v58) src0_sel:BYTE_0 src1_sel:BYTE_0
	v_cndmask_b32_e64 v4, v4, v59, s[36:37]
	v_lshrrev_b32_e32 v59, 8, v3
	v_perm_b32 v58, v3, v3, s95
	v_cmp_lt_i16_sdwa s[38:39], sext(v59), sext(v3) src0_sel:BYTE_0 src1_sel:BYTE_0
	v_cndmask_b32_e64 v3, v3, v58, s[38:39]
	v_lshrrev_b32_e32 v58, 24, v3
	v_lshrrev_b32_e32 v59, 16, v3
	v_perm_b32 v60, v3, v3, s91
	v_cmp_lt_i16_sdwa s[40:41], sext(v58), sext(v59) src0_sel:BYTE_0 src1_sel:BYTE_0
	v_lshrrev_b32_e32 v58, 16, v4
	v_lshrrev_b32_e32 v59, 8, v4
	v_cndmask_b32_e64 v3, v3, v60, s[40:41]
	v_perm_b32 v60, v4, v4, s0
	v_cmp_lt_i16_sdwa s[42:43], sext(v58), sext(v59) src0_sel:BYTE_0 src1_sel:BYTE_0
	v_cndmask_b32_e64 v4, v4, v60, s[42:43]
	v_and_b32_sdwa v59, v4, s94 dst_sel:DWORD dst_unused:UNUSED_PAD src0_sel:WORD_1 src1_sel:DWORD
	v_lshlrev_b16_e32 v60, 8, v3
	v_or_b32_sdwa v59, v59, v60 dst_sel:WORD_1 dst_unused:UNUSED_PAD src0_sel:DWORD src1_sel:DWORD
	v_lshrrev_b32_e32 v60, 24, v4
	v_perm_b32 v58, v4, v3, s1
	v_cmp_lt_i16_sdwa s[44:45], sext(v3), sext(v60) src0_sel:BYTE_0 src1_sel:BYTE_0
	v_and_or_b32 v59, v4, s90, v59
	v_cndmask_b32_e64 v3, v3, v58, s[44:45]
	v_cndmask_b32_e64 v4, v4, v59, s[44:45]
	v_lshrrev_b32_e32 v58, 16, v3
	v_lshrrev_b32_e32 v59, 8, v3
	v_cmp_lt_i16_sdwa s[46:47], sext(v58), sext(v59) src0_sel:BYTE_0 src1_sel:BYTE_0
	v_perm_b32 v58, 0, v4, s33
	v_lshrrev_b32_e32 v59, 8, v4
	v_and_or_b32 v58, v4, s2, v58
	v_cmp_lt_i16_sdwa s[48:49], sext(v59), sext(v4) src0_sel:BYTE_0 src1_sel:BYTE_0
	v_cndmask_b32_e64 v4, v4, v58, s[48:49]
	v_lshrrev_b32_e32 v58, 16, v4
	v_perm_b32 v60, v3, v3, s0
	v_perm_b32 v59, 0, v58, s33
	v_cndmask_b32_e64 v3, v3, v60, s[46:47]
	;; [unrolled: 40-line block ×3, first 2 shown]
	v_lshrrev_b32_e32 v60, 24, v4
	v_lshlrev_b32_e32 v59, 16, v59
	v_and_or_b32 v59, v4, s90, v59
	v_cmp_lt_i16_sdwa s[64:65], sext(v60), sext(v58) src0_sel:BYTE_0 src1_sel:BYTE_0
	v_cndmask_b32_e64 v4, v4, v59, s[64:65]
	v_lshrrev_b32_e32 v59, 8, v3
	v_perm_b32 v58, v3, v3, s95
	v_cmp_lt_i16_sdwa s[66:67], sext(v59), sext(v3) src0_sel:BYTE_0 src1_sel:BYTE_0
	v_cndmask_b32_e64 v3, v3, v58, s[66:67]
	v_lshrrev_b32_e32 v58, 24, v3
	v_lshrrev_b32_e32 v59, 16, v3
	v_perm_b32 v60, v3, v3, s91
	v_cmp_lt_i16_sdwa s[68:69], sext(v58), sext(v59) src0_sel:BYTE_0 src1_sel:BYTE_0
	v_cndmask_b32_e64 v58, v3, v60, s[68:69]
	v_lshrrev_b32_e32 v3, 16, v4
	v_lshrrev_b32_e32 v59, 8, v4
	v_perm_b32 v60, v4, v4, s0
	v_cmp_lt_i16_sdwa s[70:71], sext(v3), sext(v59) src0_sel:BYTE_0 src1_sel:BYTE_0
	v_cndmask_b32_e64 v3, v4, v60, s[70:71]
	v_and_b32_sdwa v59, v3, s94 dst_sel:DWORD dst_unused:UNUSED_PAD src0_sel:WORD_1 src1_sel:DWORD
	v_lshlrev_b16_e32 v60, 8, v58
	v_or_b32_sdwa v59, v59, v60 dst_sel:WORD_1 dst_unused:UNUSED_PAD src0_sel:DWORD src1_sel:DWORD
	v_lshrrev_b32_e32 v60, 24, v3
	v_perm_b32 v4, v3, v58, s1
	v_cmp_lt_i16_sdwa s[72:73], sext(v58), sext(v60) src0_sel:BYTE_0 src1_sel:BYTE_0
	v_and_or_b32 v59, v3, s90, v59
	v_cndmask_b32_e64 v4, v58, v4, s[72:73]
	v_cndmask_b32_e64 v3, v3, v59, s[72:73]
	v_lshrrev_b32_e32 v58, 16, v4
	v_lshrrev_b32_e32 v59, 8, v4
	v_perm_b32 v60, v4, v4, s0
	v_cmp_lt_i16_sdwa s[74:75], sext(v58), sext(v59) src0_sel:BYTE_0 src1_sel:BYTE_0
	v_readlane_b32 s4, v94, 5
	v_cndmask_b32_e64 v4, v4, v60, s[74:75]
	v_mov_b32_e32 v63, v30
	v_readlane_b32 s5, v94, 6
	s_barrier
	ds_write_b64 v5, v[3:4]
	s_waitcnt lgkmcnt(0)
	s_barrier
	s_and_saveexec_b64 s[76:77], s[4:5]
	s_cbranch_execz .LBB79_6
; %bb.3:                                ;   in Loop: Header=BB79_2 Depth=1
	s_mov_b64 s[78:79], 0
	v_mov_b32_e32 v63, v30
	v_mov_b32_e32 v3, v31
.LBB79_4:                               ;   Parent Loop BB79_2 Depth=1
                                        ; =>  This Inner Loop Header: Depth=2
	v_sub_u32_e32 v4, v3, v63
	v_lshrrev_b32_e32 v4, 1, v4
	v_add_u32_e32 v4, v4, v63
	v_add_u32_e32 v58, v6, v4
	v_xad_u32 v59, v4, -1, v32
	ds_read_i8 v58, v58
	ds_read_i8 v59, v59
	v_add_u32_e32 v60, 1, v4
	s_waitcnt lgkmcnt(0)
	v_cmp_lt_i16_e32 vcc, v59, v58
	v_cndmask_b32_e32 v3, v3, v4, vcc
	v_cndmask_b32_e32 v63, v60, v63, vcc
	v_cmp_ge_i32_e32 vcc, v63, v3
	s_or_b64 s[78:79], vcc, s[78:79]
	s_andn2_b64 exec, exec, s[78:79]
	s_cbranch_execnz .LBB79_4
; %bb.5:                                ;   in Loop: Header=BB79_2 Depth=1
	s_or_b64 exec, exec, s[78:79]
.LBB79_6:                               ;   in Loop: Header=BB79_2 Depth=1
	s_or_b64 exec, exec, s[76:77]
	v_add_u32_e32 v62, v63, v6
	v_sub_u32_e32 v63, v32, v63
	ds_read_u8 v64, v62
	ds_read_u8 v65, v63
	v_cmp_le_i32_e64 s[76:77], v14, v62
	v_cmp_gt_i32_e32 vcc, v15, v63
	v_lshrrev_b64 v[3:4], 24, v[1:2]
	s_waitcnt lgkmcnt(1)
	v_bfe_i32 v64, v64, 0, 8
	s_waitcnt lgkmcnt(0)
	v_bfe_i32 v65, v65, 0, 8
	v_cmp_lt_i16_e64 s[78:79], v65, v64
	s_or_b64 s[76:77], s[76:77], s[78:79]
	s_and_b64 s[76:77], vcc, s[76:77]
	v_lshrrev_b32_e32 v58, 8, v2
	v_lshrrev_b32_e32 v59, 16, v2
	v_lshrrev_b32_e32 v61, 24, v2
	v_lshrrev_b32_e32 v60, 16, v1
	v_lshrrev_b32_e32 v4, 8, v1
	s_xor_b64 s[78:79], s[76:77], -1
                                        ; implicit-def: $vgpr66
	s_and_saveexec_b64 s[80:81], s[78:79]
	s_xor_b64 s[78:79], exec, s[80:81]
; %bb.7:                                ;   in Loop: Header=BB79_2 Depth=1
	ds_read_u8 v66, v62 offset:1
; %bb.8:                                ;   in Loop: Header=BB79_2 Depth=1
	s_or_saveexec_b64 s[78:79], s[78:79]
	v_mov_b32_e32 v67, v65
	s_xor_b64 exec, exec, s[78:79]
	s_cbranch_execz .LBB79_10
; %bb.9:                                ;   in Loop: Header=BB79_2 Depth=1
	ds_read_u8 v67, v63 offset:1
	s_waitcnt lgkmcnt(1)
	v_mov_b32_e32 v66, v64
.LBB79_10:                              ;   in Loop: Header=BB79_2 Depth=1
	s_or_b64 exec, exec, s[78:79]
	v_add_u32_e32 v69, 1, v62
	v_add_u32_e32 v68, 1, v63
	v_cndmask_b32_e64 v69, v69, v62, s[76:77]
	v_cndmask_b32_e64 v68, v63, v68, s[76:77]
	v_cmp_ge_i32_e64 s[78:79], v69, v14
	s_waitcnt lgkmcnt(0)
	v_cmp_lt_i16_sdwa s[80:81], sext(v67), sext(v66) src0_sel:BYTE_0 src1_sel:BYTE_0
	v_cmp_lt_i32_e32 vcc, v68, v15
	s_or_b64 s[78:79], s[78:79], s[80:81]
	s_and_b64 s[78:79], vcc, s[78:79]
	s_xor_b64 s[80:81], s[78:79], -1
                                        ; implicit-def: $vgpr70
	s_and_saveexec_b64 s[82:83], s[80:81]
	s_xor_b64 s[80:81], exec, s[82:83]
; %bb.11:                               ;   in Loop: Header=BB79_2 Depth=1
	ds_read_u8 v70, v69 offset:1
; %bb.12:                               ;   in Loop: Header=BB79_2 Depth=1
	s_or_saveexec_b64 s[80:81], s[80:81]
	v_mov_b32_e32 v71, v67
	s_xor_b64 exec, exec, s[80:81]
	s_cbranch_execz .LBB79_14
; %bb.13:                               ;   in Loop: Header=BB79_2 Depth=1
	ds_read_u8 v71, v68 offset:1
	s_waitcnt lgkmcnt(1)
	v_mov_b32_e32 v70, v66
.LBB79_14:                              ;   in Loop: Header=BB79_2 Depth=1
	s_or_b64 exec, exec, s[80:81]
	v_add_u32_e32 v73, 1, v69
	v_add_u32_e32 v72, 1, v68
	v_cndmask_b32_e64 v73, v73, v69, s[78:79]
	v_cndmask_b32_e64 v72, v68, v72, s[78:79]
	v_cmp_ge_i32_e64 s[80:81], v73, v14
	s_waitcnt lgkmcnt(0)
	v_cmp_lt_i16_sdwa s[82:83], sext(v71), sext(v70) src0_sel:BYTE_0 src1_sel:BYTE_0
	v_cmp_lt_i32_e32 vcc, v72, v15
	s_or_b64 s[80:81], s[80:81], s[82:83]
	s_and_b64 s[80:81], vcc, s[80:81]
	s_xor_b64 s[82:83], s[80:81], -1
                                        ; implicit-def: $vgpr74
	s_and_saveexec_b64 s[84:85], s[82:83]
	s_xor_b64 s[82:83], exec, s[84:85]
; %bb.15:                               ;   in Loop: Header=BB79_2 Depth=1
	ds_read_u8 v74, v73 offset:1
; %bb.16:                               ;   in Loop: Header=BB79_2 Depth=1
	s_or_saveexec_b64 s[82:83], s[82:83]
	v_mov_b32_e32 v75, v71
	s_xor_b64 exec, exec, s[82:83]
	s_cbranch_execz .LBB79_18
; %bb.17:                               ;   in Loop: Header=BB79_2 Depth=1
	ds_read_u8 v75, v72 offset:1
	s_waitcnt lgkmcnt(1)
	v_mov_b32_e32 v74, v70
.LBB79_18:                              ;   in Loop: Header=BB79_2 Depth=1
	s_or_b64 exec, exec, s[82:83]
	v_add_u32_e32 v77, 1, v73
	v_add_u32_e32 v76, 1, v72
	v_cndmask_b32_e64 v77, v77, v73, s[80:81]
	v_cndmask_b32_e64 v76, v72, v76, s[80:81]
	v_cmp_ge_i32_e64 s[82:83], v77, v14
	s_waitcnt lgkmcnt(0)
	v_cmp_lt_i16_sdwa s[84:85], sext(v75), sext(v74) src0_sel:BYTE_0 src1_sel:BYTE_0
	v_cmp_lt_i32_e32 vcc, v76, v15
	s_or_b64 s[82:83], s[82:83], s[84:85]
	s_and_b64 s[82:83], vcc, s[82:83]
	s_xor_b64 s[84:85], s[82:83], -1
                                        ; implicit-def: $vgpr78
	s_and_saveexec_b64 s[86:87], s[84:85]
	s_xor_b64 s[84:85], exec, s[86:87]
; %bb.19:                               ;   in Loop: Header=BB79_2 Depth=1
	ds_read_u8 v78, v77 offset:1
; %bb.20:                               ;   in Loop: Header=BB79_2 Depth=1
	s_or_saveexec_b64 s[84:85], s[84:85]
	v_mov_b32_e32 v80, v75
	s_xor_b64 exec, exec, s[84:85]
	s_cbranch_execz .LBB79_22
; %bb.21:                               ;   in Loop: Header=BB79_2 Depth=1
	ds_read_u8 v80, v76 offset:1
	s_waitcnt lgkmcnt(1)
	v_mov_b32_e32 v78, v74
.LBB79_22:                              ;   in Loop: Header=BB79_2 Depth=1
	s_or_b64 exec, exec, s[84:85]
	v_add_u32_e32 v81, 1, v77
	v_add_u32_e32 v79, 1, v76
	v_cndmask_b32_e64 v83, v81, v77, s[82:83]
	v_cndmask_b32_e64 v82, v76, v79, s[82:83]
	v_cmp_ge_i32_e64 s[84:85], v83, v14
	s_waitcnt lgkmcnt(0)
	v_cmp_lt_i16_sdwa s[86:87], sext(v80), sext(v78) src0_sel:BYTE_0 src1_sel:BYTE_0
	v_cmp_lt_i32_e32 vcc, v82, v15
	s_or_b64 s[84:85], s[84:85], s[86:87]
	s_and_b64 s[84:85], vcc, s[84:85]
	s_xor_b64 s[86:87], s[84:85], -1
                                        ; implicit-def: $vgpr84
	s_and_saveexec_b64 s[88:89], s[86:87]
	s_xor_b64 s[86:87], exec, s[88:89]
; %bb.23:                               ;   in Loop: Header=BB79_2 Depth=1
	ds_read_u8 v84, v83 offset:1
; %bb.24:                               ;   in Loop: Header=BB79_2 Depth=1
	s_or_saveexec_b64 s[86:87], s[86:87]
	v_mov_b32_e32 v85, v80
	s_xor_b64 exec, exec, s[86:87]
	s_cbranch_execz .LBB79_26
; %bb.25:                               ;   in Loop: Header=BB79_2 Depth=1
	ds_read_u8 v85, v82 offset:1
	s_waitcnt lgkmcnt(1)
	v_mov_b32_e32 v84, v78
.LBB79_26:                              ;   in Loop: Header=BB79_2 Depth=1
	s_or_b64 exec, exec, s[86:87]
	v_add_u32_e32 v81, 1, v83
	v_add_u32_e32 v79, 1, v82
	v_cndmask_b32_e64 v87, v81, v83, s[84:85]
	v_cndmask_b32_e64 v86, v82, v79, s[84:85]
	v_cmp_ge_i32_e64 s[86:87], v87, v14
	s_waitcnt lgkmcnt(0)
	v_cmp_lt_i16_sdwa s[88:89], sext(v85), sext(v84) src0_sel:BYTE_0 src1_sel:BYTE_0
	v_cmp_lt_i32_e32 vcc, v86, v15
	s_or_b64 s[86:87], s[86:87], s[88:89]
	s_and_b64 vcc, vcc, s[86:87]
	s_xor_b64 s[86:87], vcc, -1
                                        ; implicit-def: $vgpr88
	s_and_saveexec_b64 s[88:89], s[86:87]
	s_xor_b64 s[86:87], exec, s[88:89]
; %bb.27:                               ;   in Loop: Header=BB79_2 Depth=1
	ds_read_u8 v88, v87 offset:1
; %bb.28:                               ;   in Loop: Header=BB79_2 Depth=1
	s_or_saveexec_b64 s[86:87], s[86:87]
	v_mov_b32_e32 v89, v85
	s_xor_b64 exec, exec, s[86:87]
	s_cbranch_execz .LBB79_30
; %bb.29:                               ;   in Loop: Header=BB79_2 Depth=1
	ds_read_u8 v89, v86 offset:1
	s_waitcnt lgkmcnt(1)
	v_mov_b32_e32 v88, v84
.LBB79_30:                              ;   in Loop: Header=BB79_2 Depth=1
	s_or_b64 exec, exec, s[86:87]
	v_add_u32_e32 v81, 1, v87
	v_add_u32_e32 v79, 1, v86
	v_cndmask_b32_e32 v91, v81, v87, vcc
	v_cndmask_b32_e32 v90, v86, v79, vcc
	v_cmp_ge_i32_e64 s[88:89], v91, v14
	s_waitcnt lgkmcnt(0)
	v_cmp_lt_i16_sdwa s[4:5], sext(v89), sext(v88) src0_sel:BYTE_0 src1_sel:BYTE_0
	v_cmp_lt_i32_e64 s[86:87], v90, v15
	s_or_b64 s[4:5], s[88:89], s[4:5]
	s_and_b64 s[86:87], s[86:87], s[4:5]
	s_xor_b64 s[4:5], s[86:87], -1
                                        ; implicit-def: $vgpr79
	s_and_saveexec_b64 s[88:89], s[4:5]
	s_xor_b64 s[88:89], exec, s[88:89]
; %bb.31:                               ;   in Loop: Header=BB79_2 Depth=1
	ds_read_u8 v79, v91 offset:1
; %bb.32:                               ;   in Loop: Header=BB79_2 Depth=1
	s_or_saveexec_b64 s[88:89], s[88:89]
	v_mov_b32_e32 v81, v89
	s_xor_b64 exec, exec, s[88:89]
	s_cbranch_execz .LBB79_34
; %bb.33:                               ;   in Loop: Header=BB79_2 Depth=1
	ds_read_u8 v81, v90 offset:1
	s_waitcnt lgkmcnt(1)
	v_mov_b32_e32 v79, v88
.LBB79_34:                              ;   in Loop: Header=BB79_2 Depth=1
	s_or_b64 exec, exec, s[88:89]
	v_perm_b32 v2, v2, v58, s92
	v_perm_b32 v58, v59, v61, s92
	v_lshl_or_b32 v2, v58, 16, v2
	v_perm_b32 v58, v4, v1, s92
	v_perm_b32 v1, v1, v4, s92
	v_perm_b32 v3, v60, v3, s92
	v_cndmask_b32_e64 v1, v1, v58, s[18:19]
	v_lshl_or_b32 v1, v3, 16, v1
	v_perm_b32 v3, 0, v3, s33
	v_lshlrev_b32_e32 v3, 16, v3
	v_and_or_b32 v3, v1, s90, v3
	v_cndmask_b32_e64 v1, v1, v3, s[20:21]
	v_perm_b32 v3, v2, v2, s95
	v_cndmask_b32_e64 v2, v2, v3, s[22:23]
	v_perm_b32 v3, v2, v2, s91
	v_cndmask_b32_e64 v2, v2, v3, s[24:25]
	v_perm_b32 v3, v1, v1, s0
	v_cndmask_b32_e64 v1, v1, v3, s[26:27]
	v_and_b32_sdwa v4, v1, s94 dst_sel:DWORD dst_unused:UNUSED_PAD src0_sel:WORD_1 src1_sel:DWORD
	v_lshlrev_b16_e32 v58, 8, v2
	v_or_b32_sdwa v4, v4, v58 dst_sel:WORD_1 dst_unused:UNUSED_PAD src0_sel:DWORD src1_sel:DWORD
	v_and_or_b32 v4, v1, s90, v4
	v_perm_b32 v3, v1, v2, s1
	v_cndmask_b32_e64 v1, v1, v4, s[28:29]
	v_perm_b32 v4, 0, v1, s33
	v_cndmask_b32_e64 v2, v2, v3, s[28:29]
	v_and_or_b32 v4, v1, s2, v4
	v_perm_b32 v3, v2, v2, s0
	v_cndmask_b32_e64 v1, v1, v4, s[34:35]
	v_cndmask_b32_e64 v2, v2, v3, s[30:31]
	v_lshrrev_b32_e32 v3, 16, v1
	v_perm_b32 v3, 0, v3, s33
	v_lshlrev_b32_e32 v3, 16, v3
	v_and_or_b32 v3, v1, s90, v3
	v_cndmask_b32_e64 v1, v1, v3, s[36:37]
	v_perm_b32 v3, v2, v2, s95
	v_cndmask_b32_e64 v2, v2, v3, s[38:39]
	v_perm_b32 v3, v2, v2, s91
	v_cndmask_b32_e64 v2, v2, v3, s[40:41]
	v_perm_b32 v3, v1, v1, s0
	v_cndmask_b32_e64 v1, v1, v3, s[42:43]
	v_and_b32_sdwa v4, v1, s94 dst_sel:DWORD dst_unused:UNUSED_PAD src0_sel:WORD_1 src1_sel:DWORD
	v_lshlrev_b16_e32 v58, 8, v2
	v_or_b32_sdwa v4, v4, v58 dst_sel:WORD_1 dst_unused:UNUSED_PAD src0_sel:DWORD src1_sel:DWORD
	v_and_or_b32 v4, v1, s90, v4
	v_perm_b32 v3, v1, v2, s1
	v_cndmask_b32_e64 v1, v1, v4, s[44:45]
	v_perm_b32 v4, 0, v1, s33
	v_cndmask_b32_e64 v2, v2, v3, s[44:45]
	v_and_or_b32 v4, v1, s2, v4
	v_perm_b32 v3, v2, v2, s0
	v_cndmask_b32_e64 v1, v1, v4, s[48:49]
	v_cndmask_b32_e64 v2, v2, v3, s[46:47]
	v_lshrrev_b32_e32 v3, 16, v1
	v_perm_b32 v3, 0, v3, s33
	v_lshlrev_b32_e32 v3, 16, v3
	v_and_or_b32 v3, v1, s90, v3
	v_cndmask_b32_e64 v1, v1, v3, s[50:51]
	v_perm_b32 v3, v2, v2, s95
	v_cndmask_b32_e64 v2, v2, v3, s[52:53]
	v_perm_b32 v3, v2, v2, s91
	v_cndmask_b32_e64 v2, v2, v3, s[54:55]
	v_perm_b32 v3, v1, v1, s0
	v_cndmask_b32_e64 v1, v1, v3, s[56:57]
	v_and_b32_sdwa v4, v1, s94 dst_sel:DWORD dst_unused:UNUSED_PAD src0_sel:WORD_1 src1_sel:DWORD
	v_lshlrev_b16_e32 v58, 8, v2
	v_or_b32_sdwa v4, v4, v58 dst_sel:WORD_1 dst_unused:UNUSED_PAD src0_sel:DWORD src1_sel:DWORD
	v_and_or_b32 v4, v1, s90, v4
	v_perm_b32 v3, v1, v2, s1
	v_cndmask_b32_e64 v1, v1, v4, s[58:59]
	v_perm_b32 v4, 0, v1, s33
	v_cndmask_b32_e64 v2, v2, v3, s[58:59]
	v_and_or_b32 v4, v1, s2, v4
	v_perm_b32 v3, v2, v2, s0
	v_cndmask_b32_e64 v1, v1, v4, s[62:63]
	v_cndmask_b32_e64 v2, v2, v3, s[60:61]
	v_lshrrev_b32_e32 v3, 16, v1
	v_perm_b32 v3, 0, v3, s33
	v_lshlrev_b32_e32 v3, 16, v3
	v_and_or_b32 v3, v1, s90, v3
	v_cndmask_b32_e64 v1, v1, v3, s[64:65]
	v_perm_b32 v3, v2, v2, s95
	v_cndmask_b32_e64 v2, v2, v3, s[66:67]
	v_perm_b32 v3, v2, v2, s91
	v_add_u32_e32 v92, 1, v91
	v_cndmask_b32_e64 v2, v2, v3, s[68:69]
	v_perm_b32 v3, v1, v1, s0
	v_cndmask_b32_e64 v88, v88, v89, s[86:87]
	v_add_u32_e32 v89, 1, v90
	v_cndmask_b32_e64 v92, v92, v91, s[86:87]
	v_cndmask_b32_e64 v1, v1, v3, s[70:71]
	;; [unrolled: 1-line block ×3, first 2 shown]
	v_perm_b32 v3, v1, v2, s1
	v_and_b32_sdwa v4, v1, s94 dst_sel:DWORD dst_unused:UNUSED_PAD src0_sel:WORD_1 src1_sel:DWORD
	v_lshlrev_b16_e32 v58, 8, v2
	v_cmp_ge_i32_e64 s[18:19], v92, v14
	s_waitcnt lgkmcnt(0)
	v_cmp_lt_i16_sdwa s[4:5], sext(v81), sext(v79) src0_sel:BYTE_0 src1_sel:BYTE_0
	v_cndmask_b32_sdwa v84, v84, v85, vcc dst_sel:BYTE_1 dst_unused:UNUSED_PAD src0_sel:DWORD src1_sel:DWORD
	v_cndmask_b32_e32 v85, v87, v86, vcc
	v_or_b32_sdwa v4, v4, v58 dst_sel:WORD_1 dst_unused:UNUSED_PAD src0_sel:DWORD src1_sel:DWORD
	v_cndmask_b32_e64 v2, v2, v3, s[72:73]
	v_cmp_lt_i32_e32 vcc, v89, v15
	s_or_b64 s[4:5], s[18:19], s[4:5]
	v_and_or_b32 v4, v1, s90, v4
	v_perm_b32 v3, v2, v2, s0
	s_and_b64 vcc, vcc, s[4:5]
	v_cndmask_b32_e64 v62, v62, v63, s[76:77]
	v_cndmask_b32_e64 v1, v1, v4, s[72:73]
	;; [unrolled: 1-line block ×3, first 2 shown]
	v_cndmask_b32_e32 v3, v92, v89, vcc
	v_cndmask_b32_e64 v90, v91, v90, s[86:87]
	v_cndmask_b32_e64 v78, v78, v80, s[84:85]
	v_cndmask_b32_e64 v80, v83, v82, s[84:85]
	v_cndmask_b32_e64 v74, v74, v75, s[82:83]
	v_cndmask_b32_e64 v75, v77, v76, s[82:83]
	v_cndmask_b32_e64 v70, v70, v71, s[80:81]
	v_cndmask_b32_e64 v71, v73, v72, s[80:81]
	v_cndmask_b32_e64 v66, v66, v67, s[78:79]
	v_cndmask_b32_e64 v67, v69, v68, s[78:79]
	s_barrier
	ds_write_b64 v5, v[1:2]
	s_waitcnt lgkmcnt(0)
	s_barrier
	ds_read_u8 v1, v62
	ds_read_u8 v58, v3
	;; [unrolled: 1-line block ×8, first 2 shown]
	v_cndmask_b32_e64 v64, v64, v65, s[76:77]
	v_lshlrev_b16_e32 v62, 8, v66
	v_cndmask_b32_e32 v63, v79, v81, vcc
	v_or_b32_sdwa v62, v64, v62 dst_sel:DWORD dst_unused:UNUSED_PAD src0_sel:BYTE_0 src1_sel:DWORD
	v_lshlrev_b16_e32 v64, 8, v74
	v_or_b32_sdwa v64, v70, v64 dst_sel:WORD_1 dst_unused:UNUSED_PAD src0_sel:BYTE_0 src1_sel:DWORD
	v_lshlrev_b16_e32 v63, 8, v63
	v_or_b32_sdwa v62, v62, v64 dst_sel:DWORD dst_unused:UNUSED_PAD src0_sel:WORD_0 src1_sel:DWORD
	v_or_b32_sdwa v64, v78, v84 dst_sel:DWORD dst_unused:UNUSED_PAD src0_sel:BYTE_0 src1_sel:DWORD
	v_or_b32_sdwa v63, v88, v63 dst_sel:WORD_1 dst_unused:UNUSED_PAD src0_sel:BYTE_0 src1_sel:DWORD
	v_or_b32_sdwa v63, v64, v63 dst_sel:DWORD dst_unused:UNUSED_PAD src0_sel:WORD_0 src1_sel:DWORD
	s_waitcnt lgkmcnt(0)
	s_barrier
	ds_write_b64 v5, v[62:63]
	v_mov_b32_e32 v63, v33
	s_waitcnt lgkmcnt(0)
	s_barrier
	s_mov_b64 s[18:19], exec
	v_readlane_b32 s4, v94, 7
	v_readlane_b32 s5, v94, 8
	s_and_b64 s[4:5], s[18:19], s[4:5]
	s_mov_b64 exec, s[4:5]
	s_cbranch_execz .LBB79_38
; %bb.35:                               ;   in Loop: Header=BB79_2 Depth=1
	s_mov_b64 s[20:21], 0
	v_mov_b32_e32 v63, v33
	v_mov_b32_e32 v62, v34
.LBB79_36:                              ;   Parent Loop BB79_2 Depth=1
                                        ; =>  This Inner Loop Header: Depth=2
	v_sub_u32_e32 v64, v62, v63
	v_lshrrev_b32_e32 v64, 1, v64
	v_add_u32_e32 v64, v64, v63
	v_add_u32_e32 v65, v7, v64
	v_xad_u32 v66, v64, -1, v35
	ds_read_i8 v65, v65
	ds_read_i8 v66, v66
	v_add_u32_e32 v67, 1, v64
	s_waitcnt lgkmcnt(0)
	v_cmp_lt_i16_e32 vcc, v66, v65
	v_cndmask_b32_e32 v62, v62, v64, vcc
	v_cndmask_b32_e32 v63, v67, v63, vcc
	v_cmp_ge_i32_e32 vcc, v63, v62
	s_or_b64 s[20:21], vcc, s[20:21]
	s_andn2_b64 exec, exec, s[20:21]
	s_cbranch_execnz .LBB79_36
; %bb.37:                               ;   in Loop: Header=BB79_2 Depth=1
	s_or_b64 exec, exec, s[20:21]
.LBB79_38:                              ;   in Loop: Header=BB79_2 Depth=1
	s_or_b64 exec, exec, s[18:19]
	v_add_u32_e32 v62, v63, v7
	v_sub_u32_e32 v63, v35, v63
	ds_read_u8 v64, v62
	ds_read_u8 v65, v63
	v_cmp_le_i32_e64 s[18:19], v16, v62
	v_cmp_gt_i32_e32 vcc, v17, v63
                                        ; implicit-def: $vgpr66
	s_waitcnt lgkmcnt(1)
	v_bfe_i32 v64, v64, 0, 8
	s_waitcnt lgkmcnt(0)
	v_bfe_i32 v65, v65, 0, 8
	v_cmp_lt_i16_e64 s[20:21], v65, v64
	s_or_b64 s[4:5], s[18:19], s[20:21]
	s_and_b64 s[18:19], vcc, s[4:5]
	s_xor_b64 s[4:5], s[18:19], -1
	s_and_saveexec_b64 s[20:21], s[4:5]
	s_xor_b64 s[20:21], exec, s[20:21]
; %bb.39:                               ;   in Loop: Header=BB79_2 Depth=1
	ds_read_u8 v66, v62 offset:1
; %bb.40:                               ;   in Loop: Header=BB79_2 Depth=1
	s_or_saveexec_b64 s[20:21], s[20:21]
	v_mov_b32_e32 v67, v65
	s_xor_b64 exec, exec, s[20:21]
	s_cbranch_execz .LBB79_42
; %bb.41:                               ;   in Loop: Header=BB79_2 Depth=1
	ds_read_u8 v67, v63 offset:1
	s_waitcnt lgkmcnt(1)
	v_mov_b32_e32 v66, v64
.LBB79_42:                              ;   in Loop: Header=BB79_2 Depth=1
	s_or_b64 exec, exec, s[20:21]
	v_add_u32_e32 v69, 1, v62
	v_add_u32_e32 v68, 1, v63
	v_cndmask_b32_e64 v69, v69, v62, s[18:19]
	v_cndmask_b32_e64 v68, v63, v68, s[18:19]
	v_cmp_ge_i32_e64 s[20:21], v69, v16
	s_waitcnt lgkmcnt(0)
	v_cmp_lt_i16_sdwa s[4:5], sext(v67), sext(v66) src0_sel:BYTE_0 src1_sel:BYTE_0
	v_cmp_lt_i32_e32 vcc, v68, v17
	s_or_b64 s[4:5], s[20:21], s[4:5]
	s_and_b64 s[20:21], vcc, s[4:5]
	s_xor_b64 s[4:5], s[20:21], -1
                                        ; implicit-def: $vgpr70
	s_and_saveexec_b64 s[22:23], s[4:5]
	s_xor_b64 s[22:23], exec, s[22:23]
; %bb.43:                               ;   in Loop: Header=BB79_2 Depth=1
	ds_read_u8 v70, v69 offset:1
; %bb.44:                               ;   in Loop: Header=BB79_2 Depth=1
	s_or_saveexec_b64 s[22:23], s[22:23]
	v_mov_b32_e32 v71, v67
	s_xor_b64 exec, exec, s[22:23]
	s_cbranch_execz .LBB79_46
; %bb.45:                               ;   in Loop: Header=BB79_2 Depth=1
	ds_read_u8 v71, v68 offset:1
	s_waitcnt lgkmcnt(1)
	v_mov_b32_e32 v70, v66
.LBB79_46:                              ;   in Loop: Header=BB79_2 Depth=1
	s_or_b64 exec, exec, s[22:23]
	v_add_u32_e32 v73, 1, v69
	v_add_u32_e32 v72, 1, v68
	v_cndmask_b32_e64 v73, v73, v69, s[20:21]
	v_cndmask_b32_e64 v72, v68, v72, s[20:21]
	v_cmp_ge_i32_e64 s[22:23], v73, v16
	s_waitcnt lgkmcnt(0)
	v_cmp_lt_i16_sdwa s[4:5], sext(v71), sext(v70) src0_sel:BYTE_0 src1_sel:BYTE_0
	v_cmp_lt_i32_e32 vcc, v72, v17
	s_or_b64 s[4:5], s[22:23], s[4:5]
	s_and_b64 s[22:23], vcc, s[4:5]
	s_xor_b64 s[4:5], s[22:23], -1
                                        ; implicit-def: $vgpr74
	s_and_saveexec_b64 s[24:25], s[4:5]
	s_xor_b64 s[24:25], exec, s[24:25]
; %bb.47:                               ;   in Loop: Header=BB79_2 Depth=1
	ds_read_u8 v74, v73 offset:1
; %bb.48:                               ;   in Loop: Header=BB79_2 Depth=1
	s_or_saveexec_b64 s[24:25], s[24:25]
	v_mov_b32_e32 v75, v71
	s_xor_b64 exec, exec, s[24:25]
	s_cbranch_execz .LBB79_50
; %bb.49:                               ;   in Loop: Header=BB79_2 Depth=1
	ds_read_u8 v75, v72 offset:1
	s_waitcnt lgkmcnt(1)
	v_mov_b32_e32 v74, v70
.LBB79_50:                              ;   in Loop: Header=BB79_2 Depth=1
	s_or_b64 exec, exec, s[24:25]
	v_add_u32_e32 v77, 1, v73
	v_add_u32_e32 v76, 1, v72
	v_cndmask_b32_e64 v77, v77, v73, s[22:23]
	v_cndmask_b32_e64 v76, v72, v76, s[22:23]
	v_cmp_ge_i32_e64 s[24:25], v77, v16
	s_waitcnt lgkmcnt(0)
	v_cmp_lt_i16_sdwa s[4:5], sext(v75), sext(v74) src0_sel:BYTE_0 src1_sel:BYTE_0
	v_cmp_lt_i32_e32 vcc, v76, v17
	s_or_b64 s[4:5], s[24:25], s[4:5]
	s_and_b64 s[24:25], vcc, s[4:5]
	s_xor_b64 s[4:5], s[24:25], -1
                                        ; implicit-def: $vgpr78
	s_and_saveexec_b64 s[26:27], s[4:5]
	s_xor_b64 s[26:27], exec, s[26:27]
; %bb.51:                               ;   in Loop: Header=BB79_2 Depth=1
	ds_read_u8 v78, v77 offset:1
; %bb.52:                               ;   in Loop: Header=BB79_2 Depth=1
	s_or_saveexec_b64 s[26:27], s[26:27]
	v_mov_b32_e32 v79, v75
	s_xor_b64 exec, exec, s[26:27]
	s_cbranch_execz .LBB79_54
; %bb.53:                               ;   in Loop: Header=BB79_2 Depth=1
	ds_read_u8 v79, v76 offset:1
	s_waitcnt lgkmcnt(1)
	v_mov_b32_e32 v78, v74
.LBB79_54:                              ;   in Loop: Header=BB79_2 Depth=1
	s_or_b64 exec, exec, s[26:27]
	v_add_u32_e32 v81, 1, v77
	v_add_u32_e32 v80, 1, v76
	v_cndmask_b32_e64 v81, v81, v77, s[24:25]
	v_cndmask_b32_e64 v80, v76, v80, s[24:25]
	v_cmp_ge_i32_e64 s[26:27], v81, v16
	s_waitcnt lgkmcnt(0)
	v_cmp_lt_i16_sdwa s[4:5], sext(v79), sext(v78) src0_sel:BYTE_0 src1_sel:BYTE_0
	v_cmp_lt_i32_e32 vcc, v80, v17
	s_or_b64 s[4:5], s[26:27], s[4:5]
	s_and_b64 s[26:27], vcc, s[4:5]
	s_xor_b64 s[4:5], s[26:27], -1
                                        ; implicit-def: $vgpr82
	s_and_saveexec_b64 s[28:29], s[4:5]
	s_xor_b64 s[28:29], exec, s[28:29]
; %bb.55:                               ;   in Loop: Header=BB79_2 Depth=1
	ds_read_u8 v82, v81 offset:1
; %bb.56:                               ;   in Loop: Header=BB79_2 Depth=1
	s_or_saveexec_b64 s[28:29], s[28:29]
	v_mov_b32_e32 v83, v79
	s_xor_b64 exec, exec, s[28:29]
	s_cbranch_execz .LBB79_58
; %bb.57:                               ;   in Loop: Header=BB79_2 Depth=1
	ds_read_u8 v83, v80 offset:1
	s_waitcnt lgkmcnt(1)
	v_mov_b32_e32 v82, v78
.LBB79_58:                              ;   in Loop: Header=BB79_2 Depth=1
	s_or_b64 exec, exec, s[28:29]
	v_add_u32_e32 v85, 1, v81
	v_add_u32_e32 v84, 1, v80
	v_cndmask_b32_e64 v85, v85, v81, s[26:27]
	v_cndmask_b32_e64 v84, v80, v84, s[26:27]
	v_cmp_ge_i32_e64 s[28:29], v85, v16
	s_waitcnt lgkmcnt(0)
	v_cmp_lt_i16_sdwa s[4:5], sext(v83), sext(v82) src0_sel:BYTE_0 src1_sel:BYTE_0
	v_cmp_lt_i32_e32 vcc, v84, v17
	s_or_b64 s[4:5], s[28:29], s[4:5]
	s_and_b64 vcc, vcc, s[4:5]
	s_xor_b64 s[4:5], vcc, -1
                                        ; implicit-def: $vgpr86
	s_and_saveexec_b64 s[28:29], s[4:5]
	s_xor_b64 s[28:29], exec, s[28:29]
; %bb.59:                               ;   in Loop: Header=BB79_2 Depth=1
	ds_read_u8 v86, v85 offset:1
; %bb.60:                               ;   in Loop: Header=BB79_2 Depth=1
	s_or_saveexec_b64 s[28:29], s[28:29]
	v_mov_b32_e32 v87, v83
	s_xor_b64 exec, exec, s[28:29]
	s_cbranch_execz .LBB79_62
; %bb.61:                               ;   in Loop: Header=BB79_2 Depth=1
	ds_read_u8 v87, v84 offset:1
	s_waitcnt lgkmcnt(1)
	v_mov_b32_e32 v86, v82
.LBB79_62:                              ;   in Loop: Header=BB79_2 Depth=1
	s_or_b64 exec, exec, s[28:29]
	v_add_u32_e32 v90, 1, v85
	v_add_u32_e32 v88, 1, v84
	v_cndmask_b32_e32 v90, v90, v85, vcc
	v_cndmask_b32_e32 v89, v84, v88, vcc
	v_cmp_ge_i32_e64 s[30:31], v90, v16
	s_waitcnt lgkmcnt(0)
	v_cmp_lt_i16_sdwa s[4:5], sext(v87), sext(v86) src0_sel:BYTE_0 src1_sel:BYTE_0
	v_cmp_lt_i32_e64 s[28:29], v89, v17
	s_or_b64 s[4:5], s[30:31], s[4:5]
	s_and_b64 s[28:29], s[28:29], s[4:5]
	s_xor_b64 s[4:5], s[28:29], -1
                                        ; implicit-def: $vgpr88
	s_and_saveexec_b64 s[30:31], s[4:5]
	s_xor_b64 s[30:31], exec, s[30:31]
; %bb.63:                               ;   in Loop: Header=BB79_2 Depth=1
	ds_read_u8 v88, v90 offset:1
; %bb.64:                               ;   in Loop: Header=BB79_2 Depth=1
	s_or_saveexec_b64 s[30:31], s[30:31]
	v_mov_b32_e32 v91, v87
	s_xor_b64 exec, exec, s[30:31]
	s_cbranch_execz .LBB79_66
; %bb.65:                               ;   in Loop: Header=BB79_2 Depth=1
	ds_read_u8 v91, v89 offset:1
	s_waitcnt lgkmcnt(1)
	v_mov_b32_e32 v88, v86
.LBB79_66:                              ;   in Loop: Header=BB79_2 Depth=1
	s_or_b64 exec, exec, s[30:31]
	v_add_u32_e32 v92, 1, v90
	v_cndmask_b32_e64 v86, v86, v87, s[28:29]
	v_add_u32_e32 v87, 1, v89
	v_cndmask_b32_e64 v92, v92, v90, s[28:29]
	v_cndmask_b32_e64 v87, v89, v87, s[28:29]
	;; [unrolled: 1-line block ×4, first 2 shown]
	v_cmp_ge_i32_e64 s[18:19], v92, v16
	s_waitcnt lgkmcnt(0)
	v_cmp_lt_i16_sdwa s[4:5], sext(v91), sext(v88) src0_sel:BYTE_0 src1_sel:BYTE_0
	v_cndmask_b32_sdwa v82, v82, v83, vcc dst_sel:BYTE_1 dst_unused:UNUSED_PAD src0_sel:DWORD src1_sel:DWORD
	v_cndmask_b32_e32 v83, v85, v84, vcc
	v_cmp_lt_i32_e32 vcc, v87, v17
	s_or_b64 s[4:5], s[18:19], s[4:5]
	v_perm_b32 v59, v59, v60, s92
	v_perm_b32 v58, v61, v58, s92
	;; [unrolled: 1-line block ×4, first 2 shown]
	s_and_b64 vcc, vcc, s[4:5]
	v_lshl_or_b32 v59, v58, 16, v59
	v_lshl_or_b32 v58, v2, 16, v1
	v_cndmask_b32_e64 v89, v90, v89, s[28:29]
	v_cndmask_b32_e64 v78, v78, v79, s[26:27]
	;; [unrolled: 1-line block ×9, first 2 shown]
	v_cndmask_b32_e32 v65, v92, v87, vcc
	s_barrier
	ds_write_b64 v5, v[58:59]
	s_waitcnt lgkmcnt(0)
	s_barrier
	ds_read_u8 v1, v62
	ds_read_u8 v58, v65
	;; [unrolled: 1-line block ×8, first 2 shown]
	v_lshlrev_b16_e32 v62, 8, v66
	v_cndmask_b32_e32 v63, v88, v91, vcc
	v_or_b32_sdwa v62, v64, v62 dst_sel:DWORD dst_unused:UNUSED_PAD src0_sel:BYTE_0 src1_sel:DWORD
	v_lshlrev_b16_e32 v64, 8, v74
	v_or_b32_sdwa v64, v70, v64 dst_sel:WORD_1 dst_unused:UNUSED_PAD src0_sel:BYTE_0 src1_sel:DWORD
	v_lshlrev_b16_e32 v63, 8, v63
	v_or_b32_sdwa v62, v62, v64 dst_sel:DWORD dst_unused:UNUSED_PAD src0_sel:WORD_0 src1_sel:DWORD
	v_or_b32_sdwa v64, v78, v82 dst_sel:DWORD dst_unused:UNUSED_PAD src0_sel:BYTE_0 src1_sel:DWORD
	v_or_b32_sdwa v63, v86, v63 dst_sel:WORD_1 dst_unused:UNUSED_PAD src0_sel:BYTE_0 src1_sel:DWORD
	v_or_b32_sdwa v63, v64, v63 dst_sel:DWORD dst_unused:UNUSED_PAD src0_sel:WORD_0 src1_sel:DWORD
	s_waitcnt lgkmcnt(0)
	s_barrier
	ds_write_b64 v5, v[62:63]
	v_mov_b32_e32 v63, v36
	s_waitcnt lgkmcnt(0)
	s_barrier
	s_mov_b64 s[18:19], exec
	v_readlane_b32 s4, v94, 9
	v_readlane_b32 s5, v94, 10
	s_and_b64 s[4:5], s[18:19], s[4:5]
	s_mov_b64 exec, s[4:5]
	s_cbranch_execz .LBB79_70
; %bb.67:                               ;   in Loop: Header=BB79_2 Depth=1
	s_mov_b64 s[20:21], 0
	v_mov_b32_e32 v63, v36
	v_mov_b32_e32 v62, v37
.LBB79_68:                              ;   Parent Loop BB79_2 Depth=1
                                        ; =>  This Inner Loop Header: Depth=2
	v_sub_u32_e32 v64, v62, v63
	v_lshrrev_b32_e32 v64, 1, v64
	v_add_u32_e32 v64, v64, v63
	v_add_u32_e32 v65, v8, v64
	v_xad_u32 v66, v64, -1, v38
	ds_read_i8 v65, v65
	ds_read_i8 v66, v66
	v_add_u32_e32 v67, 1, v64
	s_waitcnt lgkmcnt(0)
	v_cmp_lt_i16_e32 vcc, v66, v65
	v_cndmask_b32_e32 v62, v62, v64, vcc
	v_cndmask_b32_e32 v63, v67, v63, vcc
	v_cmp_ge_i32_e32 vcc, v63, v62
	s_or_b64 s[20:21], vcc, s[20:21]
	s_andn2_b64 exec, exec, s[20:21]
	s_cbranch_execnz .LBB79_68
; %bb.69:                               ;   in Loop: Header=BB79_2 Depth=1
	s_or_b64 exec, exec, s[20:21]
.LBB79_70:                              ;   in Loop: Header=BB79_2 Depth=1
	s_or_b64 exec, exec, s[18:19]
	v_add_u32_e32 v62, v63, v8
	v_sub_u32_e32 v63, v38, v63
	ds_read_u8 v64, v62
	ds_read_u8 v65, v63
	v_cmp_le_i32_e64 s[18:19], v18, v62
	v_cmp_gt_i32_e32 vcc, v19, v63
                                        ; implicit-def: $vgpr66
	s_waitcnt lgkmcnt(1)
	v_bfe_i32 v64, v64, 0, 8
	s_waitcnt lgkmcnt(0)
	v_bfe_i32 v65, v65, 0, 8
	v_cmp_lt_i16_e64 s[20:21], v65, v64
	s_or_b64 s[4:5], s[18:19], s[20:21]
	s_and_b64 s[18:19], vcc, s[4:5]
	s_xor_b64 s[4:5], s[18:19], -1
	s_and_saveexec_b64 s[20:21], s[4:5]
	s_xor_b64 s[20:21], exec, s[20:21]
; %bb.71:                               ;   in Loop: Header=BB79_2 Depth=1
	ds_read_u8 v66, v62 offset:1
; %bb.72:                               ;   in Loop: Header=BB79_2 Depth=1
	s_or_saveexec_b64 s[20:21], s[20:21]
	v_mov_b32_e32 v67, v65
	s_xor_b64 exec, exec, s[20:21]
	s_cbranch_execz .LBB79_74
; %bb.73:                               ;   in Loop: Header=BB79_2 Depth=1
	ds_read_u8 v67, v63 offset:1
	s_waitcnt lgkmcnt(1)
	v_mov_b32_e32 v66, v64
.LBB79_74:                              ;   in Loop: Header=BB79_2 Depth=1
	s_or_b64 exec, exec, s[20:21]
	v_add_u32_e32 v69, 1, v62
	v_add_u32_e32 v68, 1, v63
	v_cndmask_b32_e64 v69, v69, v62, s[18:19]
	v_cndmask_b32_e64 v68, v63, v68, s[18:19]
	v_cmp_ge_i32_e64 s[20:21], v69, v18
	s_waitcnt lgkmcnt(0)
	v_cmp_lt_i16_sdwa s[4:5], sext(v67), sext(v66) src0_sel:BYTE_0 src1_sel:BYTE_0
	v_cmp_lt_i32_e32 vcc, v68, v19
	s_or_b64 s[4:5], s[20:21], s[4:5]
	s_and_b64 s[20:21], vcc, s[4:5]
	s_xor_b64 s[4:5], s[20:21], -1
                                        ; implicit-def: $vgpr70
	s_and_saveexec_b64 s[22:23], s[4:5]
	s_xor_b64 s[22:23], exec, s[22:23]
; %bb.75:                               ;   in Loop: Header=BB79_2 Depth=1
	ds_read_u8 v70, v69 offset:1
; %bb.76:                               ;   in Loop: Header=BB79_2 Depth=1
	s_or_saveexec_b64 s[22:23], s[22:23]
	v_mov_b32_e32 v71, v67
	s_xor_b64 exec, exec, s[22:23]
	s_cbranch_execz .LBB79_78
; %bb.77:                               ;   in Loop: Header=BB79_2 Depth=1
	ds_read_u8 v71, v68 offset:1
	s_waitcnt lgkmcnt(1)
	v_mov_b32_e32 v70, v66
.LBB79_78:                              ;   in Loop: Header=BB79_2 Depth=1
	s_or_b64 exec, exec, s[22:23]
	v_add_u32_e32 v73, 1, v69
	v_add_u32_e32 v72, 1, v68
	v_cndmask_b32_e64 v73, v73, v69, s[20:21]
	v_cndmask_b32_e64 v72, v68, v72, s[20:21]
	v_cmp_ge_i32_e64 s[22:23], v73, v18
	s_waitcnt lgkmcnt(0)
	v_cmp_lt_i16_sdwa s[4:5], sext(v71), sext(v70) src0_sel:BYTE_0 src1_sel:BYTE_0
	v_cmp_lt_i32_e32 vcc, v72, v19
	s_or_b64 s[4:5], s[22:23], s[4:5]
	s_and_b64 s[22:23], vcc, s[4:5]
	s_xor_b64 s[4:5], s[22:23], -1
                                        ; implicit-def: $vgpr74
	s_and_saveexec_b64 s[24:25], s[4:5]
	s_xor_b64 s[24:25], exec, s[24:25]
; %bb.79:                               ;   in Loop: Header=BB79_2 Depth=1
	ds_read_u8 v74, v73 offset:1
; %bb.80:                               ;   in Loop: Header=BB79_2 Depth=1
	s_or_saveexec_b64 s[24:25], s[24:25]
	v_mov_b32_e32 v75, v71
	s_xor_b64 exec, exec, s[24:25]
	s_cbranch_execz .LBB79_82
; %bb.81:                               ;   in Loop: Header=BB79_2 Depth=1
	ds_read_u8 v75, v72 offset:1
	s_waitcnt lgkmcnt(1)
	v_mov_b32_e32 v74, v70
.LBB79_82:                              ;   in Loop: Header=BB79_2 Depth=1
	s_or_b64 exec, exec, s[24:25]
	v_add_u32_e32 v77, 1, v73
	v_add_u32_e32 v76, 1, v72
	v_cndmask_b32_e64 v77, v77, v73, s[22:23]
	v_cndmask_b32_e64 v76, v72, v76, s[22:23]
	v_cmp_ge_i32_e64 s[24:25], v77, v18
	s_waitcnt lgkmcnt(0)
	v_cmp_lt_i16_sdwa s[4:5], sext(v75), sext(v74) src0_sel:BYTE_0 src1_sel:BYTE_0
	v_cmp_lt_i32_e32 vcc, v76, v19
	s_or_b64 s[4:5], s[24:25], s[4:5]
	s_and_b64 s[24:25], vcc, s[4:5]
	s_xor_b64 s[4:5], s[24:25], -1
                                        ; implicit-def: $vgpr78
	s_and_saveexec_b64 s[26:27], s[4:5]
	s_xor_b64 s[26:27], exec, s[26:27]
; %bb.83:                               ;   in Loop: Header=BB79_2 Depth=1
	ds_read_u8 v78, v77 offset:1
; %bb.84:                               ;   in Loop: Header=BB79_2 Depth=1
	s_or_saveexec_b64 s[26:27], s[26:27]
	v_mov_b32_e32 v79, v75
	s_xor_b64 exec, exec, s[26:27]
	s_cbranch_execz .LBB79_86
; %bb.85:                               ;   in Loop: Header=BB79_2 Depth=1
	ds_read_u8 v79, v76 offset:1
	s_waitcnt lgkmcnt(1)
	v_mov_b32_e32 v78, v74
.LBB79_86:                              ;   in Loop: Header=BB79_2 Depth=1
	s_or_b64 exec, exec, s[26:27]
	v_add_u32_e32 v81, 1, v77
	v_add_u32_e32 v80, 1, v76
	v_cndmask_b32_e64 v81, v81, v77, s[24:25]
	v_cndmask_b32_e64 v80, v76, v80, s[24:25]
	v_cmp_ge_i32_e64 s[26:27], v81, v18
	s_waitcnt lgkmcnt(0)
	v_cmp_lt_i16_sdwa s[4:5], sext(v79), sext(v78) src0_sel:BYTE_0 src1_sel:BYTE_0
	v_cmp_lt_i32_e32 vcc, v80, v19
	s_or_b64 s[4:5], s[26:27], s[4:5]
	s_and_b64 s[26:27], vcc, s[4:5]
	s_xor_b64 s[4:5], s[26:27], -1
                                        ; implicit-def: $vgpr82
	s_and_saveexec_b64 s[28:29], s[4:5]
	s_xor_b64 s[28:29], exec, s[28:29]
; %bb.87:                               ;   in Loop: Header=BB79_2 Depth=1
	ds_read_u8 v82, v81 offset:1
; %bb.88:                               ;   in Loop: Header=BB79_2 Depth=1
	s_or_saveexec_b64 s[28:29], s[28:29]
	v_mov_b32_e32 v83, v79
	s_xor_b64 exec, exec, s[28:29]
	s_cbranch_execz .LBB79_90
; %bb.89:                               ;   in Loop: Header=BB79_2 Depth=1
	ds_read_u8 v83, v80 offset:1
	s_waitcnt lgkmcnt(1)
	v_mov_b32_e32 v82, v78
.LBB79_90:                              ;   in Loop: Header=BB79_2 Depth=1
	s_or_b64 exec, exec, s[28:29]
	v_add_u32_e32 v85, 1, v81
	v_add_u32_e32 v84, 1, v80
	v_cndmask_b32_e64 v85, v85, v81, s[26:27]
	v_cndmask_b32_e64 v84, v80, v84, s[26:27]
	v_cmp_ge_i32_e64 s[28:29], v85, v18
	s_waitcnt lgkmcnt(0)
	v_cmp_lt_i16_sdwa s[4:5], sext(v83), sext(v82) src0_sel:BYTE_0 src1_sel:BYTE_0
	v_cmp_lt_i32_e32 vcc, v84, v19
	s_or_b64 s[4:5], s[28:29], s[4:5]
	s_and_b64 vcc, vcc, s[4:5]
	s_xor_b64 s[4:5], vcc, -1
                                        ; implicit-def: $vgpr86
	s_and_saveexec_b64 s[28:29], s[4:5]
	s_xor_b64 s[28:29], exec, s[28:29]
; %bb.91:                               ;   in Loop: Header=BB79_2 Depth=1
	ds_read_u8 v86, v85 offset:1
; %bb.92:                               ;   in Loop: Header=BB79_2 Depth=1
	s_or_saveexec_b64 s[28:29], s[28:29]
	v_mov_b32_e32 v87, v83
	s_xor_b64 exec, exec, s[28:29]
	s_cbranch_execz .LBB79_94
; %bb.93:                               ;   in Loop: Header=BB79_2 Depth=1
	ds_read_u8 v87, v84 offset:1
	s_waitcnt lgkmcnt(1)
	v_mov_b32_e32 v86, v82
.LBB79_94:                              ;   in Loop: Header=BB79_2 Depth=1
	s_or_b64 exec, exec, s[28:29]
	v_add_u32_e32 v90, 1, v85
	v_add_u32_e32 v88, 1, v84
	v_cndmask_b32_e32 v90, v90, v85, vcc
	v_cndmask_b32_e32 v89, v84, v88, vcc
	v_cmp_ge_i32_e64 s[30:31], v90, v18
	s_waitcnt lgkmcnt(0)
	v_cmp_lt_i16_sdwa s[4:5], sext(v87), sext(v86) src0_sel:BYTE_0 src1_sel:BYTE_0
	v_cmp_lt_i32_e64 s[28:29], v89, v19
	s_or_b64 s[4:5], s[30:31], s[4:5]
	s_and_b64 s[28:29], s[28:29], s[4:5]
	s_xor_b64 s[4:5], s[28:29], -1
                                        ; implicit-def: $vgpr88
	s_and_saveexec_b64 s[30:31], s[4:5]
	s_xor_b64 s[30:31], exec, s[30:31]
; %bb.95:                               ;   in Loop: Header=BB79_2 Depth=1
	ds_read_u8 v88, v90 offset:1
; %bb.96:                               ;   in Loop: Header=BB79_2 Depth=1
	s_or_saveexec_b64 s[30:31], s[30:31]
	v_mov_b32_e32 v91, v87
	s_xor_b64 exec, exec, s[30:31]
	s_cbranch_execz .LBB79_98
; %bb.97:                               ;   in Loop: Header=BB79_2 Depth=1
	ds_read_u8 v91, v89 offset:1
	s_waitcnt lgkmcnt(1)
	v_mov_b32_e32 v88, v86
.LBB79_98:                              ;   in Loop: Header=BB79_2 Depth=1
	s_or_b64 exec, exec, s[30:31]
	v_add_u32_e32 v92, 1, v90
	v_cndmask_b32_e64 v86, v86, v87, s[28:29]
	v_add_u32_e32 v87, 1, v89
	v_cndmask_b32_e64 v92, v92, v90, s[28:29]
	v_cndmask_b32_e64 v87, v89, v87, s[28:29]
	;; [unrolled: 1-line block ×4, first 2 shown]
	v_cmp_ge_i32_e64 s[18:19], v92, v18
	s_waitcnt lgkmcnt(0)
	v_cmp_lt_i16_sdwa s[4:5], sext(v91), sext(v88) src0_sel:BYTE_0 src1_sel:BYTE_0
	v_cndmask_b32_sdwa v82, v82, v83, vcc dst_sel:BYTE_1 dst_unused:UNUSED_PAD src0_sel:DWORD src1_sel:DWORD
	v_cndmask_b32_e32 v83, v85, v84, vcc
	v_cmp_lt_i32_e32 vcc, v87, v19
	s_or_b64 s[4:5], s[18:19], s[4:5]
	v_perm_b32 v59, v59, v60, s92
	v_perm_b32 v58, v61, v58, s92
	;; [unrolled: 1-line block ×4, first 2 shown]
	s_and_b64 vcc, vcc, s[4:5]
	v_lshl_or_b32 v59, v58, 16, v59
	v_lshl_or_b32 v58, v2, 16, v1
	v_cndmask_b32_e64 v89, v90, v89, s[28:29]
	v_cndmask_b32_e64 v78, v78, v79, s[26:27]
	;; [unrolled: 1-line block ×9, first 2 shown]
	v_cndmask_b32_e32 v65, v92, v87, vcc
	s_barrier
	ds_write_b64 v5, v[58:59]
	s_waitcnt lgkmcnt(0)
	s_barrier
	ds_read_u8 v1, v62
	ds_read_u8 v58, v65
	;; [unrolled: 1-line block ×8, first 2 shown]
	v_lshlrev_b16_e32 v62, 8, v66
	v_cndmask_b32_e32 v63, v88, v91, vcc
	v_or_b32_sdwa v62, v64, v62 dst_sel:DWORD dst_unused:UNUSED_PAD src0_sel:BYTE_0 src1_sel:DWORD
	v_lshlrev_b16_e32 v64, 8, v74
	v_or_b32_sdwa v64, v70, v64 dst_sel:WORD_1 dst_unused:UNUSED_PAD src0_sel:BYTE_0 src1_sel:DWORD
	v_lshlrev_b16_e32 v63, 8, v63
	v_or_b32_sdwa v62, v62, v64 dst_sel:DWORD dst_unused:UNUSED_PAD src0_sel:WORD_0 src1_sel:DWORD
	v_or_b32_sdwa v64, v78, v82 dst_sel:DWORD dst_unused:UNUSED_PAD src0_sel:BYTE_0 src1_sel:DWORD
	v_or_b32_sdwa v63, v86, v63 dst_sel:WORD_1 dst_unused:UNUSED_PAD src0_sel:BYTE_0 src1_sel:DWORD
	v_or_b32_sdwa v63, v64, v63 dst_sel:DWORD dst_unused:UNUSED_PAD src0_sel:WORD_0 src1_sel:DWORD
	s_waitcnt lgkmcnt(0)
	s_barrier
	ds_write_b64 v5, v[62:63]
	v_mov_b32_e32 v63, v39
	s_waitcnt lgkmcnt(0)
	s_barrier
	s_and_saveexec_b64 s[18:19], s[6:7]
	s_cbranch_execz .LBB79_102
; %bb.99:                               ;   in Loop: Header=BB79_2 Depth=1
	s_mov_b64 s[20:21], 0
	v_mov_b32_e32 v63, v39
	v_mov_b32_e32 v62, v40
.LBB79_100:                             ;   Parent Loop BB79_2 Depth=1
                                        ; =>  This Inner Loop Header: Depth=2
	v_sub_u32_e32 v64, v62, v63
	v_lshrrev_b32_e32 v64, 1, v64
	v_add_u32_e32 v64, v64, v63
	v_add_u32_e32 v65, v9, v64
	v_xad_u32 v66, v64, -1, v41
	ds_read_i8 v65, v65
	ds_read_i8 v66, v66
	v_add_u32_e32 v67, 1, v64
	s_waitcnt lgkmcnt(0)
	v_cmp_lt_i16_e32 vcc, v66, v65
	v_cndmask_b32_e32 v62, v62, v64, vcc
	v_cndmask_b32_e32 v63, v67, v63, vcc
	v_cmp_ge_i32_e32 vcc, v63, v62
	s_or_b64 s[20:21], vcc, s[20:21]
	s_andn2_b64 exec, exec, s[20:21]
	s_cbranch_execnz .LBB79_100
; %bb.101:                              ;   in Loop: Header=BB79_2 Depth=1
	s_or_b64 exec, exec, s[20:21]
.LBB79_102:                             ;   in Loop: Header=BB79_2 Depth=1
	s_or_b64 exec, exec, s[18:19]
	v_add_u32_e32 v62, v63, v9
	v_sub_u32_e32 v63, v41, v63
	ds_read_u8 v64, v62
	ds_read_u8 v65, v63
	v_cmp_le_i32_e64 s[18:19], v20, v62
	v_cmp_gt_i32_e32 vcc, v21, v63
                                        ; implicit-def: $vgpr66
	s_waitcnt lgkmcnt(1)
	v_bfe_i32 v64, v64, 0, 8
	s_waitcnt lgkmcnt(0)
	v_bfe_i32 v65, v65, 0, 8
	v_cmp_lt_i16_e64 s[20:21], v65, v64
	s_or_b64 s[4:5], s[18:19], s[20:21]
	s_and_b64 s[18:19], vcc, s[4:5]
	s_xor_b64 s[4:5], s[18:19], -1
	s_and_saveexec_b64 s[20:21], s[4:5]
	s_xor_b64 s[20:21], exec, s[20:21]
; %bb.103:                              ;   in Loop: Header=BB79_2 Depth=1
	ds_read_u8 v66, v62 offset:1
; %bb.104:                              ;   in Loop: Header=BB79_2 Depth=1
	s_or_saveexec_b64 s[20:21], s[20:21]
	v_mov_b32_e32 v67, v65
	s_xor_b64 exec, exec, s[20:21]
	s_cbranch_execz .LBB79_106
; %bb.105:                              ;   in Loop: Header=BB79_2 Depth=1
	ds_read_u8 v67, v63 offset:1
	s_waitcnt lgkmcnt(1)
	v_mov_b32_e32 v66, v64
.LBB79_106:                             ;   in Loop: Header=BB79_2 Depth=1
	s_or_b64 exec, exec, s[20:21]
	v_add_u32_e32 v69, 1, v62
	v_add_u32_e32 v68, 1, v63
	v_cndmask_b32_e64 v69, v69, v62, s[18:19]
	v_cndmask_b32_e64 v68, v63, v68, s[18:19]
	v_cmp_ge_i32_e64 s[20:21], v69, v20
	s_waitcnt lgkmcnt(0)
	v_cmp_lt_i16_sdwa s[4:5], sext(v67), sext(v66) src0_sel:BYTE_0 src1_sel:BYTE_0
	v_cmp_lt_i32_e32 vcc, v68, v21
	s_or_b64 s[4:5], s[20:21], s[4:5]
	s_and_b64 s[20:21], vcc, s[4:5]
	s_xor_b64 s[4:5], s[20:21], -1
                                        ; implicit-def: $vgpr70
	s_and_saveexec_b64 s[22:23], s[4:5]
	s_xor_b64 s[22:23], exec, s[22:23]
; %bb.107:                              ;   in Loop: Header=BB79_2 Depth=1
	ds_read_u8 v70, v69 offset:1
; %bb.108:                              ;   in Loop: Header=BB79_2 Depth=1
	s_or_saveexec_b64 s[22:23], s[22:23]
	v_mov_b32_e32 v71, v67
	s_xor_b64 exec, exec, s[22:23]
	s_cbranch_execz .LBB79_110
; %bb.109:                              ;   in Loop: Header=BB79_2 Depth=1
	ds_read_u8 v71, v68 offset:1
	s_waitcnt lgkmcnt(1)
	v_mov_b32_e32 v70, v66
.LBB79_110:                             ;   in Loop: Header=BB79_2 Depth=1
	s_or_b64 exec, exec, s[22:23]
	v_add_u32_e32 v73, 1, v69
	v_add_u32_e32 v72, 1, v68
	v_cndmask_b32_e64 v73, v73, v69, s[20:21]
	v_cndmask_b32_e64 v72, v68, v72, s[20:21]
	v_cmp_ge_i32_e64 s[22:23], v73, v20
	s_waitcnt lgkmcnt(0)
	v_cmp_lt_i16_sdwa s[4:5], sext(v71), sext(v70) src0_sel:BYTE_0 src1_sel:BYTE_0
	v_cmp_lt_i32_e32 vcc, v72, v21
	s_or_b64 s[4:5], s[22:23], s[4:5]
	s_and_b64 s[22:23], vcc, s[4:5]
	s_xor_b64 s[4:5], s[22:23], -1
                                        ; implicit-def: $vgpr74
	s_and_saveexec_b64 s[24:25], s[4:5]
	s_xor_b64 s[24:25], exec, s[24:25]
; %bb.111:                              ;   in Loop: Header=BB79_2 Depth=1
	ds_read_u8 v74, v73 offset:1
; %bb.112:                              ;   in Loop: Header=BB79_2 Depth=1
	s_or_saveexec_b64 s[24:25], s[24:25]
	v_mov_b32_e32 v75, v71
	s_xor_b64 exec, exec, s[24:25]
	s_cbranch_execz .LBB79_114
; %bb.113:                              ;   in Loop: Header=BB79_2 Depth=1
	ds_read_u8 v75, v72 offset:1
	s_waitcnt lgkmcnt(1)
	v_mov_b32_e32 v74, v70
.LBB79_114:                             ;   in Loop: Header=BB79_2 Depth=1
	s_or_b64 exec, exec, s[24:25]
	v_add_u32_e32 v77, 1, v73
	v_add_u32_e32 v76, 1, v72
	v_cndmask_b32_e64 v77, v77, v73, s[22:23]
	v_cndmask_b32_e64 v76, v72, v76, s[22:23]
	v_cmp_ge_i32_e64 s[24:25], v77, v20
	s_waitcnt lgkmcnt(0)
	v_cmp_lt_i16_sdwa s[4:5], sext(v75), sext(v74) src0_sel:BYTE_0 src1_sel:BYTE_0
	v_cmp_lt_i32_e32 vcc, v76, v21
	s_or_b64 s[4:5], s[24:25], s[4:5]
	s_and_b64 s[24:25], vcc, s[4:5]
	s_xor_b64 s[4:5], s[24:25], -1
                                        ; implicit-def: $vgpr78
	s_and_saveexec_b64 s[26:27], s[4:5]
	s_xor_b64 s[26:27], exec, s[26:27]
; %bb.115:                              ;   in Loop: Header=BB79_2 Depth=1
	ds_read_u8 v78, v77 offset:1
; %bb.116:                              ;   in Loop: Header=BB79_2 Depth=1
	s_or_saveexec_b64 s[26:27], s[26:27]
	v_mov_b32_e32 v79, v75
	s_xor_b64 exec, exec, s[26:27]
	s_cbranch_execz .LBB79_118
; %bb.117:                              ;   in Loop: Header=BB79_2 Depth=1
	ds_read_u8 v79, v76 offset:1
	s_waitcnt lgkmcnt(1)
	v_mov_b32_e32 v78, v74
.LBB79_118:                             ;   in Loop: Header=BB79_2 Depth=1
	s_or_b64 exec, exec, s[26:27]
	v_add_u32_e32 v81, 1, v77
	v_add_u32_e32 v80, 1, v76
	v_cndmask_b32_e64 v81, v81, v77, s[24:25]
	v_cndmask_b32_e64 v80, v76, v80, s[24:25]
	v_cmp_ge_i32_e64 s[26:27], v81, v20
	s_waitcnt lgkmcnt(0)
	v_cmp_lt_i16_sdwa s[4:5], sext(v79), sext(v78) src0_sel:BYTE_0 src1_sel:BYTE_0
	v_cmp_lt_i32_e32 vcc, v80, v21
	s_or_b64 s[4:5], s[26:27], s[4:5]
	s_and_b64 s[26:27], vcc, s[4:5]
	s_xor_b64 s[4:5], s[26:27], -1
                                        ; implicit-def: $vgpr82
	s_and_saveexec_b64 s[28:29], s[4:5]
	s_xor_b64 s[28:29], exec, s[28:29]
; %bb.119:                              ;   in Loop: Header=BB79_2 Depth=1
	ds_read_u8 v82, v81 offset:1
; %bb.120:                              ;   in Loop: Header=BB79_2 Depth=1
	s_or_saveexec_b64 s[28:29], s[28:29]
	v_mov_b32_e32 v83, v79
	s_xor_b64 exec, exec, s[28:29]
	s_cbranch_execz .LBB79_122
; %bb.121:                              ;   in Loop: Header=BB79_2 Depth=1
	ds_read_u8 v83, v80 offset:1
	s_waitcnt lgkmcnt(1)
	v_mov_b32_e32 v82, v78
.LBB79_122:                             ;   in Loop: Header=BB79_2 Depth=1
	s_or_b64 exec, exec, s[28:29]
	v_add_u32_e32 v85, 1, v81
	v_add_u32_e32 v84, 1, v80
	v_cndmask_b32_e64 v85, v85, v81, s[26:27]
	v_cndmask_b32_e64 v84, v80, v84, s[26:27]
	v_cmp_ge_i32_e64 s[28:29], v85, v20
	s_waitcnt lgkmcnt(0)
	v_cmp_lt_i16_sdwa s[4:5], sext(v83), sext(v82) src0_sel:BYTE_0 src1_sel:BYTE_0
	v_cmp_lt_i32_e32 vcc, v84, v21
	s_or_b64 s[4:5], s[28:29], s[4:5]
	s_and_b64 vcc, vcc, s[4:5]
	s_xor_b64 s[4:5], vcc, -1
                                        ; implicit-def: $vgpr86
	s_and_saveexec_b64 s[28:29], s[4:5]
	s_xor_b64 s[28:29], exec, s[28:29]
; %bb.123:                              ;   in Loop: Header=BB79_2 Depth=1
	ds_read_u8 v86, v85 offset:1
; %bb.124:                              ;   in Loop: Header=BB79_2 Depth=1
	s_or_saveexec_b64 s[28:29], s[28:29]
	v_mov_b32_e32 v87, v83
	s_xor_b64 exec, exec, s[28:29]
	s_cbranch_execz .LBB79_126
; %bb.125:                              ;   in Loop: Header=BB79_2 Depth=1
	ds_read_u8 v87, v84 offset:1
	s_waitcnt lgkmcnt(1)
	v_mov_b32_e32 v86, v82
.LBB79_126:                             ;   in Loop: Header=BB79_2 Depth=1
	s_or_b64 exec, exec, s[28:29]
	v_add_u32_e32 v90, 1, v85
	v_add_u32_e32 v88, 1, v84
	v_cndmask_b32_e32 v90, v90, v85, vcc
	v_cndmask_b32_e32 v89, v84, v88, vcc
	v_cmp_ge_i32_e64 s[30:31], v90, v20
	s_waitcnt lgkmcnt(0)
	v_cmp_lt_i16_sdwa s[4:5], sext(v87), sext(v86) src0_sel:BYTE_0 src1_sel:BYTE_0
	v_cmp_lt_i32_e64 s[28:29], v89, v21
	s_or_b64 s[4:5], s[30:31], s[4:5]
	s_and_b64 s[28:29], s[28:29], s[4:5]
	s_xor_b64 s[4:5], s[28:29], -1
                                        ; implicit-def: $vgpr88
	s_and_saveexec_b64 s[30:31], s[4:5]
	s_xor_b64 s[30:31], exec, s[30:31]
; %bb.127:                              ;   in Loop: Header=BB79_2 Depth=1
	ds_read_u8 v88, v90 offset:1
; %bb.128:                              ;   in Loop: Header=BB79_2 Depth=1
	s_or_saveexec_b64 s[30:31], s[30:31]
	v_mov_b32_e32 v91, v87
	s_xor_b64 exec, exec, s[30:31]
	s_cbranch_execz .LBB79_130
; %bb.129:                              ;   in Loop: Header=BB79_2 Depth=1
	ds_read_u8 v91, v89 offset:1
	s_waitcnt lgkmcnt(1)
	v_mov_b32_e32 v88, v86
.LBB79_130:                             ;   in Loop: Header=BB79_2 Depth=1
	s_or_b64 exec, exec, s[30:31]
	v_add_u32_e32 v92, 1, v90
	v_cndmask_b32_e64 v86, v86, v87, s[28:29]
	v_add_u32_e32 v87, 1, v89
	v_cndmask_b32_e64 v92, v92, v90, s[28:29]
	v_cndmask_b32_e64 v87, v89, v87, s[28:29]
	;; [unrolled: 1-line block ×4, first 2 shown]
	v_cmp_ge_i32_e64 s[18:19], v92, v20
	s_waitcnt lgkmcnt(0)
	v_cmp_lt_i16_sdwa s[4:5], sext(v91), sext(v88) src0_sel:BYTE_0 src1_sel:BYTE_0
	v_cndmask_b32_sdwa v82, v82, v83, vcc dst_sel:BYTE_1 dst_unused:UNUSED_PAD src0_sel:DWORD src1_sel:DWORD
	v_cndmask_b32_e32 v83, v85, v84, vcc
	v_cmp_lt_i32_e32 vcc, v87, v21
	s_or_b64 s[4:5], s[18:19], s[4:5]
	v_perm_b32 v59, v59, v60, s92
	v_perm_b32 v58, v61, v58, s92
	;; [unrolled: 1-line block ×4, first 2 shown]
	s_and_b64 vcc, vcc, s[4:5]
	v_lshl_or_b32 v59, v58, 16, v59
	v_lshl_or_b32 v58, v2, 16, v1
	v_cndmask_b32_e64 v89, v90, v89, s[28:29]
	v_cndmask_b32_e64 v78, v78, v79, s[26:27]
	;; [unrolled: 1-line block ×9, first 2 shown]
	v_cndmask_b32_e32 v65, v92, v87, vcc
	s_barrier
	ds_write_b64 v5, v[58:59]
	s_waitcnt lgkmcnt(0)
	s_barrier
	ds_read_u8 v1, v62
	ds_read_u8 v58, v65
	;; [unrolled: 1-line block ×8, first 2 shown]
	v_lshlrev_b16_e32 v62, 8, v66
	v_cndmask_b32_e32 v63, v88, v91, vcc
	v_or_b32_sdwa v62, v64, v62 dst_sel:DWORD dst_unused:UNUSED_PAD src0_sel:BYTE_0 src1_sel:DWORD
	v_lshlrev_b16_e32 v64, 8, v74
	v_or_b32_sdwa v64, v70, v64 dst_sel:WORD_1 dst_unused:UNUSED_PAD src0_sel:BYTE_0 src1_sel:DWORD
	v_lshlrev_b16_e32 v63, 8, v63
	v_or_b32_sdwa v62, v62, v64 dst_sel:DWORD dst_unused:UNUSED_PAD src0_sel:WORD_0 src1_sel:DWORD
	v_or_b32_sdwa v64, v78, v82 dst_sel:DWORD dst_unused:UNUSED_PAD src0_sel:BYTE_0 src1_sel:DWORD
	v_or_b32_sdwa v63, v86, v63 dst_sel:WORD_1 dst_unused:UNUSED_PAD src0_sel:BYTE_0 src1_sel:DWORD
	v_or_b32_sdwa v63, v64, v63 dst_sel:DWORD dst_unused:UNUSED_PAD src0_sel:WORD_0 src1_sel:DWORD
	s_waitcnt lgkmcnt(0)
	s_barrier
	ds_write_b64 v5, v[62:63]
	v_mov_b32_e32 v63, v42
	s_waitcnt lgkmcnt(0)
	s_barrier
	s_and_saveexec_b64 s[18:19], s[8:9]
	s_cbranch_execz .LBB79_134
; %bb.131:                              ;   in Loop: Header=BB79_2 Depth=1
	s_mov_b64 s[20:21], 0
	v_mov_b32_e32 v63, v42
	v_mov_b32_e32 v62, v43
.LBB79_132:                             ;   Parent Loop BB79_2 Depth=1
                                        ; =>  This Inner Loop Header: Depth=2
	v_sub_u32_e32 v64, v62, v63
	v_lshrrev_b32_e32 v64, 1, v64
	v_add_u32_e32 v64, v64, v63
	v_add_u32_e32 v65, v10, v64
	v_xad_u32 v66, v64, -1, v44
	ds_read_i8 v65, v65
	ds_read_i8 v66, v66
	v_add_u32_e32 v67, 1, v64
	s_waitcnt lgkmcnt(0)
	v_cmp_lt_i16_e32 vcc, v66, v65
	v_cndmask_b32_e32 v62, v62, v64, vcc
	v_cndmask_b32_e32 v63, v67, v63, vcc
	v_cmp_ge_i32_e32 vcc, v63, v62
	s_or_b64 s[20:21], vcc, s[20:21]
	s_andn2_b64 exec, exec, s[20:21]
	s_cbranch_execnz .LBB79_132
; %bb.133:                              ;   in Loop: Header=BB79_2 Depth=1
	s_or_b64 exec, exec, s[20:21]
.LBB79_134:                             ;   in Loop: Header=BB79_2 Depth=1
	s_or_b64 exec, exec, s[18:19]
	v_add_u32_e32 v62, v63, v10
	v_sub_u32_e32 v63, v44, v63
	ds_read_u8 v64, v62
	ds_read_u8 v65, v63
	v_cmp_le_i32_e64 s[18:19], v22, v62
	v_cmp_gt_i32_e32 vcc, v23, v63
                                        ; implicit-def: $vgpr66
	s_waitcnt lgkmcnt(1)
	v_bfe_i32 v64, v64, 0, 8
	s_waitcnt lgkmcnt(0)
	v_bfe_i32 v65, v65, 0, 8
	v_cmp_lt_i16_e64 s[20:21], v65, v64
	s_or_b64 s[4:5], s[18:19], s[20:21]
	s_and_b64 s[18:19], vcc, s[4:5]
	s_xor_b64 s[4:5], s[18:19], -1
	s_and_saveexec_b64 s[20:21], s[4:5]
	s_xor_b64 s[20:21], exec, s[20:21]
; %bb.135:                              ;   in Loop: Header=BB79_2 Depth=1
	ds_read_u8 v66, v62 offset:1
; %bb.136:                              ;   in Loop: Header=BB79_2 Depth=1
	s_or_saveexec_b64 s[20:21], s[20:21]
	v_mov_b32_e32 v67, v65
	s_xor_b64 exec, exec, s[20:21]
	s_cbranch_execz .LBB79_138
; %bb.137:                              ;   in Loop: Header=BB79_2 Depth=1
	ds_read_u8 v67, v63 offset:1
	s_waitcnt lgkmcnt(1)
	v_mov_b32_e32 v66, v64
.LBB79_138:                             ;   in Loop: Header=BB79_2 Depth=1
	s_or_b64 exec, exec, s[20:21]
	v_add_u32_e32 v69, 1, v62
	v_add_u32_e32 v68, 1, v63
	v_cndmask_b32_e64 v69, v69, v62, s[18:19]
	v_cndmask_b32_e64 v68, v63, v68, s[18:19]
	v_cmp_ge_i32_e64 s[20:21], v69, v22
	s_waitcnt lgkmcnt(0)
	v_cmp_lt_i16_sdwa s[4:5], sext(v67), sext(v66) src0_sel:BYTE_0 src1_sel:BYTE_0
	v_cmp_lt_i32_e32 vcc, v68, v23
	s_or_b64 s[4:5], s[20:21], s[4:5]
	s_and_b64 s[20:21], vcc, s[4:5]
	s_xor_b64 s[4:5], s[20:21], -1
                                        ; implicit-def: $vgpr70
	s_and_saveexec_b64 s[22:23], s[4:5]
	s_xor_b64 s[22:23], exec, s[22:23]
; %bb.139:                              ;   in Loop: Header=BB79_2 Depth=1
	ds_read_u8 v70, v69 offset:1
; %bb.140:                              ;   in Loop: Header=BB79_2 Depth=1
	s_or_saveexec_b64 s[22:23], s[22:23]
	v_mov_b32_e32 v71, v67
	s_xor_b64 exec, exec, s[22:23]
	s_cbranch_execz .LBB79_142
; %bb.141:                              ;   in Loop: Header=BB79_2 Depth=1
	ds_read_u8 v71, v68 offset:1
	s_waitcnt lgkmcnt(1)
	v_mov_b32_e32 v70, v66
.LBB79_142:                             ;   in Loop: Header=BB79_2 Depth=1
	s_or_b64 exec, exec, s[22:23]
	v_add_u32_e32 v73, 1, v69
	v_add_u32_e32 v72, 1, v68
	v_cndmask_b32_e64 v73, v73, v69, s[20:21]
	v_cndmask_b32_e64 v72, v68, v72, s[20:21]
	v_cmp_ge_i32_e64 s[22:23], v73, v22
	s_waitcnt lgkmcnt(0)
	v_cmp_lt_i16_sdwa s[4:5], sext(v71), sext(v70) src0_sel:BYTE_0 src1_sel:BYTE_0
	v_cmp_lt_i32_e32 vcc, v72, v23
	s_or_b64 s[4:5], s[22:23], s[4:5]
	s_and_b64 s[22:23], vcc, s[4:5]
	s_xor_b64 s[4:5], s[22:23], -1
                                        ; implicit-def: $vgpr74
	s_and_saveexec_b64 s[24:25], s[4:5]
	s_xor_b64 s[24:25], exec, s[24:25]
; %bb.143:                              ;   in Loop: Header=BB79_2 Depth=1
	ds_read_u8 v74, v73 offset:1
; %bb.144:                              ;   in Loop: Header=BB79_2 Depth=1
	s_or_saveexec_b64 s[24:25], s[24:25]
	v_mov_b32_e32 v75, v71
	s_xor_b64 exec, exec, s[24:25]
	s_cbranch_execz .LBB79_146
; %bb.145:                              ;   in Loop: Header=BB79_2 Depth=1
	ds_read_u8 v75, v72 offset:1
	s_waitcnt lgkmcnt(1)
	v_mov_b32_e32 v74, v70
.LBB79_146:                             ;   in Loop: Header=BB79_2 Depth=1
	s_or_b64 exec, exec, s[24:25]
	v_add_u32_e32 v77, 1, v73
	v_add_u32_e32 v76, 1, v72
	v_cndmask_b32_e64 v77, v77, v73, s[22:23]
	v_cndmask_b32_e64 v76, v72, v76, s[22:23]
	v_cmp_ge_i32_e64 s[24:25], v77, v22
	s_waitcnt lgkmcnt(0)
	v_cmp_lt_i16_sdwa s[4:5], sext(v75), sext(v74) src0_sel:BYTE_0 src1_sel:BYTE_0
	v_cmp_lt_i32_e32 vcc, v76, v23
	s_or_b64 s[4:5], s[24:25], s[4:5]
	s_and_b64 s[24:25], vcc, s[4:5]
	s_xor_b64 s[4:5], s[24:25], -1
                                        ; implicit-def: $vgpr78
	s_and_saveexec_b64 s[26:27], s[4:5]
	s_xor_b64 s[26:27], exec, s[26:27]
; %bb.147:                              ;   in Loop: Header=BB79_2 Depth=1
	ds_read_u8 v78, v77 offset:1
; %bb.148:                              ;   in Loop: Header=BB79_2 Depth=1
	s_or_saveexec_b64 s[26:27], s[26:27]
	v_mov_b32_e32 v79, v75
	s_xor_b64 exec, exec, s[26:27]
	s_cbranch_execz .LBB79_150
; %bb.149:                              ;   in Loop: Header=BB79_2 Depth=1
	ds_read_u8 v79, v76 offset:1
	s_waitcnt lgkmcnt(1)
	v_mov_b32_e32 v78, v74
.LBB79_150:                             ;   in Loop: Header=BB79_2 Depth=1
	s_or_b64 exec, exec, s[26:27]
	v_add_u32_e32 v81, 1, v77
	v_add_u32_e32 v80, 1, v76
	v_cndmask_b32_e64 v81, v81, v77, s[24:25]
	v_cndmask_b32_e64 v80, v76, v80, s[24:25]
	v_cmp_ge_i32_e64 s[26:27], v81, v22
	s_waitcnt lgkmcnt(0)
	v_cmp_lt_i16_sdwa s[4:5], sext(v79), sext(v78) src0_sel:BYTE_0 src1_sel:BYTE_0
	v_cmp_lt_i32_e32 vcc, v80, v23
	s_or_b64 s[4:5], s[26:27], s[4:5]
	s_and_b64 s[26:27], vcc, s[4:5]
	s_xor_b64 s[4:5], s[26:27], -1
                                        ; implicit-def: $vgpr82
	s_and_saveexec_b64 s[28:29], s[4:5]
	s_xor_b64 s[28:29], exec, s[28:29]
; %bb.151:                              ;   in Loop: Header=BB79_2 Depth=1
	ds_read_u8 v82, v81 offset:1
; %bb.152:                              ;   in Loop: Header=BB79_2 Depth=1
	s_or_saveexec_b64 s[28:29], s[28:29]
	v_mov_b32_e32 v83, v79
	s_xor_b64 exec, exec, s[28:29]
	s_cbranch_execz .LBB79_154
; %bb.153:                              ;   in Loop: Header=BB79_2 Depth=1
	ds_read_u8 v83, v80 offset:1
	s_waitcnt lgkmcnt(1)
	v_mov_b32_e32 v82, v78
.LBB79_154:                             ;   in Loop: Header=BB79_2 Depth=1
	s_or_b64 exec, exec, s[28:29]
	v_add_u32_e32 v85, 1, v81
	v_add_u32_e32 v84, 1, v80
	v_cndmask_b32_e64 v85, v85, v81, s[26:27]
	v_cndmask_b32_e64 v84, v80, v84, s[26:27]
	v_cmp_ge_i32_e64 s[28:29], v85, v22
	s_waitcnt lgkmcnt(0)
	v_cmp_lt_i16_sdwa s[4:5], sext(v83), sext(v82) src0_sel:BYTE_0 src1_sel:BYTE_0
	v_cmp_lt_i32_e32 vcc, v84, v23
	s_or_b64 s[4:5], s[28:29], s[4:5]
	s_and_b64 vcc, vcc, s[4:5]
	s_xor_b64 s[4:5], vcc, -1
                                        ; implicit-def: $vgpr86
	s_and_saveexec_b64 s[28:29], s[4:5]
	s_xor_b64 s[28:29], exec, s[28:29]
; %bb.155:                              ;   in Loop: Header=BB79_2 Depth=1
	ds_read_u8 v86, v85 offset:1
; %bb.156:                              ;   in Loop: Header=BB79_2 Depth=1
	s_or_saveexec_b64 s[28:29], s[28:29]
	v_mov_b32_e32 v87, v83
	s_xor_b64 exec, exec, s[28:29]
	s_cbranch_execz .LBB79_158
; %bb.157:                              ;   in Loop: Header=BB79_2 Depth=1
	ds_read_u8 v87, v84 offset:1
	s_waitcnt lgkmcnt(1)
	v_mov_b32_e32 v86, v82
.LBB79_158:                             ;   in Loop: Header=BB79_2 Depth=1
	s_or_b64 exec, exec, s[28:29]
	v_add_u32_e32 v90, 1, v85
	v_add_u32_e32 v88, 1, v84
	v_cndmask_b32_e32 v90, v90, v85, vcc
	v_cndmask_b32_e32 v89, v84, v88, vcc
	v_cmp_ge_i32_e64 s[30:31], v90, v22
	s_waitcnt lgkmcnt(0)
	v_cmp_lt_i16_sdwa s[4:5], sext(v87), sext(v86) src0_sel:BYTE_0 src1_sel:BYTE_0
	v_cmp_lt_i32_e64 s[28:29], v89, v23
	s_or_b64 s[4:5], s[30:31], s[4:5]
	s_and_b64 s[28:29], s[28:29], s[4:5]
	s_xor_b64 s[4:5], s[28:29], -1
                                        ; implicit-def: $vgpr88
	s_and_saveexec_b64 s[30:31], s[4:5]
	s_xor_b64 s[30:31], exec, s[30:31]
; %bb.159:                              ;   in Loop: Header=BB79_2 Depth=1
	ds_read_u8 v88, v90 offset:1
; %bb.160:                              ;   in Loop: Header=BB79_2 Depth=1
	s_or_saveexec_b64 s[30:31], s[30:31]
	v_mov_b32_e32 v91, v87
	s_xor_b64 exec, exec, s[30:31]
	s_cbranch_execz .LBB79_162
; %bb.161:                              ;   in Loop: Header=BB79_2 Depth=1
	ds_read_u8 v91, v89 offset:1
	s_waitcnt lgkmcnt(1)
	v_mov_b32_e32 v88, v86
.LBB79_162:                             ;   in Loop: Header=BB79_2 Depth=1
	s_or_b64 exec, exec, s[30:31]
	v_add_u32_e32 v92, 1, v90
	v_cndmask_b32_e64 v86, v86, v87, s[28:29]
	v_add_u32_e32 v87, 1, v89
	v_cndmask_b32_e64 v92, v92, v90, s[28:29]
	v_cndmask_b32_e64 v87, v89, v87, s[28:29]
	;; [unrolled: 1-line block ×4, first 2 shown]
	v_cmp_ge_i32_e64 s[18:19], v92, v22
	s_waitcnt lgkmcnt(0)
	v_cmp_lt_i16_sdwa s[4:5], sext(v91), sext(v88) src0_sel:BYTE_0 src1_sel:BYTE_0
	v_cndmask_b32_sdwa v82, v82, v83, vcc dst_sel:BYTE_1 dst_unused:UNUSED_PAD src0_sel:DWORD src1_sel:DWORD
	v_cndmask_b32_e32 v83, v85, v84, vcc
	v_cmp_lt_i32_e32 vcc, v87, v23
	s_or_b64 s[4:5], s[18:19], s[4:5]
	v_perm_b32 v59, v59, v60, s92
	v_perm_b32 v58, v61, v58, s92
	;; [unrolled: 1-line block ×4, first 2 shown]
	s_and_b64 vcc, vcc, s[4:5]
	v_lshl_or_b32 v59, v58, 16, v59
	v_lshl_or_b32 v58, v2, 16, v1
	v_cndmask_b32_e64 v89, v90, v89, s[28:29]
	v_cndmask_b32_e64 v78, v78, v79, s[26:27]
	;; [unrolled: 1-line block ×9, first 2 shown]
	v_cndmask_b32_e32 v65, v92, v87, vcc
	s_barrier
	ds_write_b64 v5, v[58:59]
	s_waitcnt lgkmcnt(0)
	s_barrier
	ds_read_u8 v1, v62
	ds_read_u8 v58, v65
	ds_read_u8 v2, v67
	ds_read_u8 v3, v71
	ds_read_u8 v4, v75
	ds_read_u8 v59, v79
	ds_read_u8 v60, v83
	ds_read_u8 v61, v89
	v_lshlrev_b16_e32 v62, 8, v66
	v_cndmask_b32_e32 v63, v88, v91, vcc
	v_or_b32_sdwa v62, v64, v62 dst_sel:DWORD dst_unused:UNUSED_PAD src0_sel:BYTE_0 src1_sel:DWORD
	v_lshlrev_b16_e32 v64, 8, v74
	v_or_b32_sdwa v64, v70, v64 dst_sel:WORD_1 dst_unused:UNUSED_PAD src0_sel:BYTE_0 src1_sel:DWORD
	v_lshlrev_b16_e32 v63, 8, v63
	v_or_b32_sdwa v62, v62, v64 dst_sel:DWORD dst_unused:UNUSED_PAD src0_sel:WORD_0 src1_sel:DWORD
	v_or_b32_sdwa v64, v78, v82 dst_sel:DWORD dst_unused:UNUSED_PAD src0_sel:BYTE_0 src1_sel:DWORD
	v_or_b32_sdwa v63, v86, v63 dst_sel:WORD_1 dst_unused:UNUSED_PAD src0_sel:BYTE_0 src1_sel:DWORD
	v_or_b32_sdwa v63, v64, v63 dst_sel:DWORD dst_unused:UNUSED_PAD src0_sel:WORD_0 src1_sel:DWORD
	s_waitcnt lgkmcnt(0)
	s_barrier
	ds_write_b64 v5, v[62:63]
	v_mov_b32_e32 v63, v45
	s_waitcnt lgkmcnt(0)
	s_barrier
	s_and_saveexec_b64 s[18:19], s[10:11]
	s_cbranch_execz .LBB79_166
; %bb.163:                              ;   in Loop: Header=BB79_2 Depth=1
	s_mov_b64 s[20:21], 0
	v_mov_b32_e32 v63, v45
	v_mov_b32_e32 v62, v46
.LBB79_164:                             ;   Parent Loop BB79_2 Depth=1
                                        ; =>  This Inner Loop Header: Depth=2
	v_sub_u32_e32 v64, v62, v63
	v_lshrrev_b32_e32 v64, 1, v64
	v_add_u32_e32 v64, v64, v63
	v_add_u32_e32 v65, v11, v64
	v_xad_u32 v66, v64, -1, v47
	ds_read_i8 v65, v65
	ds_read_i8 v66, v66
	v_add_u32_e32 v67, 1, v64
	s_waitcnt lgkmcnt(0)
	v_cmp_lt_i16_e32 vcc, v66, v65
	v_cndmask_b32_e32 v62, v62, v64, vcc
	v_cndmask_b32_e32 v63, v67, v63, vcc
	v_cmp_ge_i32_e32 vcc, v63, v62
	s_or_b64 s[20:21], vcc, s[20:21]
	s_andn2_b64 exec, exec, s[20:21]
	s_cbranch_execnz .LBB79_164
; %bb.165:                              ;   in Loop: Header=BB79_2 Depth=1
	s_or_b64 exec, exec, s[20:21]
.LBB79_166:                             ;   in Loop: Header=BB79_2 Depth=1
	s_or_b64 exec, exec, s[18:19]
	v_add_u32_e32 v62, v63, v11
	v_sub_u32_e32 v63, v47, v63
	ds_read_u8 v64, v62
	ds_read_u8 v65, v63
	v_cmp_le_i32_e64 s[18:19], v24, v62
	v_cmp_gt_i32_e32 vcc, v25, v63
                                        ; implicit-def: $vgpr66
	s_waitcnt lgkmcnt(1)
	v_bfe_i32 v64, v64, 0, 8
	s_waitcnt lgkmcnt(0)
	v_bfe_i32 v65, v65, 0, 8
	v_cmp_lt_i16_e64 s[20:21], v65, v64
	s_or_b64 s[4:5], s[18:19], s[20:21]
	s_and_b64 s[18:19], vcc, s[4:5]
	s_xor_b64 s[4:5], s[18:19], -1
	s_and_saveexec_b64 s[20:21], s[4:5]
	s_xor_b64 s[20:21], exec, s[20:21]
; %bb.167:                              ;   in Loop: Header=BB79_2 Depth=1
	ds_read_u8 v66, v62 offset:1
; %bb.168:                              ;   in Loop: Header=BB79_2 Depth=1
	s_or_saveexec_b64 s[20:21], s[20:21]
	v_mov_b32_e32 v67, v65
	s_xor_b64 exec, exec, s[20:21]
	s_cbranch_execz .LBB79_170
; %bb.169:                              ;   in Loop: Header=BB79_2 Depth=1
	ds_read_u8 v67, v63 offset:1
	s_waitcnt lgkmcnt(1)
	v_mov_b32_e32 v66, v64
.LBB79_170:                             ;   in Loop: Header=BB79_2 Depth=1
	s_or_b64 exec, exec, s[20:21]
	v_add_u32_e32 v69, 1, v62
	v_add_u32_e32 v68, 1, v63
	v_cndmask_b32_e64 v69, v69, v62, s[18:19]
	v_cndmask_b32_e64 v68, v63, v68, s[18:19]
	v_cmp_ge_i32_e64 s[20:21], v69, v24
	s_waitcnt lgkmcnt(0)
	v_cmp_lt_i16_sdwa s[4:5], sext(v67), sext(v66) src0_sel:BYTE_0 src1_sel:BYTE_0
	v_cmp_lt_i32_e32 vcc, v68, v25
	s_or_b64 s[4:5], s[20:21], s[4:5]
	s_and_b64 s[20:21], vcc, s[4:5]
	s_xor_b64 s[4:5], s[20:21], -1
                                        ; implicit-def: $vgpr70
	s_and_saveexec_b64 s[22:23], s[4:5]
	s_xor_b64 s[22:23], exec, s[22:23]
; %bb.171:                              ;   in Loop: Header=BB79_2 Depth=1
	ds_read_u8 v70, v69 offset:1
; %bb.172:                              ;   in Loop: Header=BB79_2 Depth=1
	s_or_saveexec_b64 s[22:23], s[22:23]
	v_mov_b32_e32 v71, v67
	s_xor_b64 exec, exec, s[22:23]
	s_cbranch_execz .LBB79_174
; %bb.173:                              ;   in Loop: Header=BB79_2 Depth=1
	ds_read_u8 v71, v68 offset:1
	s_waitcnt lgkmcnt(1)
	v_mov_b32_e32 v70, v66
.LBB79_174:                             ;   in Loop: Header=BB79_2 Depth=1
	s_or_b64 exec, exec, s[22:23]
	v_add_u32_e32 v73, 1, v69
	v_add_u32_e32 v72, 1, v68
	v_cndmask_b32_e64 v73, v73, v69, s[20:21]
	v_cndmask_b32_e64 v72, v68, v72, s[20:21]
	v_cmp_ge_i32_e64 s[22:23], v73, v24
	s_waitcnt lgkmcnt(0)
	v_cmp_lt_i16_sdwa s[4:5], sext(v71), sext(v70) src0_sel:BYTE_0 src1_sel:BYTE_0
	v_cmp_lt_i32_e32 vcc, v72, v25
	s_or_b64 s[4:5], s[22:23], s[4:5]
	s_and_b64 s[22:23], vcc, s[4:5]
	s_xor_b64 s[4:5], s[22:23], -1
                                        ; implicit-def: $vgpr74
	s_and_saveexec_b64 s[24:25], s[4:5]
	s_xor_b64 s[24:25], exec, s[24:25]
; %bb.175:                              ;   in Loop: Header=BB79_2 Depth=1
	ds_read_u8 v74, v73 offset:1
; %bb.176:                              ;   in Loop: Header=BB79_2 Depth=1
	s_or_saveexec_b64 s[24:25], s[24:25]
	v_mov_b32_e32 v75, v71
	s_xor_b64 exec, exec, s[24:25]
	s_cbranch_execz .LBB79_178
; %bb.177:                              ;   in Loop: Header=BB79_2 Depth=1
	ds_read_u8 v75, v72 offset:1
	s_waitcnt lgkmcnt(1)
	v_mov_b32_e32 v74, v70
.LBB79_178:                             ;   in Loop: Header=BB79_2 Depth=1
	s_or_b64 exec, exec, s[24:25]
	v_add_u32_e32 v77, 1, v73
	v_add_u32_e32 v76, 1, v72
	v_cndmask_b32_e64 v77, v77, v73, s[22:23]
	v_cndmask_b32_e64 v76, v72, v76, s[22:23]
	v_cmp_ge_i32_e64 s[24:25], v77, v24
	s_waitcnt lgkmcnt(0)
	v_cmp_lt_i16_sdwa s[4:5], sext(v75), sext(v74) src0_sel:BYTE_0 src1_sel:BYTE_0
	v_cmp_lt_i32_e32 vcc, v76, v25
	s_or_b64 s[4:5], s[24:25], s[4:5]
	s_and_b64 s[24:25], vcc, s[4:5]
	s_xor_b64 s[4:5], s[24:25], -1
                                        ; implicit-def: $vgpr78
	s_and_saveexec_b64 s[26:27], s[4:5]
	s_xor_b64 s[26:27], exec, s[26:27]
; %bb.179:                              ;   in Loop: Header=BB79_2 Depth=1
	ds_read_u8 v78, v77 offset:1
; %bb.180:                              ;   in Loop: Header=BB79_2 Depth=1
	s_or_saveexec_b64 s[26:27], s[26:27]
	v_mov_b32_e32 v79, v75
	s_xor_b64 exec, exec, s[26:27]
	s_cbranch_execz .LBB79_182
; %bb.181:                              ;   in Loop: Header=BB79_2 Depth=1
	ds_read_u8 v79, v76 offset:1
	s_waitcnt lgkmcnt(1)
	v_mov_b32_e32 v78, v74
.LBB79_182:                             ;   in Loop: Header=BB79_2 Depth=1
	s_or_b64 exec, exec, s[26:27]
	v_add_u32_e32 v81, 1, v77
	v_add_u32_e32 v80, 1, v76
	v_cndmask_b32_e64 v81, v81, v77, s[24:25]
	v_cndmask_b32_e64 v80, v76, v80, s[24:25]
	v_cmp_ge_i32_e64 s[26:27], v81, v24
	s_waitcnt lgkmcnt(0)
	v_cmp_lt_i16_sdwa s[4:5], sext(v79), sext(v78) src0_sel:BYTE_0 src1_sel:BYTE_0
	v_cmp_lt_i32_e32 vcc, v80, v25
	s_or_b64 s[4:5], s[26:27], s[4:5]
	s_and_b64 s[26:27], vcc, s[4:5]
	s_xor_b64 s[4:5], s[26:27], -1
                                        ; implicit-def: $vgpr82
	s_and_saveexec_b64 s[28:29], s[4:5]
	s_xor_b64 s[28:29], exec, s[28:29]
; %bb.183:                              ;   in Loop: Header=BB79_2 Depth=1
	ds_read_u8 v82, v81 offset:1
; %bb.184:                              ;   in Loop: Header=BB79_2 Depth=1
	s_or_saveexec_b64 s[28:29], s[28:29]
	v_mov_b32_e32 v83, v79
	s_xor_b64 exec, exec, s[28:29]
	s_cbranch_execz .LBB79_186
; %bb.185:                              ;   in Loop: Header=BB79_2 Depth=1
	ds_read_u8 v83, v80 offset:1
	s_waitcnt lgkmcnt(1)
	v_mov_b32_e32 v82, v78
.LBB79_186:                             ;   in Loop: Header=BB79_2 Depth=1
	s_or_b64 exec, exec, s[28:29]
	v_add_u32_e32 v85, 1, v81
	v_add_u32_e32 v84, 1, v80
	v_cndmask_b32_e64 v85, v85, v81, s[26:27]
	v_cndmask_b32_e64 v84, v80, v84, s[26:27]
	v_cmp_ge_i32_e64 s[28:29], v85, v24
	s_waitcnt lgkmcnt(0)
	v_cmp_lt_i16_sdwa s[4:5], sext(v83), sext(v82) src0_sel:BYTE_0 src1_sel:BYTE_0
	v_cmp_lt_i32_e32 vcc, v84, v25
	s_or_b64 s[4:5], s[28:29], s[4:5]
	s_and_b64 vcc, vcc, s[4:5]
	s_xor_b64 s[4:5], vcc, -1
                                        ; implicit-def: $vgpr86
	s_and_saveexec_b64 s[28:29], s[4:5]
	s_xor_b64 s[28:29], exec, s[28:29]
; %bb.187:                              ;   in Loop: Header=BB79_2 Depth=1
	ds_read_u8 v86, v85 offset:1
; %bb.188:                              ;   in Loop: Header=BB79_2 Depth=1
	s_or_saveexec_b64 s[28:29], s[28:29]
	v_mov_b32_e32 v87, v83
	s_xor_b64 exec, exec, s[28:29]
	s_cbranch_execz .LBB79_190
; %bb.189:                              ;   in Loop: Header=BB79_2 Depth=1
	ds_read_u8 v87, v84 offset:1
	s_waitcnt lgkmcnt(1)
	v_mov_b32_e32 v86, v82
.LBB79_190:                             ;   in Loop: Header=BB79_2 Depth=1
	s_or_b64 exec, exec, s[28:29]
	v_add_u32_e32 v90, 1, v85
	v_add_u32_e32 v88, 1, v84
	v_cndmask_b32_e32 v90, v90, v85, vcc
	v_cndmask_b32_e32 v89, v84, v88, vcc
	v_cmp_ge_i32_e64 s[30:31], v90, v24
	s_waitcnt lgkmcnt(0)
	v_cmp_lt_i16_sdwa s[4:5], sext(v87), sext(v86) src0_sel:BYTE_0 src1_sel:BYTE_0
	v_cmp_lt_i32_e64 s[28:29], v89, v25
	s_or_b64 s[4:5], s[30:31], s[4:5]
	s_and_b64 s[28:29], s[28:29], s[4:5]
	s_xor_b64 s[4:5], s[28:29], -1
                                        ; implicit-def: $vgpr88
	s_and_saveexec_b64 s[30:31], s[4:5]
	s_xor_b64 s[30:31], exec, s[30:31]
; %bb.191:                              ;   in Loop: Header=BB79_2 Depth=1
	ds_read_u8 v88, v90 offset:1
; %bb.192:                              ;   in Loop: Header=BB79_2 Depth=1
	s_or_saveexec_b64 s[30:31], s[30:31]
	v_mov_b32_e32 v91, v87
	s_xor_b64 exec, exec, s[30:31]
	s_cbranch_execz .LBB79_194
; %bb.193:                              ;   in Loop: Header=BB79_2 Depth=1
	ds_read_u8 v91, v89 offset:1
	s_waitcnt lgkmcnt(1)
	v_mov_b32_e32 v88, v86
.LBB79_194:                             ;   in Loop: Header=BB79_2 Depth=1
	s_or_b64 exec, exec, s[30:31]
	v_add_u32_e32 v92, 1, v90
	v_cndmask_b32_e64 v86, v86, v87, s[28:29]
	v_add_u32_e32 v87, 1, v89
	v_cndmask_b32_e64 v92, v92, v90, s[28:29]
	v_cndmask_b32_e64 v87, v89, v87, s[28:29]
	;; [unrolled: 1-line block ×4, first 2 shown]
	v_cmp_ge_i32_e64 s[18:19], v92, v24
	s_waitcnt lgkmcnt(0)
	v_cmp_lt_i16_sdwa s[4:5], sext(v91), sext(v88) src0_sel:BYTE_0 src1_sel:BYTE_0
	v_cndmask_b32_sdwa v82, v82, v83, vcc dst_sel:BYTE_1 dst_unused:UNUSED_PAD src0_sel:DWORD src1_sel:DWORD
	v_cndmask_b32_e32 v83, v85, v84, vcc
	v_cmp_lt_i32_e32 vcc, v87, v25
	s_or_b64 s[4:5], s[18:19], s[4:5]
	v_perm_b32 v59, v59, v60, s92
	v_perm_b32 v58, v61, v58, s92
	;; [unrolled: 1-line block ×4, first 2 shown]
	s_and_b64 vcc, vcc, s[4:5]
	v_lshl_or_b32 v59, v58, 16, v59
	v_lshl_or_b32 v58, v2, 16, v1
	v_cndmask_b32_e64 v89, v90, v89, s[28:29]
	v_cndmask_b32_e64 v78, v78, v79, s[26:27]
	;; [unrolled: 1-line block ×9, first 2 shown]
	v_cndmask_b32_e32 v65, v92, v87, vcc
	s_barrier
	ds_write_b64 v5, v[58:59]
	s_waitcnt lgkmcnt(0)
	s_barrier
	ds_read_u8 v1, v62
	ds_read_u8 v58, v65
	;; [unrolled: 1-line block ×8, first 2 shown]
	v_lshlrev_b16_e32 v62, 8, v66
	v_cndmask_b32_e32 v63, v88, v91, vcc
	v_or_b32_sdwa v62, v64, v62 dst_sel:DWORD dst_unused:UNUSED_PAD src0_sel:BYTE_0 src1_sel:DWORD
	v_lshlrev_b16_e32 v64, 8, v74
	v_or_b32_sdwa v64, v70, v64 dst_sel:WORD_1 dst_unused:UNUSED_PAD src0_sel:BYTE_0 src1_sel:DWORD
	v_lshlrev_b16_e32 v63, 8, v63
	v_or_b32_sdwa v62, v62, v64 dst_sel:DWORD dst_unused:UNUSED_PAD src0_sel:WORD_0 src1_sel:DWORD
	v_or_b32_sdwa v64, v78, v82 dst_sel:DWORD dst_unused:UNUSED_PAD src0_sel:BYTE_0 src1_sel:DWORD
	v_or_b32_sdwa v63, v86, v63 dst_sel:WORD_1 dst_unused:UNUSED_PAD src0_sel:BYTE_0 src1_sel:DWORD
	v_or_b32_sdwa v63, v64, v63 dst_sel:DWORD dst_unused:UNUSED_PAD src0_sel:WORD_0 src1_sel:DWORD
	s_waitcnt lgkmcnt(0)
	s_barrier
	ds_write_b64 v5, v[62:63]
	v_mov_b32_e32 v63, v48
	s_waitcnt lgkmcnt(0)
	s_barrier
	s_and_saveexec_b64 s[18:19], s[12:13]
	s_cbranch_execz .LBB79_198
; %bb.195:                              ;   in Loop: Header=BB79_2 Depth=1
	s_mov_b64 s[20:21], 0
	v_mov_b32_e32 v63, v48
	v_mov_b32_e32 v62, v49
.LBB79_196:                             ;   Parent Loop BB79_2 Depth=1
                                        ; =>  This Inner Loop Header: Depth=2
	v_sub_u32_e32 v64, v62, v63
	v_lshrrev_b32_e32 v64, 1, v64
	v_add_u32_e32 v64, v64, v63
	v_add_u32_e32 v65, v12, v64
	v_xad_u32 v66, v64, -1, v50
	ds_read_i8 v65, v65
	ds_read_i8 v66, v66
	v_add_u32_e32 v67, 1, v64
	s_waitcnt lgkmcnt(0)
	v_cmp_lt_i16_e32 vcc, v66, v65
	v_cndmask_b32_e32 v62, v62, v64, vcc
	v_cndmask_b32_e32 v63, v67, v63, vcc
	v_cmp_ge_i32_e32 vcc, v63, v62
	s_or_b64 s[20:21], vcc, s[20:21]
	s_andn2_b64 exec, exec, s[20:21]
	s_cbranch_execnz .LBB79_196
; %bb.197:                              ;   in Loop: Header=BB79_2 Depth=1
	s_or_b64 exec, exec, s[20:21]
.LBB79_198:                             ;   in Loop: Header=BB79_2 Depth=1
	s_or_b64 exec, exec, s[18:19]
	v_add_u32_e32 v62, v63, v12
	v_sub_u32_e32 v63, v50, v63
	ds_read_u8 v64, v62
	ds_read_u8 v65, v63
	v_cmp_le_i32_e64 s[18:19], v26, v62
	v_cmp_gt_i32_e32 vcc, v27, v63
                                        ; implicit-def: $vgpr66
	s_waitcnt lgkmcnt(1)
	v_bfe_i32 v64, v64, 0, 8
	s_waitcnt lgkmcnt(0)
	v_bfe_i32 v65, v65, 0, 8
	v_cmp_lt_i16_e64 s[20:21], v65, v64
	s_or_b64 s[4:5], s[18:19], s[20:21]
	s_and_b64 s[18:19], vcc, s[4:5]
	s_xor_b64 s[4:5], s[18:19], -1
	s_and_saveexec_b64 s[20:21], s[4:5]
	s_xor_b64 s[20:21], exec, s[20:21]
; %bb.199:                              ;   in Loop: Header=BB79_2 Depth=1
	ds_read_u8 v66, v62 offset:1
; %bb.200:                              ;   in Loop: Header=BB79_2 Depth=1
	s_or_saveexec_b64 s[20:21], s[20:21]
	v_mov_b32_e32 v67, v65
	s_xor_b64 exec, exec, s[20:21]
	s_cbranch_execz .LBB79_202
; %bb.201:                              ;   in Loop: Header=BB79_2 Depth=1
	ds_read_u8 v67, v63 offset:1
	s_waitcnt lgkmcnt(1)
	v_mov_b32_e32 v66, v64
.LBB79_202:                             ;   in Loop: Header=BB79_2 Depth=1
	s_or_b64 exec, exec, s[20:21]
	v_add_u32_e32 v69, 1, v62
	v_add_u32_e32 v68, 1, v63
	v_cndmask_b32_e64 v69, v69, v62, s[18:19]
	v_cndmask_b32_e64 v68, v63, v68, s[18:19]
	v_cmp_ge_i32_e64 s[20:21], v69, v26
	s_waitcnt lgkmcnt(0)
	v_cmp_lt_i16_sdwa s[4:5], sext(v67), sext(v66) src0_sel:BYTE_0 src1_sel:BYTE_0
	v_cmp_lt_i32_e32 vcc, v68, v27
	s_or_b64 s[4:5], s[20:21], s[4:5]
	s_and_b64 s[20:21], vcc, s[4:5]
	s_xor_b64 s[4:5], s[20:21], -1
                                        ; implicit-def: $vgpr70
	s_and_saveexec_b64 s[22:23], s[4:5]
	s_xor_b64 s[22:23], exec, s[22:23]
; %bb.203:                              ;   in Loop: Header=BB79_2 Depth=1
	ds_read_u8 v70, v69 offset:1
; %bb.204:                              ;   in Loop: Header=BB79_2 Depth=1
	s_or_saveexec_b64 s[22:23], s[22:23]
	v_mov_b32_e32 v71, v67
	s_xor_b64 exec, exec, s[22:23]
	s_cbranch_execz .LBB79_206
; %bb.205:                              ;   in Loop: Header=BB79_2 Depth=1
	ds_read_u8 v71, v68 offset:1
	s_waitcnt lgkmcnt(1)
	v_mov_b32_e32 v70, v66
.LBB79_206:                             ;   in Loop: Header=BB79_2 Depth=1
	s_or_b64 exec, exec, s[22:23]
	v_add_u32_e32 v73, 1, v69
	v_add_u32_e32 v72, 1, v68
	v_cndmask_b32_e64 v73, v73, v69, s[20:21]
	v_cndmask_b32_e64 v72, v68, v72, s[20:21]
	v_cmp_ge_i32_e64 s[22:23], v73, v26
	s_waitcnt lgkmcnt(0)
	v_cmp_lt_i16_sdwa s[4:5], sext(v71), sext(v70) src0_sel:BYTE_0 src1_sel:BYTE_0
	v_cmp_lt_i32_e32 vcc, v72, v27
	s_or_b64 s[4:5], s[22:23], s[4:5]
	s_and_b64 s[22:23], vcc, s[4:5]
	s_xor_b64 s[4:5], s[22:23], -1
                                        ; implicit-def: $vgpr74
	s_and_saveexec_b64 s[24:25], s[4:5]
	s_xor_b64 s[24:25], exec, s[24:25]
; %bb.207:                              ;   in Loop: Header=BB79_2 Depth=1
	ds_read_u8 v74, v73 offset:1
; %bb.208:                              ;   in Loop: Header=BB79_2 Depth=1
	s_or_saveexec_b64 s[24:25], s[24:25]
	v_mov_b32_e32 v75, v71
	s_xor_b64 exec, exec, s[24:25]
	s_cbranch_execz .LBB79_210
; %bb.209:                              ;   in Loop: Header=BB79_2 Depth=1
	ds_read_u8 v75, v72 offset:1
	s_waitcnt lgkmcnt(1)
	v_mov_b32_e32 v74, v70
.LBB79_210:                             ;   in Loop: Header=BB79_2 Depth=1
	s_or_b64 exec, exec, s[24:25]
	v_add_u32_e32 v77, 1, v73
	v_add_u32_e32 v76, 1, v72
	v_cndmask_b32_e64 v77, v77, v73, s[22:23]
	v_cndmask_b32_e64 v76, v72, v76, s[22:23]
	v_cmp_ge_i32_e64 s[24:25], v77, v26
	s_waitcnt lgkmcnt(0)
	v_cmp_lt_i16_sdwa s[4:5], sext(v75), sext(v74) src0_sel:BYTE_0 src1_sel:BYTE_0
	v_cmp_lt_i32_e32 vcc, v76, v27
	s_or_b64 s[4:5], s[24:25], s[4:5]
	s_and_b64 s[24:25], vcc, s[4:5]
	s_xor_b64 s[4:5], s[24:25], -1
                                        ; implicit-def: $vgpr78
	s_and_saveexec_b64 s[26:27], s[4:5]
	s_xor_b64 s[26:27], exec, s[26:27]
; %bb.211:                              ;   in Loop: Header=BB79_2 Depth=1
	ds_read_u8 v78, v77 offset:1
; %bb.212:                              ;   in Loop: Header=BB79_2 Depth=1
	s_or_saveexec_b64 s[26:27], s[26:27]
	v_mov_b32_e32 v79, v75
	s_xor_b64 exec, exec, s[26:27]
	s_cbranch_execz .LBB79_214
; %bb.213:                              ;   in Loop: Header=BB79_2 Depth=1
	ds_read_u8 v79, v76 offset:1
	s_waitcnt lgkmcnt(1)
	v_mov_b32_e32 v78, v74
.LBB79_214:                             ;   in Loop: Header=BB79_2 Depth=1
	s_or_b64 exec, exec, s[26:27]
	v_add_u32_e32 v81, 1, v77
	v_add_u32_e32 v80, 1, v76
	v_cndmask_b32_e64 v81, v81, v77, s[24:25]
	v_cndmask_b32_e64 v80, v76, v80, s[24:25]
	v_cmp_ge_i32_e64 s[26:27], v81, v26
	s_waitcnt lgkmcnt(0)
	v_cmp_lt_i16_sdwa s[4:5], sext(v79), sext(v78) src0_sel:BYTE_0 src1_sel:BYTE_0
	v_cmp_lt_i32_e32 vcc, v80, v27
	s_or_b64 s[4:5], s[26:27], s[4:5]
	s_and_b64 s[26:27], vcc, s[4:5]
	s_xor_b64 s[4:5], s[26:27], -1
                                        ; implicit-def: $vgpr82
	s_and_saveexec_b64 s[28:29], s[4:5]
	s_xor_b64 s[28:29], exec, s[28:29]
; %bb.215:                              ;   in Loop: Header=BB79_2 Depth=1
	ds_read_u8 v82, v81 offset:1
; %bb.216:                              ;   in Loop: Header=BB79_2 Depth=1
	s_or_saveexec_b64 s[28:29], s[28:29]
	v_mov_b32_e32 v83, v79
	s_xor_b64 exec, exec, s[28:29]
	s_cbranch_execz .LBB79_218
; %bb.217:                              ;   in Loop: Header=BB79_2 Depth=1
	ds_read_u8 v83, v80 offset:1
	s_waitcnt lgkmcnt(1)
	v_mov_b32_e32 v82, v78
.LBB79_218:                             ;   in Loop: Header=BB79_2 Depth=1
	s_or_b64 exec, exec, s[28:29]
	v_add_u32_e32 v85, 1, v81
	v_add_u32_e32 v84, 1, v80
	v_cndmask_b32_e64 v85, v85, v81, s[26:27]
	v_cndmask_b32_e64 v84, v80, v84, s[26:27]
	v_cmp_ge_i32_e64 s[28:29], v85, v26
	s_waitcnt lgkmcnt(0)
	v_cmp_lt_i16_sdwa s[4:5], sext(v83), sext(v82) src0_sel:BYTE_0 src1_sel:BYTE_0
	v_cmp_lt_i32_e32 vcc, v84, v27
	s_or_b64 s[4:5], s[28:29], s[4:5]
	s_and_b64 vcc, vcc, s[4:5]
	s_xor_b64 s[4:5], vcc, -1
                                        ; implicit-def: $vgpr86
	s_and_saveexec_b64 s[28:29], s[4:5]
	s_xor_b64 s[28:29], exec, s[28:29]
; %bb.219:                              ;   in Loop: Header=BB79_2 Depth=1
	ds_read_u8 v86, v85 offset:1
; %bb.220:                              ;   in Loop: Header=BB79_2 Depth=1
	s_or_saveexec_b64 s[28:29], s[28:29]
	v_mov_b32_e32 v87, v83
	s_xor_b64 exec, exec, s[28:29]
	s_cbranch_execz .LBB79_222
; %bb.221:                              ;   in Loop: Header=BB79_2 Depth=1
	ds_read_u8 v87, v84 offset:1
	s_waitcnt lgkmcnt(1)
	v_mov_b32_e32 v86, v82
.LBB79_222:                             ;   in Loop: Header=BB79_2 Depth=1
	s_or_b64 exec, exec, s[28:29]
	v_add_u32_e32 v90, 1, v85
	v_add_u32_e32 v88, 1, v84
	v_cndmask_b32_e32 v90, v90, v85, vcc
	v_cndmask_b32_e32 v89, v84, v88, vcc
	v_cmp_ge_i32_e64 s[30:31], v90, v26
	s_waitcnt lgkmcnt(0)
	v_cmp_lt_i16_sdwa s[4:5], sext(v87), sext(v86) src0_sel:BYTE_0 src1_sel:BYTE_0
	v_cmp_lt_i32_e64 s[28:29], v89, v27
	s_or_b64 s[4:5], s[30:31], s[4:5]
	s_and_b64 s[28:29], s[28:29], s[4:5]
	s_xor_b64 s[4:5], s[28:29], -1
                                        ; implicit-def: $vgpr88
	s_and_saveexec_b64 s[30:31], s[4:5]
	s_xor_b64 s[30:31], exec, s[30:31]
; %bb.223:                              ;   in Loop: Header=BB79_2 Depth=1
	ds_read_u8 v88, v90 offset:1
; %bb.224:                              ;   in Loop: Header=BB79_2 Depth=1
	s_or_saveexec_b64 s[30:31], s[30:31]
	v_mov_b32_e32 v91, v87
	s_xor_b64 exec, exec, s[30:31]
	s_cbranch_execz .LBB79_226
; %bb.225:                              ;   in Loop: Header=BB79_2 Depth=1
	ds_read_u8 v91, v89 offset:1
	s_waitcnt lgkmcnt(1)
	v_mov_b32_e32 v88, v86
.LBB79_226:                             ;   in Loop: Header=BB79_2 Depth=1
	s_or_b64 exec, exec, s[30:31]
	v_add_u32_e32 v92, 1, v90
	v_cndmask_b32_e64 v86, v86, v87, s[28:29]
	v_add_u32_e32 v87, 1, v89
	v_cndmask_b32_e64 v92, v92, v90, s[28:29]
	v_cndmask_b32_e64 v87, v89, v87, s[28:29]
	;; [unrolled: 1-line block ×4, first 2 shown]
	v_cmp_ge_i32_e64 s[18:19], v92, v26
	s_waitcnt lgkmcnt(0)
	v_cmp_lt_i16_sdwa s[4:5], sext(v91), sext(v88) src0_sel:BYTE_0 src1_sel:BYTE_0
	v_cndmask_b32_sdwa v82, v82, v83, vcc dst_sel:BYTE_1 dst_unused:UNUSED_PAD src0_sel:DWORD src1_sel:DWORD
	v_cndmask_b32_e32 v83, v85, v84, vcc
	v_cmp_lt_i32_e32 vcc, v87, v27
	s_or_b64 s[4:5], s[18:19], s[4:5]
	v_perm_b32 v59, v59, v60, s92
	v_perm_b32 v58, v61, v58, s92
	;; [unrolled: 1-line block ×4, first 2 shown]
	s_and_b64 vcc, vcc, s[4:5]
	v_lshl_or_b32 v59, v58, 16, v59
	v_lshl_or_b32 v58, v2, 16, v1
	v_cndmask_b32_e64 v89, v90, v89, s[28:29]
	v_cndmask_b32_e64 v78, v78, v79, s[26:27]
	;; [unrolled: 1-line block ×9, first 2 shown]
	v_cndmask_b32_e32 v65, v92, v87, vcc
	s_barrier
	ds_write_b64 v5, v[58:59]
	s_waitcnt lgkmcnt(0)
	s_barrier
	ds_read_u8 v1, v62
	ds_read_u8 v58, v65
	ds_read_u8 v2, v67
	ds_read_u8 v3, v71
	ds_read_u8 v4, v75
	ds_read_u8 v59, v79
	ds_read_u8 v60, v83
	ds_read_u8 v61, v89
	v_lshlrev_b16_e32 v62, 8, v66
	v_cndmask_b32_e32 v63, v88, v91, vcc
	v_or_b32_sdwa v62, v64, v62 dst_sel:DWORD dst_unused:UNUSED_PAD src0_sel:BYTE_0 src1_sel:DWORD
	v_lshlrev_b16_e32 v64, 8, v74
	v_or_b32_sdwa v64, v70, v64 dst_sel:WORD_1 dst_unused:UNUSED_PAD src0_sel:BYTE_0 src1_sel:DWORD
	v_lshlrev_b16_e32 v63, 8, v63
	v_or_b32_sdwa v62, v62, v64 dst_sel:DWORD dst_unused:UNUSED_PAD src0_sel:WORD_0 src1_sel:DWORD
	v_or_b32_sdwa v64, v78, v82 dst_sel:DWORD dst_unused:UNUSED_PAD src0_sel:BYTE_0 src1_sel:DWORD
	v_or_b32_sdwa v63, v86, v63 dst_sel:WORD_1 dst_unused:UNUSED_PAD src0_sel:BYTE_0 src1_sel:DWORD
	v_or_b32_sdwa v63, v64, v63 dst_sel:DWORD dst_unused:UNUSED_PAD src0_sel:WORD_0 src1_sel:DWORD
	s_waitcnt lgkmcnt(0)
	s_barrier
	ds_write_b64 v5, v[62:63]
	v_mov_b32_e32 v63, v51
	s_waitcnt lgkmcnt(0)
	s_barrier
	s_and_saveexec_b64 s[18:19], s[14:15]
	s_cbranch_execz .LBB79_230
; %bb.227:                              ;   in Loop: Header=BB79_2 Depth=1
	s_mov_b64 s[20:21], 0
	v_mov_b32_e32 v63, v51
	v_mov_b32_e32 v62, v52
.LBB79_228:                             ;   Parent Loop BB79_2 Depth=1
                                        ; =>  This Inner Loop Header: Depth=2
	v_sub_u32_e32 v64, v62, v63
	v_lshrrev_b32_e32 v64, 1, v64
	v_add_u32_e32 v64, v64, v63
	v_add_u32_e32 v65, v13, v64
	v_xad_u32 v66, v64, -1, v53
	ds_read_i8 v65, v65
	ds_read_i8 v66, v66
	v_add_u32_e32 v67, 1, v64
	s_waitcnt lgkmcnt(0)
	v_cmp_lt_i16_e32 vcc, v66, v65
	v_cndmask_b32_e32 v62, v62, v64, vcc
	v_cndmask_b32_e32 v63, v67, v63, vcc
	v_cmp_ge_i32_e32 vcc, v63, v62
	s_or_b64 s[20:21], vcc, s[20:21]
	s_andn2_b64 exec, exec, s[20:21]
	s_cbranch_execnz .LBB79_228
; %bb.229:                              ;   in Loop: Header=BB79_2 Depth=1
	s_or_b64 exec, exec, s[20:21]
.LBB79_230:                             ;   in Loop: Header=BB79_2 Depth=1
	s_or_b64 exec, exec, s[18:19]
	v_add_u32_e32 v62, v63, v13
	v_sub_u32_e32 v63, v53, v63
	ds_read_u8 v64, v62
	ds_read_u8 v65, v63
	v_cmp_le_i32_e64 s[18:19], v28, v62
	v_cmp_gt_i32_e32 vcc, v29, v63
                                        ; implicit-def: $vgpr66
	s_waitcnt lgkmcnt(1)
	v_bfe_i32 v64, v64, 0, 8
	s_waitcnt lgkmcnt(0)
	v_bfe_i32 v65, v65, 0, 8
	v_cmp_lt_i16_e64 s[20:21], v65, v64
	s_or_b64 s[4:5], s[18:19], s[20:21]
	s_and_b64 s[18:19], vcc, s[4:5]
	s_xor_b64 s[4:5], s[18:19], -1
	s_and_saveexec_b64 s[20:21], s[4:5]
	s_xor_b64 s[20:21], exec, s[20:21]
; %bb.231:                              ;   in Loop: Header=BB79_2 Depth=1
	ds_read_u8 v66, v62 offset:1
; %bb.232:                              ;   in Loop: Header=BB79_2 Depth=1
	s_or_saveexec_b64 s[20:21], s[20:21]
	v_mov_b32_e32 v67, v65
	s_xor_b64 exec, exec, s[20:21]
	s_cbranch_execz .LBB79_234
; %bb.233:                              ;   in Loop: Header=BB79_2 Depth=1
	ds_read_u8 v67, v63 offset:1
	s_waitcnt lgkmcnt(1)
	v_mov_b32_e32 v66, v64
.LBB79_234:                             ;   in Loop: Header=BB79_2 Depth=1
	s_or_b64 exec, exec, s[20:21]
	v_add_u32_e32 v69, 1, v62
	v_add_u32_e32 v68, 1, v63
	v_cndmask_b32_e64 v69, v69, v62, s[18:19]
	v_cndmask_b32_e64 v68, v63, v68, s[18:19]
	v_cmp_ge_i32_e64 s[20:21], v69, v28
	s_waitcnt lgkmcnt(0)
	v_cmp_lt_i16_sdwa s[4:5], sext(v67), sext(v66) src0_sel:BYTE_0 src1_sel:BYTE_0
	v_cmp_lt_i32_e32 vcc, v68, v29
	s_or_b64 s[4:5], s[20:21], s[4:5]
	s_and_b64 s[20:21], vcc, s[4:5]
	s_xor_b64 s[4:5], s[20:21], -1
                                        ; implicit-def: $vgpr70
	s_and_saveexec_b64 s[22:23], s[4:5]
	s_xor_b64 s[22:23], exec, s[22:23]
; %bb.235:                              ;   in Loop: Header=BB79_2 Depth=1
	ds_read_u8 v70, v69 offset:1
; %bb.236:                              ;   in Loop: Header=BB79_2 Depth=1
	s_or_saveexec_b64 s[22:23], s[22:23]
	v_mov_b32_e32 v71, v67
	s_xor_b64 exec, exec, s[22:23]
	s_cbranch_execz .LBB79_238
; %bb.237:                              ;   in Loop: Header=BB79_2 Depth=1
	ds_read_u8 v71, v68 offset:1
	s_waitcnt lgkmcnt(1)
	v_mov_b32_e32 v70, v66
.LBB79_238:                             ;   in Loop: Header=BB79_2 Depth=1
	s_or_b64 exec, exec, s[22:23]
	v_add_u32_e32 v73, 1, v69
	v_add_u32_e32 v72, 1, v68
	v_cndmask_b32_e64 v73, v73, v69, s[20:21]
	v_cndmask_b32_e64 v72, v68, v72, s[20:21]
	v_cmp_ge_i32_e64 s[22:23], v73, v28
	s_waitcnt lgkmcnt(0)
	v_cmp_lt_i16_sdwa s[4:5], sext(v71), sext(v70) src0_sel:BYTE_0 src1_sel:BYTE_0
	v_cmp_lt_i32_e32 vcc, v72, v29
	s_or_b64 s[4:5], s[22:23], s[4:5]
	s_and_b64 s[22:23], vcc, s[4:5]
	s_xor_b64 s[4:5], s[22:23], -1
                                        ; implicit-def: $vgpr74
	s_and_saveexec_b64 s[24:25], s[4:5]
	s_xor_b64 s[24:25], exec, s[24:25]
; %bb.239:                              ;   in Loop: Header=BB79_2 Depth=1
	ds_read_u8 v74, v73 offset:1
; %bb.240:                              ;   in Loop: Header=BB79_2 Depth=1
	s_or_saveexec_b64 s[24:25], s[24:25]
	v_mov_b32_e32 v75, v71
	s_xor_b64 exec, exec, s[24:25]
	s_cbranch_execz .LBB79_242
; %bb.241:                              ;   in Loop: Header=BB79_2 Depth=1
	ds_read_u8 v75, v72 offset:1
	s_waitcnt lgkmcnt(1)
	v_mov_b32_e32 v74, v70
.LBB79_242:                             ;   in Loop: Header=BB79_2 Depth=1
	s_or_b64 exec, exec, s[24:25]
	v_add_u32_e32 v77, 1, v73
	v_add_u32_e32 v76, 1, v72
	v_cndmask_b32_e64 v77, v77, v73, s[22:23]
	v_cndmask_b32_e64 v76, v72, v76, s[22:23]
	v_cmp_ge_i32_e64 s[24:25], v77, v28
	s_waitcnt lgkmcnt(0)
	v_cmp_lt_i16_sdwa s[4:5], sext(v75), sext(v74) src0_sel:BYTE_0 src1_sel:BYTE_0
	v_cmp_lt_i32_e32 vcc, v76, v29
	s_or_b64 s[4:5], s[24:25], s[4:5]
	s_and_b64 s[24:25], vcc, s[4:5]
	s_xor_b64 s[4:5], s[24:25], -1
                                        ; implicit-def: $vgpr78
	s_and_saveexec_b64 s[26:27], s[4:5]
	s_xor_b64 s[26:27], exec, s[26:27]
; %bb.243:                              ;   in Loop: Header=BB79_2 Depth=1
	ds_read_u8 v78, v77 offset:1
; %bb.244:                              ;   in Loop: Header=BB79_2 Depth=1
	s_or_saveexec_b64 s[26:27], s[26:27]
	v_mov_b32_e32 v79, v75
	s_xor_b64 exec, exec, s[26:27]
	s_cbranch_execz .LBB79_246
; %bb.245:                              ;   in Loop: Header=BB79_2 Depth=1
	ds_read_u8 v79, v76 offset:1
	s_waitcnt lgkmcnt(1)
	v_mov_b32_e32 v78, v74
.LBB79_246:                             ;   in Loop: Header=BB79_2 Depth=1
	s_or_b64 exec, exec, s[26:27]
	v_add_u32_e32 v81, 1, v77
	v_add_u32_e32 v80, 1, v76
	v_cndmask_b32_e64 v81, v81, v77, s[24:25]
	v_cndmask_b32_e64 v80, v76, v80, s[24:25]
	v_cmp_ge_i32_e64 s[26:27], v81, v28
	s_waitcnt lgkmcnt(0)
	v_cmp_lt_i16_sdwa s[4:5], sext(v79), sext(v78) src0_sel:BYTE_0 src1_sel:BYTE_0
	v_cmp_lt_i32_e32 vcc, v80, v29
	s_or_b64 s[4:5], s[26:27], s[4:5]
	s_and_b64 s[26:27], vcc, s[4:5]
	s_xor_b64 s[4:5], s[26:27], -1
                                        ; implicit-def: $vgpr82
	s_and_saveexec_b64 s[28:29], s[4:5]
	s_xor_b64 s[28:29], exec, s[28:29]
; %bb.247:                              ;   in Loop: Header=BB79_2 Depth=1
	ds_read_u8 v82, v81 offset:1
; %bb.248:                              ;   in Loop: Header=BB79_2 Depth=1
	s_or_saveexec_b64 s[28:29], s[28:29]
	v_mov_b32_e32 v83, v79
	s_xor_b64 exec, exec, s[28:29]
	s_cbranch_execz .LBB79_250
; %bb.249:                              ;   in Loop: Header=BB79_2 Depth=1
	ds_read_u8 v83, v80 offset:1
	s_waitcnt lgkmcnt(1)
	v_mov_b32_e32 v82, v78
.LBB79_250:                             ;   in Loop: Header=BB79_2 Depth=1
	s_or_b64 exec, exec, s[28:29]
	v_add_u32_e32 v85, 1, v81
	v_add_u32_e32 v84, 1, v80
	v_cndmask_b32_e64 v85, v85, v81, s[26:27]
	v_cndmask_b32_e64 v84, v80, v84, s[26:27]
	v_cmp_ge_i32_e64 s[28:29], v85, v28
	s_waitcnt lgkmcnt(0)
	v_cmp_lt_i16_sdwa s[4:5], sext(v83), sext(v82) src0_sel:BYTE_0 src1_sel:BYTE_0
	v_cmp_lt_i32_e32 vcc, v84, v29
	s_or_b64 s[4:5], s[28:29], s[4:5]
	s_and_b64 vcc, vcc, s[4:5]
	s_xor_b64 s[4:5], vcc, -1
                                        ; implicit-def: $vgpr86
	s_and_saveexec_b64 s[28:29], s[4:5]
	s_xor_b64 s[28:29], exec, s[28:29]
; %bb.251:                              ;   in Loop: Header=BB79_2 Depth=1
	ds_read_u8 v86, v85 offset:1
; %bb.252:                              ;   in Loop: Header=BB79_2 Depth=1
	s_or_saveexec_b64 s[28:29], s[28:29]
	v_mov_b32_e32 v87, v83
	s_xor_b64 exec, exec, s[28:29]
	s_cbranch_execz .LBB79_254
; %bb.253:                              ;   in Loop: Header=BB79_2 Depth=1
	ds_read_u8 v87, v84 offset:1
	s_waitcnt lgkmcnt(1)
	v_mov_b32_e32 v86, v82
.LBB79_254:                             ;   in Loop: Header=BB79_2 Depth=1
	s_or_b64 exec, exec, s[28:29]
	v_add_u32_e32 v90, 1, v85
	v_add_u32_e32 v88, 1, v84
	v_cndmask_b32_e32 v90, v90, v85, vcc
	v_cndmask_b32_e32 v89, v84, v88, vcc
	v_cmp_ge_i32_e64 s[30:31], v90, v28
	s_waitcnt lgkmcnt(0)
	v_cmp_lt_i16_sdwa s[4:5], sext(v87), sext(v86) src0_sel:BYTE_0 src1_sel:BYTE_0
	v_cmp_lt_i32_e64 s[28:29], v89, v29
	s_or_b64 s[4:5], s[30:31], s[4:5]
	s_and_b64 s[28:29], s[28:29], s[4:5]
	s_xor_b64 s[4:5], s[28:29], -1
                                        ; implicit-def: $vgpr88
	s_and_saveexec_b64 s[30:31], s[4:5]
	s_xor_b64 s[30:31], exec, s[30:31]
; %bb.255:                              ;   in Loop: Header=BB79_2 Depth=1
	ds_read_u8 v88, v90 offset:1
; %bb.256:                              ;   in Loop: Header=BB79_2 Depth=1
	s_or_saveexec_b64 s[30:31], s[30:31]
	v_mov_b32_e32 v91, v87
	s_xor_b64 exec, exec, s[30:31]
	s_cbranch_execz .LBB79_258
; %bb.257:                              ;   in Loop: Header=BB79_2 Depth=1
	ds_read_u8 v91, v89 offset:1
	s_waitcnt lgkmcnt(1)
	v_mov_b32_e32 v88, v86
.LBB79_258:                             ;   in Loop: Header=BB79_2 Depth=1
	s_or_b64 exec, exec, s[30:31]
	v_add_u32_e32 v92, 1, v90
	v_cndmask_b32_e64 v86, v86, v87, s[28:29]
	v_add_u32_e32 v87, 1, v89
	v_cndmask_b32_e64 v92, v92, v90, s[28:29]
	v_cndmask_b32_e64 v87, v89, v87, s[28:29]
	;; [unrolled: 1-line block ×4, first 2 shown]
	v_cmp_ge_i32_e64 s[18:19], v92, v28
	s_waitcnt lgkmcnt(0)
	v_cmp_lt_i16_sdwa s[4:5], sext(v91), sext(v88) src0_sel:BYTE_0 src1_sel:BYTE_0
	v_cndmask_b32_sdwa v82, v82, v83, vcc dst_sel:BYTE_1 dst_unused:UNUSED_PAD src0_sel:DWORD src1_sel:DWORD
	v_cndmask_b32_e32 v83, v85, v84, vcc
	v_cmp_lt_i32_e32 vcc, v87, v29
	s_or_b64 s[4:5], s[18:19], s[4:5]
	v_perm_b32 v59, v59, v60, s92
	v_perm_b32 v58, v61, v58, s92
	;; [unrolled: 1-line block ×4, first 2 shown]
	s_and_b64 vcc, vcc, s[4:5]
	v_lshl_or_b32 v59, v58, 16, v59
	v_lshl_or_b32 v58, v2, 16, v1
	v_cndmask_b32_e64 v89, v90, v89, s[28:29]
	v_cndmask_b32_e64 v78, v78, v79, s[26:27]
	;; [unrolled: 1-line block ×9, first 2 shown]
	v_cndmask_b32_e32 v65, v92, v87, vcc
	s_barrier
	ds_write_b64 v5, v[58:59]
	s_waitcnt lgkmcnt(0)
	s_barrier
	ds_read_u8 v1, v62
	ds_read_u8 v58, v65
	ds_read_u8 v2, v67
	ds_read_u8 v3, v71
	ds_read_u8 v4, v75
	ds_read_u8 v59, v79
	ds_read_u8 v60, v83
	ds_read_u8 v61, v89
	v_lshlrev_b16_e32 v62, 8, v66
	v_cndmask_b32_e32 v63, v88, v91, vcc
	v_or_b32_sdwa v62, v64, v62 dst_sel:DWORD dst_unused:UNUSED_PAD src0_sel:BYTE_0 src1_sel:DWORD
	v_lshlrev_b16_e32 v64, 8, v74
	v_or_b32_sdwa v64, v70, v64 dst_sel:WORD_1 dst_unused:UNUSED_PAD src0_sel:BYTE_0 src1_sel:DWORD
	v_lshlrev_b16_e32 v63, 8, v63
	v_or_b32_sdwa v62, v62, v64 dst_sel:DWORD dst_unused:UNUSED_PAD src0_sel:WORD_0 src1_sel:DWORD
	v_or_b32_sdwa v64, v78, v82 dst_sel:DWORD dst_unused:UNUSED_PAD src0_sel:BYTE_0 src1_sel:DWORD
	v_or_b32_sdwa v63, v86, v63 dst_sel:WORD_1 dst_unused:UNUSED_PAD src0_sel:BYTE_0 src1_sel:DWORD
	v_or_b32_sdwa v63, v64, v63 dst_sel:DWORD dst_unused:UNUSED_PAD src0_sel:WORD_0 src1_sel:DWORD
	s_waitcnt lgkmcnt(0)
	s_barrier
	ds_write_b64 v5, v[62:63]
	v_mov_b32_e32 v62, v55
	s_waitcnt lgkmcnt(0)
	s_barrier
	s_and_saveexec_b64 s[18:19], s[16:17]
	s_cbranch_execz .LBB79_262
; %bb.259:                              ;   in Loop: Header=BB79_2 Depth=1
	s_mov_b64 s[20:21], 0
	v_mov_b32_e32 v62, v55
	v_mov_b32_e32 v63, v56
.LBB79_260:                             ;   Parent Loop BB79_2 Depth=1
                                        ; =>  This Inner Loop Header: Depth=2
	v_sub_u32_e32 v64, v63, v62
	v_lshrrev_b32_e32 v64, 1, v64
	v_add_u32_e32 v64, v64, v62
	v_xad_u32 v65, v64, -1, v57
	ds_read_i8 v66, v64
	ds_read_i8 v65, v65
	v_add_u32_e32 v67, 1, v64
	s_waitcnt lgkmcnt(0)
	v_cmp_lt_i16_e32 vcc, v65, v66
	v_cndmask_b32_e32 v63, v63, v64, vcc
	v_cndmask_b32_e32 v62, v67, v62, vcc
	v_cmp_ge_i32_e32 vcc, v62, v63
	s_or_b64 s[20:21], vcc, s[20:21]
	s_andn2_b64 exec, exec, s[20:21]
	s_cbranch_execnz .LBB79_260
; %bb.261:                              ;   in Loop: Header=BB79_2 Depth=1
	s_or_b64 exec, exec, s[20:21]
.LBB79_262:                             ;   in Loop: Header=BB79_2 Depth=1
	s_or_b64 exec, exec, s[18:19]
	v_sub_u32_e32 v63, v57, v62
	ds_read_u8 v64, v62
	ds_read_u8 v65, v63
	v_cmp_le_i32_e64 s[18:19], v54, v62
	v_cmp_gt_i32_e32 vcc, s3, v63
                                        ; implicit-def: $vgpr66
	s_waitcnt lgkmcnt(1)
	v_bfe_i32 v64, v64, 0, 8
	s_waitcnt lgkmcnt(0)
	v_bfe_i32 v65, v65, 0, 8
	v_cmp_lt_i16_e64 s[20:21], v65, v64
	s_or_b64 s[4:5], s[18:19], s[20:21]
	s_and_b64 vcc, vcc, s[4:5]
	s_xor_b64 s[4:5], vcc, -1
	s_and_saveexec_b64 s[18:19], s[4:5]
	s_xor_b64 s[18:19], exec, s[18:19]
; %bb.263:                              ;   in Loop: Header=BB79_2 Depth=1
	ds_read_u8 v66, v62 offset:1
; %bb.264:                              ;   in Loop: Header=BB79_2 Depth=1
	s_or_saveexec_b64 s[18:19], s[18:19]
	v_mov_b32_e32 v67, v65
	s_xor_b64 exec, exec, s[18:19]
	s_cbranch_execz .LBB79_266
; %bb.265:                              ;   in Loop: Header=BB79_2 Depth=1
	ds_read_u8 v67, v63 offset:1
	s_waitcnt lgkmcnt(1)
	v_mov_b32_e32 v66, v64
.LBB79_266:                             ;   in Loop: Header=BB79_2 Depth=1
	s_or_b64 exec, exec, s[18:19]
	v_add_u32_e32 v69, 1, v62
	v_add_u32_e32 v68, 1, v63
	v_cndmask_b32_e32 v69, v69, v62, vcc
	v_cndmask_b32_e32 v68, v63, v68, vcc
	v_cmp_ge_i32_e64 s[20:21], v69, v54
	s_waitcnt lgkmcnt(0)
	v_cmp_lt_i16_sdwa s[4:5], sext(v67), sext(v66) src0_sel:BYTE_0 src1_sel:BYTE_0
	v_cmp_gt_i32_e64 s[18:19], s3, v68
	s_or_b64 s[4:5], s[20:21], s[4:5]
	s_and_b64 s[18:19], s[18:19], s[4:5]
	s_xor_b64 s[4:5], s[18:19], -1
                                        ; implicit-def: $vgpr70
	s_and_saveexec_b64 s[20:21], s[4:5]
	s_xor_b64 s[20:21], exec, s[20:21]
; %bb.267:                              ;   in Loop: Header=BB79_2 Depth=1
	ds_read_u8 v70, v69 offset:1
; %bb.268:                              ;   in Loop: Header=BB79_2 Depth=1
	s_or_saveexec_b64 s[20:21], s[20:21]
	v_mov_b32_e32 v71, v67
	s_xor_b64 exec, exec, s[20:21]
	s_cbranch_execz .LBB79_270
; %bb.269:                              ;   in Loop: Header=BB79_2 Depth=1
	ds_read_u8 v71, v68 offset:1
	s_waitcnt lgkmcnt(1)
	v_mov_b32_e32 v70, v66
.LBB79_270:                             ;   in Loop: Header=BB79_2 Depth=1
	s_or_b64 exec, exec, s[20:21]
	v_add_u32_e32 v73, 1, v69
	v_add_u32_e32 v72, 1, v68
	v_cndmask_b32_e64 v73, v73, v69, s[18:19]
	v_cndmask_b32_e64 v72, v68, v72, s[18:19]
	v_cmp_ge_i32_e64 s[22:23], v73, v54
	s_waitcnt lgkmcnt(0)
	v_cmp_lt_i16_sdwa s[4:5], sext(v71), sext(v70) src0_sel:BYTE_0 src1_sel:BYTE_0
	v_cmp_gt_i32_e64 s[20:21], s3, v72
	s_or_b64 s[4:5], s[22:23], s[4:5]
	s_and_b64 s[20:21], s[20:21], s[4:5]
	s_xor_b64 s[4:5], s[20:21], -1
                                        ; implicit-def: $vgpr74
	s_and_saveexec_b64 s[22:23], s[4:5]
	s_xor_b64 s[22:23], exec, s[22:23]
; %bb.271:                              ;   in Loop: Header=BB79_2 Depth=1
	ds_read_u8 v74, v73 offset:1
; %bb.272:                              ;   in Loop: Header=BB79_2 Depth=1
	s_or_saveexec_b64 s[22:23], s[22:23]
	v_mov_b32_e32 v75, v71
	s_xor_b64 exec, exec, s[22:23]
	s_cbranch_execz .LBB79_274
; %bb.273:                              ;   in Loop: Header=BB79_2 Depth=1
	ds_read_u8 v75, v72 offset:1
	s_waitcnt lgkmcnt(1)
	v_mov_b32_e32 v74, v70
.LBB79_274:                             ;   in Loop: Header=BB79_2 Depth=1
	s_or_b64 exec, exec, s[22:23]
	v_add_u32_e32 v77, 1, v73
	v_add_u32_e32 v76, 1, v72
	v_cndmask_b32_e64 v77, v77, v73, s[20:21]
	v_cndmask_b32_e64 v76, v72, v76, s[20:21]
	v_cmp_ge_i32_e64 s[24:25], v77, v54
	s_waitcnt lgkmcnt(0)
	v_cmp_lt_i16_sdwa s[4:5], sext(v75), sext(v74) src0_sel:BYTE_0 src1_sel:BYTE_0
	v_cmp_gt_i32_e64 s[22:23], s3, v76
	s_or_b64 s[4:5], s[24:25], s[4:5]
	s_and_b64 s[22:23], s[22:23], s[4:5]
	s_xor_b64 s[4:5], s[22:23], -1
                                        ; implicit-def: $vgpr78
	s_and_saveexec_b64 s[24:25], s[4:5]
	s_xor_b64 s[24:25], exec, s[24:25]
; %bb.275:                              ;   in Loop: Header=BB79_2 Depth=1
	ds_read_u8 v78, v77 offset:1
; %bb.276:                              ;   in Loop: Header=BB79_2 Depth=1
	s_or_saveexec_b64 s[24:25], s[24:25]
	v_mov_b32_e32 v79, v75
	s_xor_b64 exec, exec, s[24:25]
	s_cbranch_execz .LBB79_278
; %bb.277:                              ;   in Loop: Header=BB79_2 Depth=1
	ds_read_u8 v79, v76 offset:1
	s_waitcnt lgkmcnt(1)
	v_mov_b32_e32 v78, v74
.LBB79_278:                             ;   in Loop: Header=BB79_2 Depth=1
	s_or_b64 exec, exec, s[24:25]
	v_add_u32_e32 v81, 1, v77
	v_add_u32_e32 v80, 1, v76
	v_cndmask_b32_e64 v81, v81, v77, s[22:23]
	v_cndmask_b32_e64 v80, v76, v80, s[22:23]
	v_cmp_ge_i32_e64 s[26:27], v81, v54
	s_waitcnt lgkmcnt(0)
	v_cmp_lt_i16_sdwa s[4:5], sext(v79), sext(v78) src0_sel:BYTE_0 src1_sel:BYTE_0
	v_cmp_gt_i32_e64 s[24:25], s3, v80
	s_or_b64 s[4:5], s[26:27], s[4:5]
	s_and_b64 s[24:25], s[24:25], s[4:5]
	s_xor_b64 s[4:5], s[24:25], -1
                                        ; implicit-def: $vgpr82
	s_and_saveexec_b64 s[26:27], s[4:5]
	s_xor_b64 s[26:27], exec, s[26:27]
; %bb.279:                              ;   in Loop: Header=BB79_2 Depth=1
	ds_read_u8 v82, v81 offset:1
; %bb.280:                              ;   in Loop: Header=BB79_2 Depth=1
	s_or_saveexec_b64 s[26:27], s[26:27]
	v_mov_b32_e32 v83, v79
	s_xor_b64 exec, exec, s[26:27]
	s_cbranch_execz .LBB79_282
; %bb.281:                              ;   in Loop: Header=BB79_2 Depth=1
	ds_read_u8 v83, v80 offset:1
	s_waitcnt lgkmcnt(1)
	v_mov_b32_e32 v82, v78
.LBB79_282:                             ;   in Loop: Header=BB79_2 Depth=1
	s_or_b64 exec, exec, s[26:27]
	v_add_u32_e32 v85, 1, v81
	v_add_u32_e32 v84, 1, v80
	v_cndmask_b32_e64 v85, v85, v81, s[24:25]
	v_cndmask_b32_e64 v84, v80, v84, s[24:25]
	v_cmp_ge_i32_e64 s[28:29], v85, v54
	s_waitcnt lgkmcnt(0)
	v_cmp_lt_i16_sdwa s[4:5], sext(v83), sext(v82) src0_sel:BYTE_0 src1_sel:BYTE_0
	v_cmp_gt_i32_e64 s[26:27], s3, v84
	s_or_b64 s[4:5], s[28:29], s[4:5]
	s_and_b64 s[26:27], s[26:27], s[4:5]
	s_xor_b64 s[4:5], s[26:27], -1
                                        ; implicit-def: $vgpr86
	s_and_saveexec_b64 s[28:29], s[4:5]
	s_xor_b64 s[28:29], exec, s[28:29]
; %bb.283:                              ;   in Loop: Header=BB79_2 Depth=1
	ds_read_u8 v86, v85 offset:1
; %bb.284:                              ;   in Loop: Header=BB79_2 Depth=1
	s_or_saveexec_b64 s[28:29], s[28:29]
	v_mov_b32_e32 v87, v83
	s_xor_b64 exec, exec, s[28:29]
	s_cbranch_execz .LBB79_286
; %bb.285:                              ;   in Loop: Header=BB79_2 Depth=1
	ds_read_u8 v87, v84 offset:1
	s_waitcnt lgkmcnt(1)
	v_mov_b32_e32 v86, v82
.LBB79_286:                             ;   in Loop: Header=BB79_2 Depth=1
	s_or_b64 exec, exec, s[28:29]
	v_add_u32_e32 v89, 1, v85
	v_add_u32_e32 v88, 1, v84
	v_cndmask_b32_e64 v92, v89, v85, s[26:27]
	v_cndmask_b32_e64 v88, v84, v88, s[26:27]
	v_cmp_ge_i32_e64 s[30:31], v92, v54
	s_waitcnt lgkmcnt(0)
	v_cmp_lt_i16_sdwa s[4:5], sext(v87), sext(v86) src0_sel:BYTE_0 src1_sel:BYTE_0
	v_cmp_gt_i32_e64 s[28:29], s3, v88
	s_or_b64 s[4:5], s[30:31], s[4:5]
	s_and_b64 s[28:29], s[28:29], s[4:5]
	s_xor_b64 s[4:5], s[28:29], -1
                                        ; implicit-def: $vgpr91
                                        ; implicit-def: $vgpr90
	s_and_saveexec_b64 s[30:31], s[4:5]
	s_xor_b64 s[30:31], exec, s[30:31]
; %bb.287:                              ;   in Loop: Header=BB79_2 Depth=1
	ds_read_u8 v91, v92 offset:1
	v_add_u32_e32 v90, 1, v92
; %bb.288:                              ;   in Loop: Header=BB79_2 Depth=1
	s_or_saveexec_b64 s[30:31], s[30:31]
	v_mov_b32_e32 v89, v92
	v_mov_b32_e32 v93, v87
	s_xor_b64 exec, exec, s[30:31]
	s_cbranch_execz .LBB79_1
; %bb.289:                              ;   in Loop: Header=BB79_2 Depth=1
	ds_read_u8 v93, v88 offset:1
	s_waitcnt lgkmcnt(1)
	v_add_u32_e32 v91, 1, v88
	v_mov_b32_e32 v89, v88
	v_mov_b32_e32 v90, v92
	;; [unrolled: 1-line block ×4, first 2 shown]
	s_branch .LBB79_1
.LBB79_290:
	v_readlane_b32 s0, v94, 1
	v_readlane_b32 s2, v94, 3
	v_readlane_b32 s0, v94, 0
	v_readlane_b32 s1, v94, 2
	v_readlane_b32 s3, v94, 4
	s_add_u32 s0, s2, s0
	s_addc_u32 s1, s3, 0
	v_mov_b32_e32 v1, s1
	v_add_co_u32_e32 v0, vcc, s0, v0
	v_add_u16_e32 v2, v64, v58
	v_addc_co_u32_e32 v1, vcc, 0, v1, vcc
	v_add_u16_e32 v3, v65, v61
	v_add_u16_e32 v4, v66, v63
	;; [unrolled: 1-line block ×7, first 2 shown]
	global_store_byte v[0:1], v2, off
	global_store_byte v[0:1], v3, off offset:512
	global_store_byte v[0:1], v4, off offset:1024
	;; [unrolled: 1-line block ×7, first 2 shown]
	s_endpgm
	.section	.rodata,"a",@progbits
	.p2align	6, 0x0
	.amdhsa_kernel _Z17sort_pairs_kernelIaLj512ELj8EN10test_utils4lessELj10EEvPKT_PS2_T2_
		.amdhsa_group_segment_fixed_size 4097
		.amdhsa_private_segment_fixed_size 0
		.amdhsa_kernarg_size 20
		.amdhsa_user_sgpr_count 6
		.amdhsa_user_sgpr_private_segment_buffer 1
		.amdhsa_user_sgpr_dispatch_ptr 0
		.amdhsa_user_sgpr_queue_ptr 0
		.amdhsa_user_sgpr_kernarg_segment_ptr 1
		.amdhsa_user_sgpr_dispatch_id 0
		.amdhsa_user_sgpr_flat_scratch_init 0
		.amdhsa_user_sgpr_private_segment_size 0
		.amdhsa_uses_dynamic_stack 0
		.amdhsa_system_sgpr_private_segment_wavefront_offset 0
		.amdhsa_system_sgpr_workgroup_id_x 1
		.amdhsa_system_sgpr_workgroup_id_y 0
		.amdhsa_system_sgpr_workgroup_id_z 0
		.amdhsa_system_sgpr_workgroup_info 0
		.amdhsa_system_vgpr_workitem_id 0
		.amdhsa_next_free_vgpr 95
		.amdhsa_next_free_sgpr 96
		.amdhsa_reserve_vcc 1
		.amdhsa_reserve_flat_scratch 0
		.amdhsa_float_round_mode_32 0
		.amdhsa_float_round_mode_16_64 0
		.amdhsa_float_denorm_mode_32 3
		.amdhsa_float_denorm_mode_16_64 3
		.amdhsa_dx10_clamp 1
		.amdhsa_ieee_mode 1
		.amdhsa_fp16_overflow 0
		.amdhsa_exception_fp_ieee_invalid_op 0
		.amdhsa_exception_fp_denorm_src 0
		.amdhsa_exception_fp_ieee_div_zero 0
		.amdhsa_exception_fp_ieee_overflow 0
		.amdhsa_exception_fp_ieee_underflow 0
		.amdhsa_exception_fp_ieee_inexact 0
		.amdhsa_exception_int_div_zero 0
	.end_amdhsa_kernel
	.section	.text._Z17sort_pairs_kernelIaLj512ELj8EN10test_utils4lessELj10EEvPKT_PS2_T2_,"axG",@progbits,_Z17sort_pairs_kernelIaLj512ELj8EN10test_utils4lessELj10EEvPKT_PS2_T2_,comdat
.Lfunc_end79:
	.size	_Z17sort_pairs_kernelIaLj512ELj8EN10test_utils4lessELj10EEvPKT_PS2_T2_, .Lfunc_end79-_Z17sort_pairs_kernelIaLj512ELj8EN10test_utils4lessELj10EEvPKT_PS2_T2_
                                        ; -- End function
	.set _Z17sort_pairs_kernelIaLj512ELj8EN10test_utils4lessELj10EEvPKT_PS2_T2_.num_vgpr, 95
	.set _Z17sort_pairs_kernelIaLj512ELj8EN10test_utils4lessELj10EEvPKT_PS2_T2_.num_agpr, 0
	.set _Z17sort_pairs_kernelIaLj512ELj8EN10test_utils4lessELj10EEvPKT_PS2_T2_.numbered_sgpr, 96
	.set _Z17sort_pairs_kernelIaLj512ELj8EN10test_utils4lessELj10EEvPKT_PS2_T2_.num_named_barrier, 0
	.set _Z17sort_pairs_kernelIaLj512ELj8EN10test_utils4lessELj10EEvPKT_PS2_T2_.private_seg_size, 0
	.set _Z17sort_pairs_kernelIaLj512ELj8EN10test_utils4lessELj10EEvPKT_PS2_T2_.uses_vcc, 1
	.set _Z17sort_pairs_kernelIaLj512ELj8EN10test_utils4lessELj10EEvPKT_PS2_T2_.uses_flat_scratch, 0
	.set _Z17sort_pairs_kernelIaLj512ELj8EN10test_utils4lessELj10EEvPKT_PS2_T2_.has_dyn_sized_stack, 0
	.set _Z17sort_pairs_kernelIaLj512ELj8EN10test_utils4lessELj10EEvPKT_PS2_T2_.has_recursion, 0
	.set _Z17sort_pairs_kernelIaLj512ELj8EN10test_utils4lessELj10EEvPKT_PS2_T2_.has_indirect_call, 0
	.section	.AMDGPU.csdata,"",@progbits
; Kernel info:
; codeLenInByte = 14728
; TotalNumSgprs: 100
; NumVgprs: 95
; ScratchSize: 0
; MemoryBound: 0
; FloatMode: 240
; IeeeMode: 1
; LDSByteSize: 4097 bytes/workgroup (compile time only)
; SGPRBlocks: 12
; VGPRBlocks: 23
; NumSGPRsForWavesPerEU: 100
; NumVGPRsForWavesPerEU: 95
; Occupancy: 2
; WaveLimiterHint : 1
; COMPUTE_PGM_RSRC2:SCRATCH_EN: 0
; COMPUTE_PGM_RSRC2:USER_SGPR: 6
; COMPUTE_PGM_RSRC2:TRAP_HANDLER: 0
; COMPUTE_PGM_RSRC2:TGID_X_EN: 1
; COMPUTE_PGM_RSRC2:TGID_Y_EN: 0
; COMPUTE_PGM_RSRC2:TGID_Z_EN: 0
; COMPUTE_PGM_RSRC2:TIDIG_COMP_CNT: 0
	.section	.text._Z16sort_keys_kernelIhLj64ELj1EN10test_utils4lessELj10EEvPKT_PS2_T2_,"axG",@progbits,_Z16sort_keys_kernelIhLj64ELj1EN10test_utils4lessELj10EEvPKT_PS2_T2_,comdat
	.protected	_Z16sort_keys_kernelIhLj64ELj1EN10test_utils4lessELj10EEvPKT_PS2_T2_ ; -- Begin function _Z16sort_keys_kernelIhLj64ELj1EN10test_utils4lessELj10EEvPKT_PS2_T2_
	.globl	_Z16sort_keys_kernelIhLj64ELj1EN10test_utils4lessELj10EEvPKT_PS2_T2_
	.p2align	8
	.type	_Z16sort_keys_kernelIhLj64ELj1EN10test_utils4lessELj10EEvPKT_PS2_T2_,@function
_Z16sort_keys_kernelIhLj64ELj1EN10test_utils4lessELj10EEvPKT_PS2_T2_: ; @_Z16sort_keys_kernelIhLj64ELj1EN10test_utils4lessELj10EEvPKT_PS2_T2_
; %bb.0:
	s_load_dwordx4 s[12:15], s[4:5], 0x0
	s_lshl_b32 s18, s6, 6
	v_and_b32_e32 v1, 60, v0
	v_and_b32_e32 v3, 56, v0
	;; [unrolled: 1-line block ×3, first 2 shown]
	s_waitcnt lgkmcnt(0)
	s_add_u32 s0, s12, s18
	s_addc_u32 s1, s13, 0
	global_load_ubyte v34, v0, s[0:1]
	v_and_b32_e32 v7, 32, v0
	v_or_b32_e32 v17, 2, v1
	v_add_u32_e32 v2, 4, v1
	v_or_b32_e32 v21, 4, v3
	v_add_u32_e32 v4, 8, v3
	;; [unrolled: 2-line block ×4, first 2 shown]
	v_and_b32_e32 v18, 3, v0
	v_sub_u32_e32 v15, v2, v17
	v_and_b32_e32 v22, 7, v0
	v_sub_u32_e32 v19, v4, v21
	;; [unrolled: 2-line block ×5, first 2 shown]
	v_sub_u32_e32 v20, v22, v19
	v_sub_u32_e32 v24, v26, v23
	;; [unrolled: 1-line block ×3, first 2 shown]
	v_and_b32_e32 v14, 1, v0
	v_or_b32_e32 v11, 1, v10
	v_cmp_ge_i32_e64 s[0:1], v18, v15
	v_cmp_ge_i32_e64 s[2:3], v22, v19
	;; [unrolled: 1-line block ×4, first 2 shown]
	v_add_u32_e32 v9, -1, v14
	v_cmp_lt_i32_e32 vcc, 0, v14
	v_sub_u32_e32 v12, v11, v10
	v_cndmask_b32_e64 v15, 0, v16, s[0:1]
	v_sub_u32_e32 v16, v17, v1
	v_cndmask_b32_e64 v19, 0, v20, s[2:3]
	;; [unrolled: 2-line block ×4, first 2 shown]
	v_sub_u32_e32 v28, v29, v7
	v_cndmask_b32_e32 v9, 0, v9, vcc
	v_min_i32_e32 v13, v14, v12
	v_add_u32_e32 v17, v17, v18
	v_min_i32_e32 v18, v18, v16
	v_add_u32_e32 v21, v21, v22
	;; [unrolled: 2-line block ×4, first 2 shown]
	v_min_i32_e32 v30, v30, v28
	v_sub_u32_e64 v31, v0, 32 clamp
	v_min_i32_e32 v32, 32, v0
	s_mov_b32 s19, 0
	v_cmp_lt_i32_e32 vcc, v9, v13
	v_add_u32_e32 v14, v11, v14
	v_cmp_lt_i32_e64 s[0:1], v15, v18
	v_cmp_lt_i32_e64 s[2:3], v19, v22
	;; [unrolled: 1-line block ×5, first 2 shown]
	v_add_u32_e32 v33, 32, v0
	s_branch .LBB80_2
.LBB80_1:                               ;   in Loop: Header=BB80_2 Depth=1
	s_or_b64 exec, exec, s[12:13]
	v_sub_u32_e32 v35, v33, v34
	ds_read_u8 v36, v34
	ds_read_u8 v37, v35
	v_cmp_le_i32_e64 s[10:11], 32, v34
	v_cmp_gt_i32_e64 s[12:13], 64, v35
	s_add_i32 s19, s19, 1
	s_waitcnt lgkmcnt(0)
	v_cmp_lt_u16_sdwa s[16:17], v37, v36 src0_sel:BYTE_0 src1_sel:BYTE_0
	s_or_b64 s[10:11], s[10:11], s[16:17]
	s_and_b64 s[10:11], s[12:13], s[10:11]
	s_cmp_eq_u32 s19, 10
	v_cndmask_b32_e64 v34, v36, v37, s[10:11]
	s_cbranch_scc1 .LBB80_26
.LBB80_2:                               ; =>This Loop Header: Depth=1
                                        ;     Child Loop BB80_4 Depth 2
                                        ;     Child Loop BB80_8 Depth 2
	;; [unrolled: 1-line block ×6, first 2 shown]
	s_waitcnt vmcnt(0)
	; wave barrier
	ds_write_b8 v0, v34
	v_mov_b32_e32 v34, v9
	s_waitcnt lgkmcnt(0)
	; wave barrier
	s_and_saveexec_b64 s[12:13], vcc
	s_cbranch_execz .LBB80_6
; %bb.3:                                ;   in Loop: Header=BB80_2 Depth=1
	s_mov_b64 s[16:17], 0
	v_mov_b32_e32 v34, v9
	v_mov_b32_e32 v35, v13
.LBB80_4:                               ;   Parent Loop BB80_2 Depth=1
                                        ; =>  This Inner Loop Header: Depth=2
	v_sub_u32_e32 v36, v35, v34
	v_lshrrev_b32_e32 v36, 1, v36
	v_add_u32_e32 v36, v36, v34
	v_add_u32_e32 v37, v10, v36
	v_xad_u32 v38, v36, -1, v14
	ds_read_u8 v37, v37
	ds_read_u8 v38, v38
	v_add_u32_e32 v39, 1, v36
	s_waitcnt lgkmcnt(0)
	v_cmp_lt_u16_e64 s[10:11], v38, v37
	v_cndmask_b32_e64 v35, v35, v36, s[10:11]
	v_cndmask_b32_e64 v34, v39, v34, s[10:11]
	v_cmp_ge_i32_e64 s[10:11], v34, v35
	s_or_b64 s[16:17], s[10:11], s[16:17]
	s_andn2_b64 exec, exec, s[16:17]
	s_cbranch_execnz .LBB80_4
; %bb.5:                                ;   in Loop: Header=BB80_2 Depth=1
	s_or_b64 exec, exec, s[16:17]
.LBB80_6:                               ;   in Loop: Header=BB80_2 Depth=1
	s_or_b64 exec, exec, s[12:13]
	v_add_u32_e32 v36, v10, v34
	v_sub_u32_e32 v35, v14, v34
	ds_read_u8 v36, v36
	ds_read_u8 v37, v35
	v_cmp_ge_i32_e64 s[10:11], v34, v12
	v_cmp_ge_i32_e64 s[12:13], v11, v35
	s_waitcnt lgkmcnt(0)
	; wave barrier
	v_cmp_lt_u16_sdwa s[16:17], v37, v36 src0_sel:BYTE_0 src1_sel:BYTE_0
	s_or_b64 s[10:11], s[10:11], s[16:17]
	s_and_b64 s[10:11], s[12:13], s[10:11]
	v_cndmask_b32_e64 v34, v36, v37, s[10:11]
	ds_write_b8 v0, v34
	v_mov_b32_e32 v34, v15
	s_waitcnt lgkmcnt(0)
	; wave barrier
	s_and_saveexec_b64 s[12:13], s[0:1]
	s_cbranch_execz .LBB80_10
; %bb.7:                                ;   in Loop: Header=BB80_2 Depth=1
	s_mov_b64 s[16:17], 0
	v_mov_b32_e32 v34, v15
	v_mov_b32_e32 v35, v18
.LBB80_8:                               ;   Parent Loop BB80_2 Depth=1
                                        ; =>  This Inner Loop Header: Depth=2
	v_sub_u32_e32 v36, v35, v34
	v_lshrrev_b32_e32 v36, 1, v36
	v_add_u32_e32 v36, v36, v34
	v_add_u32_e32 v37, v1, v36
	v_xad_u32 v38, v36, -1, v17
	ds_read_u8 v37, v37
	ds_read_u8 v38, v38
	v_add_u32_e32 v39, 1, v36
	s_waitcnt lgkmcnt(0)
	v_cmp_lt_u16_e64 s[10:11], v38, v37
	v_cndmask_b32_e64 v35, v35, v36, s[10:11]
	v_cndmask_b32_e64 v34, v39, v34, s[10:11]
	v_cmp_ge_i32_e64 s[10:11], v34, v35
	s_or_b64 s[16:17], s[10:11], s[16:17]
	s_andn2_b64 exec, exec, s[16:17]
	s_cbranch_execnz .LBB80_8
; %bb.9:                                ;   in Loop: Header=BB80_2 Depth=1
	s_or_b64 exec, exec, s[16:17]
.LBB80_10:                              ;   in Loop: Header=BB80_2 Depth=1
	s_or_b64 exec, exec, s[12:13]
	v_add_u32_e32 v36, v1, v34
	v_sub_u32_e32 v35, v17, v34
	ds_read_u8 v36, v36
	ds_read_u8 v37, v35
	v_cmp_ge_i32_e64 s[10:11], v34, v16
	v_cmp_gt_i32_e64 s[12:13], v2, v35
	s_waitcnt lgkmcnt(0)
	; wave barrier
	v_cmp_lt_u16_sdwa s[16:17], v37, v36 src0_sel:BYTE_0 src1_sel:BYTE_0
	s_or_b64 s[10:11], s[10:11], s[16:17]
	s_and_b64 s[10:11], s[12:13], s[10:11]
	v_cndmask_b32_e64 v34, v36, v37, s[10:11]
	ds_write_b8 v0, v34
	v_mov_b32_e32 v34, v19
	s_waitcnt lgkmcnt(0)
	; wave barrier
	s_and_saveexec_b64 s[12:13], s[2:3]
	s_cbranch_execz .LBB80_14
; %bb.11:                               ;   in Loop: Header=BB80_2 Depth=1
	s_mov_b64 s[16:17], 0
	v_mov_b32_e32 v34, v19
	v_mov_b32_e32 v35, v22
.LBB80_12:                              ;   Parent Loop BB80_2 Depth=1
                                        ; =>  This Inner Loop Header: Depth=2
	v_sub_u32_e32 v36, v35, v34
	v_lshrrev_b32_e32 v36, 1, v36
	v_add_u32_e32 v36, v36, v34
	v_add_u32_e32 v37, v3, v36
	v_xad_u32 v38, v36, -1, v21
	ds_read_u8 v37, v37
	ds_read_u8 v38, v38
	v_add_u32_e32 v39, 1, v36
	s_waitcnt lgkmcnt(0)
	v_cmp_lt_u16_e64 s[10:11], v38, v37
	v_cndmask_b32_e64 v35, v35, v36, s[10:11]
	v_cndmask_b32_e64 v34, v39, v34, s[10:11]
	v_cmp_ge_i32_e64 s[10:11], v34, v35
	s_or_b64 s[16:17], s[10:11], s[16:17]
	s_andn2_b64 exec, exec, s[16:17]
	s_cbranch_execnz .LBB80_12
; %bb.13:                               ;   in Loop: Header=BB80_2 Depth=1
	s_or_b64 exec, exec, s[16:17]
.LBB80_14:                              ;   in Loop: Header=BB80_2 Depth=1
	s_or_b64 exec, exec, s[12:13]
	v_add_u32_e32 v36, v3, v34
	v_sub_u32_e32 v35, v21, v34
	ds_read_u8 v36, v36
	ds_read_u8 v37, v35
	v_cmp_ge_i32_e64 s[10:11], v34, v20
	v_cmp_gt_i32_e64 s[12:13], v4, v35
	s_waitcnt lgkmcnt(0)
	; wave barrier
	v_cmp_lt_u16_sdwa s[16:17], v37, v36 src0_sel:BYTE_0 src1_sel:BYTE_0
	s_or_b64 s[10:11], s[10:11], s[16:17]
	s_and_b64 s[10:11], s[12:13], s[10:11]
	v_cndmask_b32_e64 v34, v36, v37, s[10:11]
	ds_write_b8 v0, v34
	v_mov_b32_e32 v34, v23
	s_waitcnt lgkmcnt(0)
	; wave barrier
	s_and_saveexec_b64 s[12:13], s[4:5]
	s_cbranch_execz .LBB80_18
; %bb.15:                               ;   in Loop: Header=BB80_2 Depth=1
	s_mov_b64 s[16:17], 0
	v_mov_b32_e32 v34, v23
	v_mov_b32_e32 v35, v26
.LBB80_16:                              ;   Parent Loop BB80_2 Depth=1
                                        ; =>  This Inner Loop Header: Depth=2
	v_sub_u32_e32 v36, v35, v34
	v_lshrrev_b32_e32 v36, 1, v36
	v_add_u32_e32 v36, v36, v34
	v_add_u32_e32 v37, v5, v36
	v_xad_u32 v38, v36, -1, v25
	ds_read_u8 v37, v37
	ds_read_u8 v38, v38
	v_add_u32_e32 v39, 1, v36
	s_waitcnt lgkmcnt(0)
	v_cmp_lt_u16_e64 s[10:11], v38, v37
	v_cndmask_b32_e64 v35, v35, v36, s[10:11]
	v_cndmask_b32_e64 v34, v39, v34, s[10:11]
	v_cmp_ge_i32_e64 s[10:11], v34, v35
	s_or_b64 s[16:17], s[10:11], s[16:17]
	s_andn2_b64 exec, exec, s[16:17]
	s_cbranch_execnz .LBB80_16
; %bb.17:                               ;   in Loop: Header=BB80_2 Depth=1
	s_or_b64 exec, exec, s[16:17]
.LBB80_18:                              ;   in Loop: Header=BB80_2 Depth=1
	s_or_b64 exec, exec, s[12:13]
	v_add_u32_e32 v36, v5, v34
	v_sub_u32_e32 v35, v25, v34
	ds_read_u8 v36, v36
	ds_read_u8 v37, v35
	v_cmp_ge_i32_e64 s[10:11], v34, v24
	v_cmp_gt_i32_e64 s[12:13], v6, v35
	s_waitcnt lgkmcnt(0)
	; wave barrier
	v_cmp_lt_u16_sdwa s[16:17], v37, v36 src0_sel:BYTE_0 src1_sel:BYTE_0
	s_or_b64 s[10:11], s[10:11], s[16:17]
	s_and_b64 s[10:11], s[12:13], s[10:11]
	v_cndmask_b32_e64 v34, v36, v37, s[10:11]
	ds_write_b8 v0, v34
	v_mov_b32_e32 v34, v27
	s_waitcnt lgkmcnt(0)
	; wave barrier
	s_and_saveexec_b64 s[12:13], s[6:7]
	s_cbranch_execz .LBB80_22
; %bb.19:                               ;   in Loop: Header=BB80_2 Depth=1
	s_mov_b64 s[16:17], 0
	v_mov_b32_e32 v34, v27
	v_mov_b32_e32 v35, v30
.LBB80_20:                              ;   Parent Loop BB80_2 Depth=1
                                        ; =>  This Inner Loop Header: Depth=2
	v_sub_u32_e32 v36, v35, v34
	v_lshrrev_b32_e32 v36, 1, v36
	v_add_u32_e32 v36, v36, v34
	v_add_u32_e32 v37, v7, v36
	v_xad_u32 v38, v36, -1, v29
	ds_read_u8 v37, v37
	ds_read_u8 v38, v38
	v_add_u32_e32 v39, 1, v36
	s_waitcnt lgkmcnt(0)
	v_cmp_lt_u16_e64 s[10:11], v38, v37
	v_cndmask_b32_e64 v35, v35, v36, s[10:11]
	v_cndmask_b32_e64 v34, v39, v34, s[10:11]
	v_cmp_ge_i32_e64 s[10:11], v34, v35
	s_or_b64 s[16:17], s[10:11], s[16:17]
	s_andn2_b64 exec, exec, s[16:17]
	s_cbranch_execnz .LBB80_20
; %bb.21:                               ;   in Loop: Header=BB80_2 Depth=1
	s_or_b64 exec, exec, s[16:17]
.LBB80_22:                              ;   in Loop: Header=BB80_2 Depth=1
	s_or_b64 exec, exec, s[12:13]
	v_add_u32_e32 v36, v7, v34
	v_sub_u32_e32 v35, v29, v34
	ds_read_u8 v36, v36
	ds_read_u8 v37, v35
	v_cmp_ge_i32_e64 s[10:11], v34, v28
	v_cmp_gt_i32_e64 s[12:13], v8, v35
	s_waitcnt lgkmcnt(0)
	; wave barrier
	v_cmp_lt_u16_sdwa s[16:17], v37, v36 src0_sel:BYTE_0 src1_sel:BYTE_0
	s_or_b64 s[10:11], s[10:11], s[16:17]
	s_and_b64 s[10:11], s[12:13], s[10:11]
	v_cndmask_b32_e64 v34, v36, v37, s[10:11]
	ds_write_b8 v0, v34
	v_mov_b32_e32 v34, v31
	s_waitcnt lgkmcnt(0)
	; wave barrier
	s_and_saveexec_b64 s[12:13], s[8:9]
	s_cbranch_execz .LBB80_1
; %bb.23:                               ;   in Loop: Header=BB80_2 Depth=1
	s_mov_b64 s[16:17], 0
	v_mov_b32_e32 v34, v31
	v_mov_b32_e32 v35, v32
.LBB80_24:                              ;   Parent Loop BB80_2 Depth=1
                                        ; =>  This Inner Loop Header: Depth=2
	v_sub_u32_e32 v36, v35, v34
	v_lshrrev_b32_e32 v36, 1, v36
	v_add_u32_e32 v36, v36, v34
	v_xad_u32 v37, v36, -1, v33
	ds_read_u8 v38, v36
	ds_read_u8 v37, v37
	v_add_u32_e32 v39, 1, v36
	s_waitcnt lgkmcnt(0)
	v_cmp_lt_u16_e64 s[10:11], v37, v38
	v_cndmask_b32_e64 v35, v35, v36, s[10:11]
	v_cndmask_b32_e64 v34, v39, v34, s[10:11]
	v_cmp_ge_i32_e64 s[10:11], v34, v35
	s_or_b64 s[16:17], s[10:11], s[16:17]
	s_andn2_b64 exec, exec, s[16:17]
	s_cbranch_execnz .LBB80_24
; %bb.25:                               ;   in Loop: Header=BB80_2 Depth=1
	s_or_b64 exec, exec, s[16:17]
	s_branch .LBB80_1
.LBB80_26:
	s_add_u32 s0, s14, s18
	s_addc_u32 s1, s15, 0
	v_mov_b32_e32 v1, s1
	v_add_co_u32_e32 v0, vcc, s0, v0
	v_addc_co_u32_e32 v1, vcc, 0, v1, vcc
	global_store_byte v[0:1], v34, off
	s_endpgm
	.section	.rodata,"a",@progbits
	.p2align	6, 0x0
	.amdhsa_kernel _Z16sort_keys_kernelIhLj64ELj1EN10test_utils4lessELj10EEvPKT_PS2_T2_
		.amdhsa_group_segment_fixed_size 65
		.amdhsa_private_segment_fixed_size 0
		.amdhsa_kernarg_size 20
		.amdhsa_user_sgpr_count 6
		.amdhsa_user_sgpr_private_segment_buffer 1
		.amdhsa_user_sgpr_dispatch_ptr 0
		.amdhsa_user_sgpr_queue_ptr 0
		.amdhsa_user_sgpr_kernarg_segment_ptr 1
		.amdhsa_user_sgpr_dispatch_id 0
		.amdhsa_user_sgpr_flat_scratch_init 0
		.amdhsa_user_sgpr_private_segment_size 0
		.amdhsa_uses_dynamic_stack 0
		.amdhsa_system_sgpr_private_segment_wavefront_offset 0
		.amdhsa_system_sgpr_workgroup_id_x 1
		.amdhsa_system_sgpr_workgroup_id_y 0
		.amdhsa_system_sgpr_workgroup_id_z 0
		.amdhsa_system_sgpr_workgroup_info 0
		.amdhsa_system_vgpr_workitem_id 0
		.amdhsa_next_free_vgpr 40
		.amdhsa_next_free_sgpr 20
		.amdhsa_reserve_vcc 1
		.amdhsa_reserve_flat_scratch 0
		.amdhsa_float_round_mode_32 0
		.amdhsa_float_round_mode_16_64 0
		.amdhsa_float_denorm_mode_32 3
		.amdhsa_float_denorm_mode_16_64 3
		.amdhsa_dx10_clamp 1
		.amdhsa_ieee_mode 1
		.amdhsa_fp16_overflow 0
		.amdhsa_exception_fp_ieee_invalid_op 0
		.amdhsa_exception_fp_denorm_src 0
		.amdhsa_exception_fp_ieee_div_zero 0
		.amdhsa_exception_fp_ieee_overflow 0
		.amdhsa_exception_fp_ieee_underflow 0
		.amdhsa_exception_fp_ieee_inexact 0
		.amdhsa_exception_int_div_zero 0
	.end_amdhsa_kernel
	.section	.text._Z16sort_keys_kernelIhLj64ELj1EN10test_utils4lessELj10EEvPKT_PS2_T2_,"axG",@progbits,_Z16sort_keys_kernelIhLj64ELj1EN10test_utils4lessELj10EEvPKT_PS2_T2_,comdat
.Lfunc_end80:
	.size	_Z16sort_keys_kernelIhLj64ELj1EN10test_utils4lessELj10EEvPKT_PS2_T2_, .Lfunc_end80-_Z16sort_keys_kernelIhLj64ELj1EN10test_utils4lessELj10EEvPKT_PS2_T2_
                                        ; -- End function
	.set _Z16sort_keys_kernelIhLj64ELj1EN10test_utils4lessELj10EEvPKT_PS2_T2_.num_vgpr, 40
	.set _Z16sort_keys_kernelIhLj64ELj1EN10test_utils4lessELj10EEvPKT_PS2_T2_.num_agpr, 0
	.set _Z16sort_keys_kernelIhLj64ELj1EN10test_utils4lessELj10EEvPKT_PS2_T2_.numbered_sgpr, 20
	.set _Z16sort_keys_kernelIhLj64ELj1EN10test_utils4lessELj10EEvPKT_PS2_T2_.num_named_barrier, 0
	.set _Z16sort_keys_kernelIhLj64ELj1EN10test_utils4lessELj10EEvPKT_PS2_T2_.private_seg_size, 0
	.set _Z16sort_keys_kernelIhLj64ELj1EN10test_utils4lessELj10EEvPKT_PS2_T2_.uses_vcc, 1
	.set _Z16sort_keys_kernelIhLj64ELj1EN10test_utils4lessELj10EEvPKT_PS2_T2_.uses_flat_scratch, 0
	.set _Z16sort_keys_kernelIhLj64ELj1EN10test_utils4lessELj10EEvPKT_PS2_T2_.has_dyn_sized_stack, 0
	.set _Z16sort_keys_kernelIhLj64ELj1EN10test_utils4lessELj10EEvPKT_PS2_T2_.has_recursion, 0
	.set _Z16sort_keys_kernelIhLj64ELj1EN10test_utils4lessELj10EEvPKT_PS2_T2_.has_indirect_call, 0
	.section	.AMDGPU.csdata,"",@progbits
; Kernel info:
; codeLenInByte = 1612
; TotalNumSgprs: 24
; NumVgprs: 40
; ScratchSize: 0
; MemoryBound: 0
; FloatMode: 240
; IeeeMode: 1
; LDSByteSize: 65 bytes/workgroup (compile time only)
; SGPRBlocks: 2
; VGPRBlocks: 9
; NumSGPRsForWavesPerEU: 24
; NumVGPRsForWavesPerEU: 40
; Occupancy: 6
; WaveLimiterHint : 0
; COMPUTE_PGM_RSRC2:SCRATCH_EN: 0
; COMPUTE_PGM_RSRC2:USER_SGPR: 6
; COMPUTE_PGM_RSRC2:TRAP_HANDLER: 0
; COMPUTE_PGM_RSRC2:TGID_X_EN: 1
; COMPUTE_PGM_RSRC2:TGID_Y_EN: 0
; COMPUTE_PGM_RSRC2:TGID_Z_EN: 0
; COMPUTE_PGM_RSRC2:TIDIG_COMP_CNT: 0
	.section	.text._Z17sort_pairs_kernelIhLj64ELj1EN10test_utils4lessELj10EEvPKT_PS2_T2_,"axG",@progbits,_Z17sort_pairs_kernelIhLj64ELj1EN10test_utils4lessELj10EEvPKT_PS2_T2_,comdat
	.protected	_Z17sort_pairs_kernelIhLj64ELj1EN10test_utils4lessELj10EEvPKT_PS2_T2_ ; -- Begin function _Z17sort_pairs_kernelIhLj64ELj1EN10test_utils4lessELj10EEvPKT_PS2_T2_
	.globl	_Z17sort_pairs_kernelIhLj64ELj1EN10test_utils4lessELj10EEvPKT_PS2_T2_
	.p2align	8
	.type	_Z17sort_pairs_kernelIhLj64ELj1EN10test_utils4lessELj10EEvPKT_PS2_T2_,@function
_Z17sort_pairs_kernelIhLj64ELj1EN10test_utils4lessELj10EEvPKT_PS2_T2_: ; @_Z17sort_pairs_kernelIhLj64ELj1EN10test_utils4lessELj10EEvPKT_PS2_T2_
; %bb.0:
	s_load_dwordx4 s[12:15], s[4:5], 0x0
	s_lshl_b32 s18, s6, 6
	v_and_b32_e32 v1, 60, v0
	v_and_b32_e32 v2, 56, v0
	;; [unrolled: 1-line block ×3, first 2 shown]
	s_waitcnt lgkmcnt(0)
	s_add_u32 s0, s12, s18
	s_addc_u32 s1, s13, 0
	global_load_ubyte v33, v0, s[0:1]
	v_and_b32_e32 v4, 32, v0
	v_and_b32_e32 v5, 62, v0
	v_or_b32_e32 v8, 2, v1
	v_add_u32_e32 v9, 4, v1
	v_and_b32_e32 v23, 3, v0
	v_or_b32_e32 v10, 4, v2
	v_add_u32_e32 v11, 8, v2
	v_or_b32_e32 v12, 8, v3
	v_add_u32_e32 v13, 16, v3
	;; [unrolled: 2-line block ×3, first 2 shown]
	v_or_b32_e32 v16, 1, v5
	v_sub_u32_e32 v21, v9, v8
	v_and_b32_e32 v25, 7, v0
	v_and_b32_e32 v26, 15, v0
	;; [unrolled: 1-line block ×4, first 2 shown]
	v_sub_u32_e32 v24, v11, v10
	v_sub_u32_e32 v27, v13, v12
	;; [unrolled: 1-line block ×5, first 2 shown]
	v_cmp_ge_i32_e64 s[2:3], v23, v21
	v_add_u32_e32 v17, -1, v22
	v_cmp_lt_i32_e64 s[0:1], 0, v22
	v_add_u32_e32 v18, v16, v22
	v_sub_u32_e32 v29, v8, v1
	v_sub_u32_e32 v30, v10, v2
	;; [unrolled: 1-line block ×4, first 2 shown]
	v_cmp_ge_i32_e64 s[4:5], v25, v24
	v_sub_u32_e32 v37, v26, v27
	v_cmp_ge_i32_e64 s[6:7], v26, v27
	v_min_i32_e32 v22, v22, v28
	v_sub_u32_e32 v27, v14, v4
	v_sub_u32_e32 v38, v31, v32
	v_cndmask_b32_e64 v28, 0, v35, s[2:3]
	v_cmp_ge_i32_e64 s[2:3], v31, v32
	v_sub_u32_e64 v6, v0, 32 clamp
	v_min_i32_e32 v7, 32, v0
	v_cndmask_b32_e64 v17, 0, v17, s[0:1]
	v_add_u32_e32 v19, v8, v23
	v_add_u32_e32 v20, v10, v25
	;; [unrolled: 1-line block ×3, first 2 shown]
	v_min_i32_e32 v23, v23, v29
	v_add_u32_e32 v24, v14, v31
	v_min_i32_e32 v25, v25, v30
	v_min_i32_e32 v26, v26, v34
	;; [unrolled: 1-line block ×3, first 2 shown]
	v_cndmask_b32_e64 v29, 0, v36, s[4:5]
	v_cndmask_b32_e64 v30, 0, v37, s[6:7]
	;; [unrolled: 1-line block ×3, first 2 shown]
	s_mov_b32 s19, 0
	v_cmp_lt_i32_e32 vcc, v6, v7
	v_cmp_lt_i32_e64 s[0:1], v17, v22
	v_cmp_lt_i32_e64 s[2:3], v28, v23
	;; [unrolled: 1-line block ×5, first 2 shown]
	v_add_u32_e32 v32, 32, v0
	s_waitcnt vmcnt(0)
	v_add_u16_e32 v34, 1, v33
	s_branch .LBB81_2
.LBB81_1:                               ;   in Loop: Header=BB81_2 Depth=1
	s_or_b64 exec, exec, s[12:13]
	v_sub_u32_e32 v36, v32, v35
	ds_read_u8 v33, v35
	ds_read_u8 v37, v36
	v_cmp_le_i32_e64 s[10:11], 32, v35
	v_cmp_gt_i32_e64 s[12:13], 64, v36
	s_waitcnt lgkmcnt(0)
	; wave barrier
	v_cmp_lt_u16_sdwa s[16:17], v37, v33 src0_sel:BYTE_0 src1_sel:BYTE_0
	s_or_b64 s[10:11], s[10:11], s[16:17]
	s_and_b64 s[10:11], s[12:13], s[10:11]
	v_cndmask_b32_e64 v35, v35, v36, s[10:11]
	ds_write_b8 v0, v34
	s_waitcnt lgkmcnt(0)
	; wave barrier
	ds_read_u8 v34, v35
	s_add_i32 s19, s19, 1
	v_cndmask_b32_e64 v33, v33, v37, s[10:11]
	s_cmp_eq_u32 s19, 10
	s_cbranch_scc1 .LBB81_26
.LBB81_2:                               ; =>This Loop Header: Depth=1
                                        ;     Child Loop BB81_4 Depth 2
                                        ;     Child Loop BB81_8 Depth 2
	;; [unrolled: 1-line block ×6, first 2 shown]
	; wave barrier
	ds_write_b8 v0, v33
	v_mov_b32_e32 v33, v17
	s_waitcnt lgkmcnt(0)
	; wave barrier
	s_and_saveexec_b64 s[12:13], s[0:1]
	s_cbranch_execz .LBB81_6
; %bb.3:                                ;   in Loop: Header=BB81_2 Depth=1
	s_mov_b64 s[16:17], 0
	v_mov_b32_e32 v33, v17
	v_mov_b32_e32 v35, v22
.LBB81_4:                               ;   Parent Loop BB81_2 Depth=1
                                        ; =>  This Inner Loop Header: Depth=2
	v_sub_u32_e32 v36, v35, v33
	v_lshrrev_b32_e32 v36, 1, v36
	v_add_u32_e32 v36, v36, v33
	v_add_u32_e32 v37, v5, v36
	v_xad_u32 v38, v36, -1, v18
	ds_read_u8 v37, v37
	ds_read_u8 v38, v38
	v_add_u32_e32 v39, 1, v36
	s_waitcnt lgkmcnt(0)
	v_cmp_lt_u16_e64 s[10:11], v38, v37
	v_cndmask_b32_e64 v35, v35, v36, s[10:11]
	v_cndmask_b32_e64 v33, v39, v33, s[10:11]
	v_cmp_ge_i32_e64 s[10:11], v33, v35
	s_or_b64 s[16:17], s[10:11], s[16:17]
	s_andn2_b64 exec, exec, s[16:17]
	s_cbranch_execnz .LBB81_4
; %bb.5:                                ;   in Loop: Header=BB81_2 Depth=1
	s_or_b64 exec, exec, s[16:17]
.LBB81_6:                               ;   in Loop: Header=BB81_2 Depth=1
	s_or_b64 exec, exec, s[12:13]
	v_add_u32_e32 v35, v33, v5
	v_sub_u32_e32 v33, v18, v33
	ds_read_u8 v36, v35
	ds_read_u8 v37, v33
	v_cmp_le_i32_e64 s[12:13], v16, v35
	v_cmp_ge_i32_e64 s[10:11], v16, v33
	s_waitcnt lgkmcnt(0)
	; wave barrier
	v_cmp_lt_u16_sdwa s[16:17], v37, v36 src0_sel:BYTE_0 src1_sel:BYTE_0
	s_or_b64 s[12:13], s[12:13], s[16:17]
	s_and_b64 s[10:11], s[10:11], s[12:13]
	v_cndmask_b32_e64 v33, v35, v33, s[10:11]
	ds_write_b8 v0, v34
	s_waitcnt lgkmcnt(0)
	; wave barrier
	ds_read_u8 v33, v33
	v_cndmask_b32_e64 v36, v36, v37, s[10:11]
	v_mov_b32_e32 v34, v28
	s_waitcnt lgkmcnt(0)
	; wave barrier
	ds_write_b8 v0, v36
	s_waitcnt lgkmcnt(0)
	; wave barrier
	s_and_saveexec_b64 s[12:13], s[2:3]
	s_cbranch_execz .LBB81_10
; %bb.7:                                ;   in Loop: Header=BB81_2 Depth=1
	s_mov_b64 s[16:17], 0
	v_mov_b32_e32 v34, v28
	v_mov_b32_e32 v35, v23
.LBB81_8:                               ;   Parent Loop BB81_2 Depth=1
                                        ; =>  This Inner Loop Header: Depth=2
	v_sub_u32_e32 v36, v35, v34
	v_lshrrev_b32_e32 v36, 1, v36
	v_add_u32_e32 v36, v36, v34
	v_add_u32_e32 v37, v1, v36
	v_xad_u32 v38, v36, -1, v19
	ds_read_u8 v37, v37
	ds_read_u8 v38, v38
	v_add_u32_e32 v39, 1, v36
	s_waitcnt lgkmcnt(0)
	v_cmp_lt_u16_e64 s[10:11], v38, v37
	v_cndmask_b32_e64 v35, v35, v36, s[10:11]
	v_cndmask_b32_e64 v34, v39, v34, s[10:11]
	v_cmp_ge_i32_e64 s[10:11], v34, v35
	s_or_b64 s[16:17], s[10:11], s[16:17]
	s_andn2_b64 exec, exec, s[16:17]
	s_cbranch_execnz .LBB81_8
; %bb.9:                                ;   in Loop: Header=BB81_2 Depth=1
	s_or_b64 exec, exec, s[16:17]
.LBB81_10:                              ;   in Loop: Header=BB81_2 Depth=1
	s_or_b64 exec, exec, s[12:13]
	v_add_u32_e32 v35, v34, v1
	v_sub_u32_e32 v34, v19, v34
	ds_read_u8 v36, v35
	ds_read_u8 v37, v34
	v_cmp_le_i32_e64 s[12:13], v8, v35
	v_cmp_gt_i32_e64 s[10:11], v9, v34
	s_waitcnt lgkmcnt(0)
	; wave barrier
	v_cmp_lt_u16_sdwa s[16:17], v37, v36 src0_sel:BYTE_0 src1_sel:BYTE_0
	s_or_b64 s[12:13], s[12:13], s[16:17]
	s_and_b64 s[10:11], s[10:11], s[12:13]
	v_cndmask_b32_e64 v34, v35, v34, s[10:11]
	ds_write_b8 v0, v33
	s_waitcnt lgkmcnt(0)
	; wave barrier
	ds_read_u8 v33, v34
	v_cndmask_b32_e64 v36, v36, v37, s[10:11]
	v_mov_b32_e32 v34, v29
	s_waitcnt lgkmcnt(0)
	; wave barrier
	ds_write_b8 v0, v36
	s_waitcnt lgkmcnt(0)
	; wave barrier
	s_and_saveexec_b64 s[12:13], s[4:5]
	s_cbranch_execz .LBB81_14
; %bb.11:                               ;   in Loop: Header=BB81_2 Depth=1
	s_mov_b64 s[16:17], 0
	v_mov_b32_e32 v34, v29
	v_mov_b32_e32 v35, v25
.LBB81_12:                              ;   Parent Loop BB81_2 Depth=1
                                        ; =>  This Inner Loop Header: Depth=2
	v_sub_u32_e32 v36, v35, v34
	v_lshrrev_b32_e32 v36, 1, v36
	v_add_u32_e32 v36, v36, v34
	v_add_u32_e32 v37, v2, v36
	v_xad_u32 v38, v36, -1, v20
	ds_read_u8 v37, v37
	ds_read_u8 v38, v38
	v_add_u32_e32 v39, 1, v36
	s_waitcnt lgkmcnt(0)
	v_cmp_lt_u16_e64 s[10:11], v38, v37
	v_cndmask_b32_e64 v35, v35, v36, s[10:11]
	v_cndmask_b32_e64 v34, v39, v34, s[10:11]
	v_cmp_ge_i32_e64 s[10:11], v34, v35
	s_or_b64 s[16:17], s[10:11], s[16:17]
	s_andn2_b64 exec, exec, s[16:17]
	s_cbranch_execnz .LBB81_12
; %bb.13:                               ;   in Loop: Header=BB81_2 Depth=1
	s_or_b64 exec, exec, s[16:17]
.LBB81_14:                              ;   in Loop: Header=BB81_2 Depth=1
	s_or_b64 exec, exec, s[12:13]
	v_add_u32_e32 v35, v34, v2
	v_sub_u32_e32 v34, v20, v34
	ds_read_u8 v36, v35
	ds_read_u8 v37, v34
	v_cmp_le_i32_e64 s[12:13], v10, v35
	v_cmp_gt_i32_e64 s[10:11], v11, v34
	s_waitcnt lgkmcnt(0)
	; wave barrier
	v_cmp_lt_u16_sdwa s[16:17], v37, v36 src0_sel:BYTE_0 src1_sel:BYTE_0
	s_or_b64 s[12:13], s[12:13], s[16:17]
	s_and_b64 s[10:11], s[10:11], s[12:13]
	v_cndmask_b32_e64 v34, v35, v34, s[10:11]
	ds_write_b8 v0, v33
	s_waitcnt lgkmcnt(0)
	; wave barrier
	ds_read_u8 v33, v34
	v_cndmask_b32_e64 v36, v36, v37, s[10:11]
	v_mov_b32_e32 v34, v30
	s_waitcnt lgkmcnt(0)
	; wave barrier
	ds_write_b8 v0, v36
	s_waitcnt lgkmcnt(0)
	; wave barrier
	s_and_saveexec_b64 s[12:13], s[6:7]
	s_cbranch_execz .LBB81_18
; %bb.15:                               ;   in Loop: Header=BB81_2 Depth=1
	s_mov_b64 s[16:17], 0
	v_mov_b32_e32 v34, v30
	v_mov_b32_e32 v35, v26
.LBB81_16:                              ;   Parent Loop BB81_2 Depth=1
                                        ; =>  This Inner Loop Header: Depth=2
	v_sub_u32_e32 v36, v35, v34
	v_lshrrev_b32_e32 v36, 1, v36
	v_add_u32_e32 v36, v36, v34
	v_add_u32_e32 v37, v3, v36
	v_xad_u32 v38, v36, -1, v21
	ds_read_u8 v37, v37
	ds_read_u8 v38, v38
	v_add_u32_e32 v39, 1, v36
	s_waitcnt lgkmcnt(0)
	v_cmp_lt_u16_e64 s[10:11], v38, v37
	v_cndmask_b32_e64 v35, v35, v36, s[10:11]
	v_cndmask_b32_e64 v34, v39, v34, s[10:11]
	v_cmp_ge_i32_e64 s[10:11], v34, v35
	s_or_b64 s[16:17], s[10:11], s[16:17]
	s_andn2_b64 exec, exec, s[16:17]
	s_cbranch_execnz .LBB81_16
; %bb.17:                               ;   in Loop: Header=BB81_2 Depth=1
	s_or_b64 exec, exec, s[16:17]
.LBB81_18:                              ;   in Loop: Header=BB81_2 Depth=1
	;; [unrolled: 51-line block ×3, first 2 shown]
	s_or_b64 exec, exec, s[12:13]
	v_add_u32_e32 v35, v34, v4
	v_sub_u32_e32 v34, v24, v34
	ds_read_u8 v36, v35
	ds_read_u8 v37, v34
	v_cmp_le_i32_e64 s[12:13], v14, v35
	v_cmp_gt_i32_e64 s[10:11], v15, v34
	s_waitcnt lgkmcnt(0)
	; wave barrier
	v_cmp_lt_u16_sdwa s[16:17], v37, v36 src0_sel:BYTE_0 src1_sel:BYTE_0
	s_or_b64 s[12:13], s[12:13], s[16:17]
	s_and_b64 s[10:11], s[10:11], s[12:13]
	v_cndmask_b32_e64 v34, v35, v34, s[10:11]
	ds_write_b8 v0, v33
	s_waitcnt lgkmcnt(0)
	; wave barrier
	ds_read_u8 v34, v34
	v_cndmask_b32_e64 v36, v36, v37, s[10:11]
	v_mov_b32_e32 v35, v6
	s_waitcnt lgkmcnt(0)
	; wave barrier
	ds_write_b8 v0, v36
	s_waitcnt lgkmcnt(0)
	; wave barrier
	s_and_saveexec_b64 s[12:13], vcc
	s_cbranch_execz .LBB81_1
; %bb.23:                               ;   in Loop: Header=BB81_2 Depth=1
	s_mov_b64 s[16:17], 0
	v_mov_b32_e32 v35, v6
	v_mov_b32_e32 v33, v7
.LBB81_24:                              ;   Parent Loop BB81_2 Depth=1
                                        ; =>  This Inner Loop Header: Depth=2
	v_sub_u32_e32 v36, v33, v35
	v_lshrrev_b32_e32 v36, 1, v36
	v_add_u32_e32 v36, v36, v35
	v_xad_u32 v37, v36, -1, v32
	ds_read_u8 v38, v36
	ds_read_u8 v37, v37
	v_add_u32_e32 v39, 1, v36
	s_waitcnt lgkmcnt(0)
	v_cmp_lt_u16_e64 s[10:11], v37, v38
	v_cndmask_b32_e64 v33, v33, v36, s[10:11]
	v_cndmask_b32_e64 v35, v39, v35, s[10:11]
	v_cmp_ge_i32_e64 s[10:11], v35, v33
	s_or_b64 s[16:17], s[10:11], s[16:17]
	s_andn2_b64 exec, exec, s[16:17]
	s_cbranch_execnz .LBB81_24
; %bb.25:                               ;   in Loop: Header=BB81_2 Depth=1
	s_or_b64 exec, exec, s[16:17]
	s_branch .LBB81_1
.LBB81_26:
	s_add_u32 s0, s14, s18
	s_addc_u32 s1, s15, 0
	v_mov_b32_e32 v1, s1
	v_add_co_u32_e32 v0, vcc, s0, v0
	s_waitcnt lgkmcnt(0)
	v_add_u16_e32 v2, v33, v34
	v_addc_co_u32_e32 v1, vcc, 0, v1, vcc
	global_store_byte v[0:1], v2, off
	s_endpgm
	.section	.rodata,"a",@progbits
	.p2align	6, 0x0
	.amdhsa_kernel _Z17sort_pairs_kernelIhLj64ELj1EN10test_utils4lessELj10EEvPKT_PS2_T2_
		.amdhsa_group_segment_fixed_size 65
		.amdhsa_private_segment_fixed_size 0
		.amdhsa_kernarg_size 20
		.amdhsa_user_sgpr_count 6
		.amdhsa_user_sgpr_private_segment_buffer 1
		.amdhsa_user_sgpr_dispatch_ptr 0
		.amdhsa_user_sgpr_queue_ptr 0
		.amdhsa_user_sgpr_kernarg_segment_ptr 1
		.amdhsa_user_sgpr_dispatch_id 0
		.amdhsa_user_sgpr_flat_scratch_init 0
		.amdhsa_user_sgpr_private_segment_size 0
		.amdhsa_uses_dynamic_stack 0
		.amdhsa_system_sgpr_private_segment_wavefront_offset 0
		.amdhsa_system_sgpr_workgroup_id_x 1
		.amdhsa_system_sgpr_workgroup_id_y 0
		.amdhsa_system_sgpr_workgroup_id_z 0
		.amdhsa_system_sgpr_workgroup_info 0
		.amdhsa_system_vgpr_workitem_id 0
		.amdhsa_next_free_vgpr 40
		.amdhsa_next_free_sgpr 20
		.amdhsa_reserve_vcc 1
		.amdhsa_reserve_flat_scratch 0
		.amdhsa_float_round_mode_32 0
		.amdhsa_float_round_mode_16_64 0
		.amdhsa_float_denorm_mode_32 3
		.amdhsa_float_denorm_mode_16_64 3
		.amdhsa_dx10_clamp 1
		.amdhsa_ieee_mode 1
		.amdhsa_fp16_overflow 0
		.amdhsa_exception_fp_ieee_invalid_op 0
		.amdhsa_exception_fp_denorm_src 0
		.amdhsa_exception_fp_ieee_div_zero 0
		.amdhsa_exception_fp_ieee_overflow 0
		.amdhsa_exception_fp_ieee_underflow 0
		.amdhsa_exception_fp_ieee_inexact 0
		.amdhsa_exception_int_div_zero 0
	.end_amdhsa_kernel
	.section	.text._Z17sort_pairs_kernelIhLj64ELj1EN10test_utils4lessELj10EEvPKT_PS2_T2_,"axG",@progbits,_Z17sort_pairs_kernelIhLj64ELj1EN10test_utils4lessELj10EEvPKT_PS2_T2_,comdat
.Lfunc_end81:
	.size	_Z17sort_pairs_kernelIhLj64ELj1EN10test_utils4lessELj10EEvPKT_PS2_T2_, .Lfunc_end81-_Z17sort_pairs_kernelIhLj64ELj1EN10test_utils4lessELj10EEvPKT_PS2_T2_
                                        ; -- End function
	.set _Z17sort_pairs_kernelIhLj64ELj1EN10test_utils4lessELj10EEvPKT_PS2_T2_.num_vgpr, 40
	.set _Z17sort_pairs_kernelIhLj64ELj1EN10test_utils4lessELj10EEvPKT_PS2_T2_.num_agpr, 0
	.set _Z17sort_pairs_kernelIhLj64ELj1EN10test_utils4lessELj10EEvPKT_PS2_T2_.numbered_sgpr, 20
	.set _Z17sort_pairs_kernelIhLj64ELj1EN10test_utils4lessELj10EEvPKT_PS2_T2_.num_named_barrier, 0
	.set _Z17sort_pairs_kernelIhLj64ELj1EN10test_utils4lessELj10EEvPKT_PS2_T2_.private_seg_size, 0
	.set _Z17sort_pairs_kernelIhLj64ELj1EN10test_utils4lessELj10EEvPKT_PS2_T2_.uses_vcc, 1
	.set _Z17sort_pairs_kernelIhLj64ELj1EN10test_utils4lessELj10EEvPKT_PS2_T2_.uses_flat_scratch, 0
	.set _Z17sort_pairs_kernelIhLj64ELj1EN10test_utils4lessELj10EEvPKT_PS2_T2_.has_dyn_sized_stack, 0
	.set _Z17sort_pairs_kernelIhLj64ELj1EN10test_utils4lessELj10EEvPKT_PS2_T2_.has_recursion, 0
	.set _Z17sort_pairs_kernelIhLj64ELj1EN10test_utils4lessELj10EEvPKT_PS2_T2_.has_indirect_call, 0
	.section	.AMDGPU.csdata,"",@progbits
; Kernel info:
; codeLenInByte = 1820
; TotalNumSgprs: 24
; NumVgprs: 40
; ScratchSize: 0
; MemoryBound: 0
; FloatMode: 240
; IeeeMode: 1
; LDSByteSize: 65 bytes/workgroup (compile time only)
; SGPRBlocks: 2
; VGPRBlocks: 9
; NumSGPRsForWavesPerEU: 24
; NumVGPRsForWavesPerEU: 40
; Occupancy: 6
; WaveLimiterHint : 0
; COMPUTE_PGM_RSRC2:SCRATCH_EN: 0
; COMPUTE_PGM_RSRC2:USER_SGPR: 6
; COMPUTE_PGM_RSRC2:TRAP_HANDLER: 0
; COMPUTE_PGM_RSRC2:TGID_X_EN: 1
; COMPUTE_PGM_RSRC2:TGID_Y_EN: 0
; COMPUTE_PGM_RSRC2:TGID_Z_EN: 0
; COMPUTE_PGM_RSRC2:TIDIG_COMP_CNT: 0
	.section	.text._Z16sort_keys_kernelIhLj64ELj2EN10test_utils4lessELj10EEvPKT_PS2_T2_,"axG",@progbits,_Z16sort_keys_kernelIhLj64ELj2EN10test_utils4lessELj10EEvPKT_PS2_T2_,comdat
	.protected	_Z16sort_keys_kernelIhLj64ELj2EN10test_utils4lessELj10EEvPKT_PS2_T2_ ; -- Begin function _Z16sort_keys_kernelIhLj64ELj2EN10test_utils4lessELj10EEvPKT_PS2_T2_
	.globl	_Z16sort_keys_kernelIhLj64ELj2EN10test_utils4lessELj10EEvPKT_PS2_T2_
	.p2align	8
	.type	_Z16sort_keys_kernelIhLj64ELj2EN10test_utils4lessELj10EEvPKT_PS2_T2_,@function
_Z16sort_keys_kernelIhLj64ELj2EN10test_utils4lessELj10EEvPKT_PS2_T2_: ; @_Z16sort_keys_kernelIhLj64ELj2EN10test_utils4lessELj10EEvPKT_PS2_T2_
; %bb.0:
	s_load_dwordx4 s[12:15], s[4:5], 0x0
	s_lshl_b32 s18, s6, 7
	v_lshlrev_b32_e32 v1, 1, v0
	v_and_b32_e32 v2, 0x7c, v1
	v_and_b32_e32 v5, 0x78, v1
	s_waitcnt lgkmcnt(0)
	s_add_u32 s0, s12, s18
	s_addc_u32 s1, s13, 0
	global_load_ubyte v36, v0, s[0:1] offset:64
	global_load_ubyte v35, v0, s[0:1]
	v_and_b32_e32 v8, 0x70, v1
	v_and_b32_e32 v11, 0x60, v1
	;; [unrolled: 1-line block ×3, first 2 shown]
	v_or_b32_e32 v3, 2, v2
	v_add_u32_e32 v4, 4, v2
	v_or_b32_e32 v6, 4, v5
	v_add_u32_e32 v7, 8, v5
	;; [unrolled: 2-line block ×5, first 2 shown]
	v_and_b32_e32 v19, 2, v1
	v_sub_u32_e32 v17, v4, v3
	v_and_b32_e32 v22, 6, v1
	v_sub_u32_e32 v20, v7, v6
	;; [unrolled: 2-line block ×5, first 2 shown]
	v_sub_u32_e32 v18, v19, v17
	v_sub_u32_e32 v21, v22, v20
	v_sub_u32_e32 v24, v25, v23
	v_sub_u32_e32 v27, v28, v26
	v_sub_u32_e32 v30, v31, v29
	v_cmp_ge_i32_e32 vcc, v19, v17
	v_cmp_ge_i32_e64 s[0:1], v22, v20
	v_cmp_ge_i32_e64 s[2:3], v25, v23
	;; [unrolled: 1-line block ×4, first 2 shown]
	v_cndmask_b32_e32 v17, 0, v18, vcc
	v_sub_u32_e32 v18, v3, v2
	v_cndmask_b32_e64 v20, 0, v21, s[0:1]
	v_sub_u32_e32 v21, v6, v5
	v_cndmask_b32_e64 v23, 0, v24, s[2:3]
	;; [unrolled: 2-line block ×4, first 2 shown]
	v_sub_u32_e32 v30, v15, v14
	v_min_i32_e32 v18, v19, v18
	v_min_i32_e32 v21, v22, v21
	;; [unrolled: 1-line block ×5, first 2 shown]
	v_sub_u32_e64 v32, v1, 64 clamp
	v_min_i32_e32 v33, 64, v1
	s_mov_b32 s19, 0
	v_cmp_lt_i32_e32 vcc, v17, v18
	v_add_u32_e32 v19, v3, v19
	v_cmp_lt_i32_e64 s[0:1], v20, v21
	v_add_u32_e32 v22, v6, v22
	v_cmp_lt_i32_e64 s[2:3], v23, v24
	;; [unrolled: 2-line block ×5, first 2 shown]
	s_mov_b32 s20, 0xc0c0004
	s_movk_i32 s21, 0x80
	v_add_u32_e32 v34, 64, v1
	s_branch .LBB82_2
.LBB82_1:                               ;   in Loop: Header=BB82_2 Depth=1
	s_or_b64 exec, exec, s[12:13]
	v_cmp_le_i32_e64 s[12:13], 64, v40
	s_waitcnt lgkmcnt(0)
	v_cmp_lt_u16_sdwa s[16:17], v41, v39 src0_sel:BYTE_0 src1_sel:BYTE_0
	v_cndmask_b32_e64 v35, v36, v38, s[10:11]
	v_cmp_gt_i32_e64 s[10:11], s21, v37
	s_or_b64 s[12:13], s[12:13], s[16:17]
	s_and_b64 s[10:11], s[10:11], s[12:13]
	s_add_i32 s19, s19, 1
	s_cmp_eq_u32 s19, 10
	v_cndmask_b32_e64 v36, v39, v41, s[10:11]
	s_cbranch_scc1 .LBB82_50
.LBB82_2:                               ; =>This Loop Header: Depth=1
                                        ;     Child Loop BB82_4 Depth 2
                                        ;     Child Loop BB82_12 Depth 2
	;; [unrolled: 1-line block ×6, first 2 shown]
	s_waitcnt vmcnt(0)
	v_perm_b32 v37, v36, v35, s20
	v_perm_b32 v38, v35, v36, s20
	v_cmp_lt_u16_sdwa s[10:11], v36, v35 src0_sel:BYTE_0 src1_sel:BYTE_0
	v_cndmask_b32_e64 v35, v38, v37, s[10:11]
	; wave barrier
	ds_write_b8 v1, v35
	v_lshrrev_b16_e32 v35, 8, v35
	v_mov_b32_e32 v36, v17
	ds_write_b8 v1, v35 offset:1
	s_waitcnt lgkmcnt(0)
	; wave barrier
	s_and_saveexec_b64 s[12:13], vcc
	s_cbranch_execz .LBB82_6
; %bb.3:                                ;   in Loop: Header=BB82_2 Depth=1
	s_mov_b64 s[16:17], 0
	v_mov_b32_e32 v36, v17
	v_mov_b32_e32 v35, v18
.LBB82_4:                               ;   Parent Loop BB82_2 Depth=1
                                        ; =>  This Inner Loop Header: Depth=2
	v_sub_u32_e32 v37, v35, v36
	v_lshrrev_b32_e32 v37, 1, v37
	v_add_u32_e32 v37, v37, v36
	v_add_u32_e32 v38, v2, v37
	v_xad_u32 v39, v37, -1, v19
	ds_read_u8 v38, v38
	ds_read_u8 v39, v39
	v_add_u32_e32 v40, 1, v37
	s_waitcnt lgkmcnt(0)
	v_cmp_lt_u16_e64 s[10:11], v39, v38
	v_cndmask_b32_e64 v35, v35, v37, s[10:11]
	v_cndmask_b32_e64 v36, v40, v36, s[10:11]
	v_cmp_ge_i32_e64 s[10:11], v36, v35
	s_or_b64 s[16:17], s[10:11], s[16:17]
	s_andn2_b64 exec, exec, s[16:17]
	s_cbranch_execnz .LBB82_4
; %bb.5:                                ;   in Loop: Header=BB82_2 Depth=1
	s_or_b64 exec, exec, s[16:17]
.LBB82_6:                               ;   in Loop: Header=BB82_2 Depth=1
	s_or_b64 exec, exec, s[12:13]
	v_add_u32_e32 v35, v36, v2
	v_sub_u32_e32 v36, v19, v36
	ds_read_u8 v37, v35
	ds_read_u8 v38, v36
	v_cmp_le_i32_e64 s[12:13], v3, v35
	v_cmp_gt_i32_e64 s[10:11], v4, v36
                                        ; implicit-def: $vgpr39
	s_waitcnt lgkmcnt(0)
	v_cmp_lt_u16_sdwa s[16:17], v38, v37 src0_sel:BYTE_0 src1_sel:BYTE_0
	s_or_b64 s[12:13], s[12:13], s[16:17]
	s_and_b64 s[10:11], s[10:11], s[12:13]
	s_xor_b64 s[12:13], s[10:11], -1
	s_and_saveexec_b64 s[16:17], s[12:13]
	s_xor_b64 s[12:13], exec, s[16:17]
; %bb.7:                                ;   in Loop: Header=BB82_2 Depth=1
	ds_read_u8 v39, v35 offset:1
; %bb.8:                                ;   in Loop: Header=BB82_2 Depth=1
	s_or_saveexec_b64 s[12:13], s[12:13]
	v_mov_b32_e32 v40, v38
	s_xor_b64 exec, exec, s[12:13]
	s_cbranch_execz .LBB82_10
; %bb.9:                                ;   in Loop: Header=BB82_2 Depth=1
	ds_read_u8 v40, v36 offset:1
	s_waitcnt lgkmcnt(1)
	v_mov_b32_e32 v39, v37
.LBB82_10:                              ;   in Loop: Header=BB82_2 Depth=1
	s_or_b64 exec, exec, s[12:13]
	v_add_u32_e32 v41, 1, v35
	v_cndmask_b32_e64 v37, v37, v38, s[10:11]
	v_add_u32_e32 v38, 1, v36
	v_cndmask_b32_e64 v35, v41, v35, s[10:11]
	v_cndmask_b32_e64 v36, v36, v38, s[10:11]
	v_cmp_ge_i32_e64 s[12:13], v35, v3
	s_waitcnt lgkmcnt(0)
	v_cmp_lt_u16_sdwa s[16:17], v40, v39 src0_sel:BYTE_0 src1_sel:BYTE_0
	v_cmp_lt_i32_e64 s[10:11], v36, v4
	s_or_b64 s[12:13], s[12:13], s[16:17]
	s_and_b64 s[10:11], s[10:11], s[12:13]
	v_mov_b32_e32 v36, v20
	v_cndmask_b32_e64 v35, v39, v40, s[10:11]
	; wave barrier
	ds_write_b8 v1, v37
	ds_write_b8 v1, v35 offset:1
	s_waitcnt lgkmcnt(0)
	; wave barrier
	s_and_saveexec_b64 s[12:13], s[0:1]
	s_cbranch_execz .LBB82_14
; %bb.11:                               ;   in Loop: Header=BB82_2 Depth=1
	s_mov_b64 s[16:17], 0
	v_mov_b32_e32 v36, v20
	v_mov_b32_e32 v35, v21
.LBB82_12:                              ;   Parent Loop BB82_2 Depth=1
                                        ; =>  This Inner Loop Header: Depth=2
	v_sub_u32_e32 v37, v35, v36
	v_lshrrev_b32_e32 v37, 1, v37
	v_add_u32_e32 v37, v37, v36
	v_add_u32_e32 v38, v5, v37
	v_xad_u32 v39, v37, -1, v22
	ds_read_u8 v38, v38
	ds_read_u8 v39, v39
	v_add_u32_e32 v40, 1, v37
	s_waitcnt lgkmcnt(0)
	v_cmp_lt_u16_e64 s[10:11], v39, v38
	v_cndmask_b32_e64 v35, v35, v37, s[10:11]
	v_cndmask_b32_e64 v36, v40, v36, s[10:11]
	v_cmp_ge_i32_e64 s[10:11], v36, v35
	s_or_b64 s[16:17], s[10:11], s[16:17]
	s_andn2_b64 exec, exec, s[16:17]
	s_cbranch_execnz .LBB82_12
; %bb.13:                               ;   in Loop: Header=BB82_2 Depth=1
	s_or_b64 exec, exec, s[16:17]
.LBB82_14:                              ;   in Loop: Header=BB82_2 Depth=1
	s_or_b64 exec, exec, s[12:13]
	v_add_u32_e32 v35, v36, v5
	v_sub_u32_e32 v36, v22, v36
	ds_read_u8 v37, v35
	ds_read_u8 v38, v36
	v_cmp_le_i32_e64 s[12:13], v6, v35
	v_cmp_gt_i32_e64 s[10:11], v7, v36
                                        ; implicit-def: $vgpr39
	s_waitcnt lgkmcnt(0)
	v_cmp_lt_u16_sdwa s[16:17], v38, v37 src0_sel:BYTE_0 src1_sel:BYTE_0
	s_or_b64 s[12:13], s[12:13], s[16:17]
	s_and_b64 s[10:11], s[10:11], s[12:13]
	s_xor_b64 s[12:13], s[10:11], -1
	s_and_saveexec_b64 s[16:17], s[12:13]
	s_xor_b64 s[12:13], exec, s[16:17]
; %bb.15:                               ;   in Loop: Header=BB82_2 Depth=1
	ds_read_u8 v39, v35 offset:1
; %bb.16:                               ;   in Loop: Header=BB82_2 Depth=1
	s_or_saveexec_b64 s[12:13], s[12:13]
	v_mov_b32_e32 v40, v38
	s_xor_b64 exec, exec, s[12:13]
	s_cbranch_execz .LBB82_18
; %bb.17:                               ;   in Loop: Header=BB82_2 Depth=1
	ds_read_u8 v40, v36 offset:1
	s_waitcnt lgkmcnt(1)
	v_mov_b32_e32 v39, v37
.LBB82_18:                              ;   in Loop: Header=BB82_2 Depth=1
	s_or_b64 exec, exec, s[12:13]
	v_add_u32_e32 v41, 1, v35
	v_cndmask_b32_e64 v37, v37, v38, s[10:11]
	v_add_u32_e32 v38, 1, v36
	v_cndmask_b32_e64 v35, v41, v35, s[10:11]
	v_cndmask_b32_e64 v36, v36, v38, s[10:11]
	v_cmp_ge_i32_e64 s[12:13], v35, v6
	s_waitcnt lgkmcnt(0)
	v_cmp_lt_u16_sdwa s[16:17], v40, v39 src0_sel:BYTE_0 src1_sel:BYTE_0
	v_cmp_lt_i32_e64 s[10:11], v36, v7
	s_or_b64 s[12:13], s[12:13], s[16:17]
	s_and_b64 s[10:11], s[10:11], s[12:13]
	v_mov_b32_e32 v36, v23
	v_cndmask_b32_e64 v35, v39, v40, s[10:11]
	; wave barrier
	ds_write_b8 v1, v37
	ds_write_b8 v1, v35 offset:1
	s_waitcnt lgkmcnt(0)
	; wave barrier
	s_and_saveexec_b64 s[12:13], s[2:3]
	s_cbranch_execz .LBB82_22
; %bb.19:                               ;   in Loop: Header=BB82_2 Depth=1
	s_mov_b64 s[16:17], 0
	v_mov_b32_e32 v36, v23
	v_mov_b32_e32 v35, v24
.LBB82_20:                              ;   Parent Loop BB82_2 Depth=1
                                        ; =>  This Inner Loop Header: Depth=2
	v_sub_u32_e32 v37, v35, v36
	v_lshrrev_b32_e32 v37, 1, v37
	v_add_u32_e32 v37, v37, v36
	v_add_u32_e32 v38, v8, v37
	v_xad_u32 v39, v37, -1, v25
	ds_read_u8 v38, v38
	ds_read_u8 v39, v39
	v_add_u32_e32 v40, 1, v37
	s_waitcnt lgkmcnt(0)
	v_cmp_lt_u16_e64 s[10:11], v39, v38
	v_cndmask_b32_e64 v35, v35, v37, s[10:11]
	v_cndmask_b32_e64 v36, v40, v36, s[10:11]
	v_cmp_ge_i32_e64 s[10:11], v36, v35
	s_or_b64 s[16:17], s[10:11], s[16:17]
	s_andn2_b64 exec, exec, s[16:17]
	s_cbranch_execnz .LBB82_20
; %bb.21:                               ;   in Loop: Header=BB82_2 Depth=1
	s_or_b64 exec, exec, s[16:17]
.LBB82_22:                              ;   in Loop: Header=BB82_2 Depth=1
	s_or_b64 exec, exec, s[12:13]
	v_add_u32_e32 v35, v36, v8
	v_sub_u32_e32 v36, v25, v36
	ds_read_u8 v37, v35
	ds_read_u8 v38, v36
	v_cmp_le_i32_e64 s[12:13], v9, v35
	v_cmp_gt_i32_e64 s[10:11], v10, v36
                                        ; implicit-def: $vgpr39
	s_waitcnt lgkmcnt(0)
	v_cmp_lt_u16_sdwa s[16:17], v38, v37 src0_sel:BYTE_0 src1_sel:BYTE_0
	s_or_b64 s[12:13], s[12:13], s[16:17]
	s_and_b64 s[10:11], s[10:11], s[12:13]
	s_xor_b64 s[12:13], s[10:11], -1
	s_and_saveexec_b64 s[16:17], s[12:13]
	s_xor_b64 s[12:13], exec, s[16:17]
; %bb.23:                               ;   in Loop: Header=BB82_2 Depth=1
	ds_read_u8 v39, v35 offset:1
; %bb.24:                               ;   in Loop: Header=BB82_2 Depth=1
	s_or_saveexec_b64 s[12:13], s[12:13]
	v_mov_b32_e32 v40, v38
	s_xor_b64 exec, exec, s[12:13]
	s_cbranch_execz .LBB82_26
; %bb.25:                               ;   in Loop: Header=BB82_2 Depth=1
	ds_read_u8 v40, v36 offset:1
	s_waitcnt lgkmcnt(1)
	v_mov_b32_e32 v39, v37
.LBB82_26:                              ;   in Loop: Header=BB82_2 Depth=1
	s_or_b64 exec, exec, s[12:13]
	v_add_u32_e32 v41, 1, v35
	v_cndmask_b32_e64 v37, v37, v38, s[10:11]
	v_add_u32_e32 v38, 1, v36
	v_cndmask_b32_e64 v35, v41, v35, s[10:11]
	v_cndmask_b32_e64 v36, v36, v38, s[10:11]
	v_cmp_ge_i32_e64 s[12:13], v35, v9
	s_waitcnt lgkmcnt(0)
	v_cmp_lt_u16_sdwa s[16:17], v40, v39 src0_sel:BYTE_0 src1_sel:BYTE_0
	v_cmp_lt_i32_e64 s[10:11], v36, v10
	s_or_b64 s[12:13], s[12:13], s[16:17]
	s_and_b64 s[10:11], s[10:11], s[12:13]
	v_mov_b32_e32 v36, v26
	v_cndmask_b32_e64 v35, v39, v40, s[10:11]
	; wave barrier
	ds_write_b8 v1, v37
	ds_write_b8 v1, v35 offset:1
	s_waitcnt lgkmcnt(0)
	; wave barrier
	s_and_saveexec_b64 s[12:13], s[4:5]
	s_cbranch_execz .LBB82_30
; %bb.27:                               ;   in Loop: Header=BB82_2 Depth=1
	s_mov_b64 s[16:17], 0
	v_mov_b32_e32 v36, v26
	v_mov_b32_e32 v35, v27
.LBB82_28:                              ;   Parent Loop BB82_2 Depth=1
                                        ; =>  This Inner Loop Header: Depth=2
	v_sub_u32_e32 v37, v35, v36
	v_lshrrev_b32_e32 v37, 1, v37
	v_add_u32_e32 v37, v37, v36
	v_add_u32_e32 v38, v11, v37
	v_xad_u32 v39, v37, -1, v28
	ds_read_u8 v38, v38
	ds_read_u8 v39, v39
	v_add_u32_e32 v40, 1, v37
	s_waitcnt lgkmcnt(0)
	v_cmp_lt_u16_e64 s[10:11], v39, v38
	v_cndmask_b32_e64 v35, v35, v37, s[10:11]
	v_cndmask_b32_e64 v36, v40, v36, s[10:11]
	v_cmp_ge_i32_e64 s[10:11], v36, v35
	s_or_b64 s[16:17], s[10:11], s[16:17]
	s_andn2_b64 exec, exec, s[16:17]
	s_cbranch_execnz .LBB82_28
; %bb.29:                               ;   in Loop: Header=BB82_2 Depth=1
	s_or_b64 exec, exec, s[16:17]
.LBB82_30:                              ;   in Loop: Header=BB82_2 Depth=1
	s_or_b64 exec, exec, s[12:13]
	v_add_u32_e32 v35, v36, v11
	v_sub_u32_e32 v36, v28, v36
	ds_read_u8 v37, v35
	ds_read_u8 v38, v36
	v_cmp_le_i32_e64 s[12:13], v12, v35
	v_cmp_gt_i32_e64 s[10:11], v13, v36
                                        ; implicit-def: $vgpr39
	s_waitcnt lgkmcnt(0)
	v_cmp_lt_u16_sdwa s[16:17], v38, v37 src0_sel:BYTE_0 src1_sel:BYTE_0
	s_or_b64 s[12:13], s[12:13], s[16:17]
	s_and_b64 s[10:11], s[10:11], s[12:13]
	s_xor_b64 s[12:13], s[10:11], -1
	s_and_saveexec_b64 s[16:17], s[12:13]
	s_xor_b64 s[12:13], exec, s[16:17]
; %bb.31:                               ;   in Loop: Header=BB82_2 Depth=1
	ds_read_u8 v39, v35 offset:1
; %bb.32:                               ;   in Loop: Header=BB82_2 Depth=1
	s_or_saveexec_b64 s[12:13], s[12:13]
	v_mov_b32_e32 v40, v38
	s_xor_b64 exec, exec, s[12:13]
	s_cbranch_execz .LBB82_34
; %bb.33:                               ;   in Loop: Header=BB82_2 Depth=1
	ds_read_u8 v40, v36 offset:1
	s_waitcnt lgkmcnt(1)
	v_mov_b32_e32 v39, v37
.LBB82_34:                              ;   in Loop: Header=BB82_2 Depth=1
	s_or_b64 exec, exec, s[12:13]
	v_add_u32_e32 v41, 1, v35
	v_cndmask_b32_e64 v37, v37, v38, s[10:11]
	v_add_u32_e32 v38, 1, v36
	v_cndmask_b32_e64 v35, v41, v35, s[10:11]
	v_cndmask_b32_e64 v36, v36, v38, s[10:11]
	v_cmp_ge_i32_e64 s[12:13], v35, v12
	s_waitcnt lgkmcnt(0)
	v_cmp_lt_u16_sdwa s[16:17], v40, v39 src0_sel:BYTE_0 src1_sel:BYTE_0
	v_cmp_lt_i32_e64 s[10:11], v36, v13
	s_or_b64 s[12:13], s[12:13], s[16:17]
	s_and_b64 s[10:11], s[10:11], s[12:13]
	v_mov_b32_e32 v36, v29
	v_cndmask_b32_e64 v35, v39, v40, s[10:11]
	; wave barrier
	ds_write_b8 v1, v37
	ds_write_b8 v1, v35 offset:1
	s_waitcnt lgkmcnt(0)
	; wave barrier
	s_and_saveexec_b64 s[12:13], s[6:7]
	s_cbranch_execz .LBB82_38
; %bb.35:                               ;   in Loop: Header=BB82_2 Depth=1
	s_mov_b64 s[16:17], 0
	v_mov_b32_e32 v36, v29
	v_mov_b32_e32 v35, v30
.LBB82_36:                              ;   Parent Loop BB82_2 Depth=1
                                        ; =>  This Inner Loop Header: Depth=2
	v_sub_u32_e32 v37, v35, v36
	v_lshrrev_b32_e32 v37, 1, v37
	v_add_u32_e32 v37, v37, v36
	v_add_u32_e32 v38, v14, v37
	v_xad_u32 v39, v37, -1, v31
	ds_read_u8 v38, v38
	ds_read_u8 v39, v39
	v_add_u32_e32 v40, 1, v37
	s_waitcnt lgkmcnt(0)
	v_cmp_lt_u16_e64 s[10:11], v39, v38
	v_cndmask_b32_e64 v35, v35, v37, s[10:11]
	v_cndmask_b32_e64 v36, v40, v36, s[10:11]
	v_cmp_ge_i32_e64 s[10:11], v36, v35
	s_or_b64 s[16:17], s[10:11], s[16:17]
	s_andn2_b64 exec, exec, s[16:17]
	s_cbranch_execnz .LBB82_36
; %bb.37:                               ;   in Loop: Header=BB82_2 Depth=1
	s_or_b64 exec, exec, s[16:17]
.LBB82_38:                              ;   in Loop: Header=BB82_2 Depth=1
	s_or_b64 exec, exec, s[12:13]
	v_add_u32_e32 v35, v36, v14
	v_sub_u32_e32 v36, v31, v36
	ds_read_u8 v37, v35
	ds_read_u8 v38, v36
	v_cmp_le_i32_e64 s[12:13], v15, v35
	v_cmp_gt_i32_e64 s[10:11], v16, v36
                                        ; implicit-def: $vgpr39
	s_waitcnt lgkmcnt(0)
	v_cmp_lt_u16_sdwa s[16:17], v38, v37 src0_sel:BYTE_0 src1_sel:BYTE_0
	s_or_b64 s[12:13], s[12:13], s[16:17]
	s_and_b64 s[10:11], s[10:11], s[12:13]
	s_xor_b64 s[12:13], s[10:11], -1
	s_and_saveexec_b64 s[16:17], s[12:13]
	s_xor_b64 s[12:13], exec, s[16:17]
; %bb.39:                               ;   in Loop: Header=BB82_2 Depth=1
	ds_read_u8 v39, v35 offset:1
; %bb.40:                               ;   in Loop: Header=BB82_2 Depth=1
	s_or_saveexec_b64 s[12:13], s[12:13]
	v_mov_b32_e32 v40, v38
	s_xor_b64 exec, exec, s[12:13]
	s_cbranch_execz .LBB82_42
; %bb.41:                               ;   in Loop: Header=BB82_2 Depth=1
	ds_read_u8 v40, v36 offset:1
	s_waitcnt lgkmcnt(1)
	v_mov_b32_e32 v39, v37
.LBB82_42:                              ;   in Loop: Header=BB82_2 Depth=1
	s_or_b64 exec, exec, s[12:13]
	v_add_u32_e32 v41, 1, v35
	v_cndmask_b32_e64 v37, v37, v38, s[10:11]
	v_add_u32_e32 v38, 1, v36
	v_cndmask_b32_e64 v35, v41, v35, s[10:11]
	v_cndmask_b32_e64 v36, v36, v38, s[10:11]
	v_cmp_ge_i32_e64 s[12:13], v35, v15
	s_waitcnt lgkmcnt(0)
	v_cmp_lt_u16_sdwa s[16:17], v40, v39 src0_sel:BYTE_0 src1_sel:BYTE_0
	v_cmp_lt_i32_e64 s[10:11], v36, v16
	s_or_b64 s[12:13], s[12:13], s[16:17]
	s_and_b64 s[10:11], s[10:11], s[12:13]
	v_cndmask_b32_e64 v35, v39, v40, s[10:11]
	; wave barrier
	ds_write_b8 v1, v37
	ds_write_b8 v1, v35 offset:1
	v_mov_b32_e32 v35, v32
	s_waitcnt lgkmcnt(0)
	; wave barrier
	s_and_saveexec_b64 s[12:13], s[8:9]
	s_cbranch_execz .LBB82_46
; %bb.43:                               ;   in Loop: Header=BB82_2 Depth=1
	s_mov_b64 s[16:17], 0
	v_mov_b32_e32 v35, v32
	v_mov_b32_e32 v36, v33
.LBB82_44:                              ;   Parent Loop BB82_2 Depth=1
                                        ; =>  This Inner Loop Header: Depth=2
	v_sub_u32_e32 v37, v36, v35
	v_lshrrev_b32_e32 v37, 1, v37
	v_add_u32_e32 v37, v37, v35
	v_xad_u32 v38, v37, -1, v34
	ds_read_u8 v39, v37
	ds_read_u8 v38, v38
	v_add_u32_e32 v40, 1, v37
	s_waitcnt lgkmcnt(0)
	v_cmp_lt_u16_e64 s[10:11], v38, v39
	v_cndmask_b32_e64 v36, v36, v37, s[10:11]
	v_cndmask_b32_e64 v35, v40, v35, s[10:11]
	v_cmp_ge_i32_e64 s[10:11], v35, v36
	s_or_b64 s[16:17], s[10:11], s[16:17]
	s_andn2_b64 exec, exec, s[16:17]
	s_cbranch_execnz .LBB82_44
; %bb.45:                               ;   in Loop: Header=BB82_2 Depth=1
	s_or_b64 exec, exec, s[16:17]
.LBB82_46:                              ;   in Loop: Header=BB82_2 Depth=1
	s_or_b64 exec, exec, s[12:13]
	v_sub_u32_e32 v37, v34, v35
	ds_read_u8 v36, v35
	ds_read_u8 v38, v37
	v_cmp_le_i32_e64 s[12:13], 64, v35
	v_cmp_gt_i32_e64 s[10:11], s21, v37
                                        ; implicit-def: $vgpr39
                                        ; implicit-def: $vgpr40
	s_waitcnt lgkmcnt(0)
	v_cmp_lt_u16_sdwa s[16:17], v38, v36 src0_sel:BYTE_0 src1_sel:BYTE_0
	s_or_b64 s[12:13], s[12:13], s[16:17]
	s_and_b64 s[10:11], s[10:11], s[12:13]
	s_xor_b64 s[12:13], s[10:11], -1
	s_and_saveexec_b64 s[16:17], s[12:13]
	s_xor_b64 s[12:13], exec, s[16:17]
; %bb.47:                               ;   in Loop: Header=BB82_2 Depth=1
	ds_read_u8 v39, v35 offset:1
	v_add_u32_e32 v40, 1, v35
                                        ; implicit-def: $vgpr35
; %bb.48:                               ;   in Loop: Header=BB82_2 Depth=1
	s_or_saveexec_b64 s[12:13], s[12:13]
	v_mov_b32_e32 v41, v38
	s_xor_b64 exec, exec, s[12:13]
	s_cbranch_execz .LBB82_1
; %bb.49:                               ;   in Loop: Header=BB82_2 Depth=1
	ds_read_u8 v41, v37 offset:1
	v_add_u32_e32 v37, 1, v37
	v_mov_b32_e32 v40, v35
	s_waitcnt lgkmcnt(1)
	v_mov_b32_e32 v39, v36
	s_branch .LBB82_1
.LBB82_50:
	s_add_u32 s0, s14, s18
	s_addc_u32 s1, s15, 0
	v_mov_b32_e32 v1, s1
	v_add_co_u32_e32 v0, vcc, s0, v0
	v_addc_co_u32_e32 v1, vcc, 0, v1, vcc
	global_store_byte v[0:1], v35, off
	global_store_byte v[0:1], v36, off offset:64
	s_endpgm
	.section	.rodata,"a",@progbits
	.p2align	6, 0x0
	.amdhsa_kernel _Z16sort_keys_kernelIhLj64ELj2EN10test_utils4lessELj10EEvPKT_PS2_T2_
		.amdhsa_group_segment_fixed_size 129
		.amdhsa_private_segment_fixed_size 0
		.amdhsa_kernarg_size 20
		.amdhsa_user_sgpr_count 6
		.amdhsa_user_sgpr_private_segment_buffer 1
		.amdhsa_user_sgpr_dispatch_ptr 0
		.amdhsa_user_sgpr_queue_ptr 0
		.amdhsa_user_sgpr_kernarg_segment_ptr 1
		.amdhsa_user_sgpr_dispatch_id 0
		.amdhsa_user_sgpr_flat_scratch_init 0
		.amdhsa_user_sgpr_private_segment_size 0
		.amdhsa_uses_dynamic_stack 0
		.amdhsa_system_sgpr_private_segment_wavefront_offset 0
		.amdhsa_system_sgpr_workgroup_id_x 1
		.amdhsa_system_sgpr_workgroup_id_y 0
		.amdhsa_system_sgpr_workgroup_id_z 0
		.amdhsa_system_sgpr_workgroup_info 0
		.amdhsa_system_vgpr_workitem_id 0
		.amdhsa_next_free_vgpr 42
		.amdhsa_next_free_sgpr 22
		.amdhsa_reserve_vcc 1
		.amdhsa_reserve_flat_scratch 0
		.amdhsa_float_round_mode_32 0
		.amdhsa_float_round_mode_16_64 0
		.amdhsa_float_denorm_mode_32 3
		.amdhsa_float_denorm_mode_16_64 3
		.amdhsa_dx10_clamp 1
		.amdhsa_ieee_mode 1
		.amdhsa_fp16_overflow 0
		.amdhsa_exception_fp_ieee_invalid_op 0
		.amdhsa_exception_fp_denorm_src 0
		.amdhsa_exception_fp_ieee_div_zero 0
		.amdhsa_exception_fp_ieee_overflow 0
		.amdhsa_exception_fp_ieee_underflow 0
		.amdhsa_exception_fp_ieee_inexact 0
		.amdhsa_exception_int_div_zero 0
	.end_amdhsa_kernel
	.section	.text._Z16sort_keys_kernelIhLj64ELj2EN10test_utils4lessELj10EEvPKT_PS2_T2_,"axG",@progbits,_Z16sort_keys_kernelIhLj64ELj2EN10test_utils4lessELj10EEvPKT_PS2_T2_,comdat
.Lfunc_end82:
	.size	_Z16sort_keys_kernelIhLj64ELj2EN10test_utils4lessELj10EEvPKT_PS2_T2_, .Lfunc_end82-_Z16sort_keys_kernelIhLj64ELj2EN10test_utils4lessELj10EEvPKT_PS2_T2_
                                        ; -- End function
	.set _Z16sort_keys_kernelIhLj64ELj2EN10test_utils4lessELj10EEvPKT_PS2_T2_.num_vgpr, 42
	.set _Z16sort_keys_kernelIhLj64ELj2EN10test_utils4lessELj10EEvPKT_PS2_T2_.num_agpr, 0
	.set _Z16sort_keys_kernelIhLj64ELj2EN10test_utils4lessELj10EEvPKT_PS2_T2_.numbered_sgpr, 22
	.set _Z16sort_keys_kernelIhLj64ELj2EN10test_utils4lessELj10EEvPKT_PS2_T2_.num_named_barrier, 0
	.set _Z16sort_keys_kernelIhLj64ELj2EN10test_utils4lessELj10EEvPKT_PS2_T2_.private_seg_size, 0
	.set _Z16sort_keys_kernelIhLj64ELj2EN10test_utils4lessELj10EEvPKT_PS2_T2_.uses_vcc, 1
	.set _Z16sort_keys_kernelIhLj64ELj2EN10test_utils4lessELj10EEvPKT_PS2_T2_.uses_flat_scratch, 0
	.set _Z16sort_keys_kernelIhLj64ELj2EN10test_utils4lessELj10EEvPKT_PS2_T2_.has_dyn_sized_stack, 0
	.set _Z16sort_keys_kernelIhLj64ELj2EN10test_utils4lessELj10EEvPKT_PS2_T2_.has_recursion, 0
	.set _Z16sort_keys_kernelIhLj64ELj2EN10test_utils4lessELj10EEvPKT_PS2_T2_.has_indirect_call, 0
	.section	.AMDGPU.csdata,"",@progbits
; Kernel info:
; codeLenInByte = 2484
; TotalNumSgprs: 26
; NumVgprs: 42
; ScratchSize: 0
; MemoryBound: 0
; FloatMode: 240
; IeeeMode: 1
; LDSByteSize: 129 bytes/workgroup (compile time only)
; SGPRBlocks: 3
; VGPRBlocks: 10
; NumSGPRsForWavesPerEU: 26
; NumVGPRsForWavesPerEU: 42
; Occupancy: 5
; WaveLimiterHint : 0
; COMPUTE_PGM_RSRC2:SCRATCH_EN: 0
; COMPUTE_PGM_RSRC2:USER_SGPR: 6
; COMPUTE_PGM_RSRC2:TRAP_HANDLER: 0
; COMPUTE_PGM_RSRC2:TGID_X_EN: 1
; COMPUTE_PGM_RSRC2:TGID_Y_EN: 0
; COMPUTE_PGM_RSRC2:TGID_Z_EN: 0
; COMPUTE_PGM_RSRC2:TIDIG_COMP_CNT: 0
	.section	.text._Z17sort_pairs_kernelIhLj64ELj2EN10test_utils4lessELj10EEvPKT_PS2_T2_,"axG",@progbits,_Z17sort_pairs_kernelIhLj64ELj2EN10test_utils4lessELj10EEvPKT_PS2_T2_,comdat
	.protected	_Z17sort_pairs_kernelIhLj64ELj2EN10test_utils4lessELj10EEvPKT_PS2_T2_ ; -- Begin function _Z17sort_pairs_kernelIhLj64ELj2EN10test_utils4lessELj10EEvPKT_PS2_T2_
	.globl	_Z17sort_pairs_kernelIhLj64ELj2EN10test_utils4lessELj10EEvPKT_PS2_T2_
	.p2align	8
	.type	_Z17sort_pairs_kernelIhLj64ELj2EN10test_utils4lessELj10EEvPKT_PS2_T2_,@function
_Z17sort_pairs_kernelIhLj64ELj2EN10test_utils4lessELj10EEvPKT_PS2_T2_: ; @_Z17sort_pairs_kernelIhLj64ELj2EN10test_utils4lessELj10EEvPKT_PS2_T2_
; %bb.0:
	s_load_dwordx4 s[16:19], s[4:5], 0x0
	s_lshl_b32 s20, s6, 7
	v_lshlrev_b32_e32 v1, 1, v0
	v_and_b32_e32 v2, 0x7c, v1
	v_and_b32_e32 v3, 0x78, v1
	s_waitcnt lgkmcnt(0)
	s_add_u32 s0, s16, s20
	s_addc_u32 s1, s17, 0
	global_load_ubyte v38, v0, s[0:1]
	global_load_ubyte v37, v0, s[0:1] offset:64
	v_and_b32_e32 v5, 0x60, v1
	v_or_b32_e32 v9, 2, v2
	v_add_u32_e32 v10, 4, v2
	v_and_b32_e32 v24, 2, v1
	v_and_b32_e32 v4, 0x70, v1
	v_or_b32_e32 v11, 4, v3
	v_add_u32_e32 v12, 8, v3
	v_or_b32_e32 v15, 16, v5
	v_sub_u32_e32 v25, v10, v9
	v_and_b32_e32 v30, 6, v1
	v_and_b32_e32 v32, 30, v1
	v_or_b32_e32 v13, 8, v4
	v_add_u32_e32 v14, 16, v4
	v_sub_u32_e32 v34, v12, v11
	v_sub_u32_e32 v27, v11, v3
	;; [unrolled: 1-line block ×4, first 2 shown]
	v_cmp_ge_i32_e64 s[0:1], v24, v25
	v_and_b32_e32 v31, 14, v1
	v_and_b32_e32 v6, 64, v1
	v_add_u32_e32 v16, 32, v5
	v_sub_u32_e32 v35, v14, v13
	v_sub_u32_e32 v42, v30, v34
	v_min_i32_e32 v25, v30, v27
	v_min_i32_e32 v27, v32, v29
	v_cndmask_b32_e64 v29, 0, v41, s[0:1]
	v_cmp_ge_i32_e64 s[0:1], v30, v34
	v_or_b32_e32 v17, 32, v6
	v_add_u32_e32 v18, 64, v6
	v_sub_u32_e32 v36, v16, v15
	v_sub_u32_e32 v26, v9, v2
	v_add_u32_e32 v20, v11, v30
	v_sub_u32_e32 v28, v13, v4
	v_sub_u32_e32 v43, v31, v35
	v_cndmask_b32_e64 v30, 0, v42, s[0:1]
	v_cmp_ge_i32_e64 s[0:1], v31, v35
	v_and_b32_e32 v33, 62, v1
	v_sub_u32_e32 v39, v18, v17
	v_add_u32_e32 v19, v9, v24
	v_add_u32_e32 v21, v13, v31
	v_sub_u32_e32 v44, v32, v36
	v_min_i32_e32 v24, v24, v26
	v_min_i32_e32 v26, v31, v28
	v_cndmask_b32_e64 v31, 0, v43, s[0:1]
	v_cmp_ge_i32_e64 s[0:1], v32, v36
	v_add_u32_e32 v22, v15, v32
	v_sub_u32_e32 v40, v17, v6
	v_sub_u32_e32 v45, v33, v39
	v_cndmask_b32_e64 v32, 0, v44, s[0:1]
	v_cmp_ge_i32_e64 s[0:1], v33, v39
	v_sub_u32_e64 v7, v1, 64 clamp
	v_min_i32_e32 v8, 64, v1
	v_add_u32_e32 v23, v17, v33
	v_min_i32_e32 v28, v33, v40
	v_cndmask_b32_e64 v33, 0, v45, s[0:1]
	s_mov_b32 s21, 0
	s_mov_b32 s22, 0xc0c0004
	s_movk_i32 s23, 0x80
	v_cmp_lt_i32_e32 vcc, v7, v8
	v_cmp_lt_i32_e64 s[0:1], v29, v24
	v_cmp_lt_i32_e64 s[2:3], v30, v25
	;; [unrolled: 1-line block ×5, first 2 shown]
	v_add_u32_e32 v34, 64, v1
	s_waitcnt vmcnt(1)
	v_add_u16_e32 v35, 1, v38
	s_waitcnt vmcnt(0)
	v_add_u16_e32 v36, 1, v37
	s_branch .LBB83_2
.LBB83_1:                               ;   in Loop: Header=BB83_2 Depth=1
	s_or_b64 exec, exec, s[12:13]
	v_cmp_le_i32_e64 s[14:15], 64, v41
	s_waitcnt lgkmcnt(0)
	v_cmp_lt_u16_sdwa s[16:17], v44, v42 src0_sel:BYTE_0 src1_sel:BYTE_0
	v_cmp_gt_i32_e64 s[12:13], s23, v40
	s_or_b64 s[14:15], s[14:15], s[16:17]
	s_and_b64 s[12:13], s[12:13], s[14:15]
	v_cndmask_b32_e64 v40, v41, v40, s[12:13]
	; wave barrier
	ds_write_b8 v1, v35
	ds_write_b8 v1, v36 offset:1
	s_waitcnt lgkmcnt(0)
	; wave barrier
	ds_read_u8 v35, v43
	ds_read_u8 v36, v40
	s_add_i32 s21, s21, 1
	v_cndmask_b32_e64 v37, v42, v44, s[12:13]
	s_cmp_eq_u32 s21, 10
	v_cndmask_b32_e64 v38, v38, v39, s[10:11]
	s_cbranch_scc1 .LBB83_50
.LBB83_2:                               ; =>This Loop Header: Depth=1
                                        ;     Child Loop BB83_4 Depth 2
                                        ;     Child Loop BB83_12 Depth 2
                                        ;     Child Loop BB83_20 Depth 2
                                        ;     Child Loop BB83_28 Depth 2
                                        ;     Child Loop BB83_36 Depth 2
                                        ;     Child Loop BB83_44 Depth 2
	v_perm_b32 v39, v37, v38, s22
	v_perm_b32 v40, v38, v37, s22
	v_cmp_lt_u16_sdwa s[10:11], v37, v38 src0_sel:BYTE_0 src1_sel:BYTE_0
	v_cndmask_b32_e64 v37, v40, v39, s[10:11]
	; wave barrier
	ds_write_b8 v1, v37
	v_lshrrev_b16_e32 v37, 8, v37
	v_mov_b32_e32 v38, v29
	ds_write_b8 v1, v37 offset:1
	s_waitcnt lgkmcnt(0)
	; wave barrier
	s_and_saveexec_b64 s[14:15], s[0:1]
	s_cbranch_execz .LBB83_6
; %bb.3:                                ;   in Loop: Header=BB83_2 Depth=1
	s_mov_b64 s[16:17], 0
	v_mov_b32_e32 v38, v29
	v_mov_b32_e32 v37, v24
.LBB83_4:                               ;   Parent Loop BB83_2 Depth=1
                                        ; =>  This Inner Loop Header: Depth=2
	v_sub_u32_e32 v39, v37, v38
	v_lshrrev_b32_e32 v39, 1, v39
	v_add_u32_e32 v39, v39, v38
	v_add_u32_e32 v40, v2, v39
	v_xad_u32 v41, v39, -1, v19
	ds_read_u8 v40, v40
	ds_read_u8 v41, v41
	v_add_u32_e32 v42, 1, v39
	s_waitcnt lgkmcnt(0)
	v_cmp_lt_u16_e64 s[12:13], v41, v40
	v_cndmask_b32_e64 v37, v37, v39, s[12:13]
	v_cndmask_b32_e64 v38, v42, v38, s[12:13]
	v_cmp_ge_i32_e64 s[12:13], v38, v37
	s_or_b64 s[16:17], s[12:13], s[16:17]
	s_andn2_b64 exec, exec, s[16:17]
	s_cbranch_execnz .LBB83_4
; %bb.5:                                ;   in Loop: Header=BB83_2 Depth=1
	s_or_b64 exec, exec, s[16:17]
.LBB83_6:                               ;   in Loop: Header=BB83_2 Depth=1
	s_or_b64 exec, exec, s[14:15]
	v_add_u32_e32 v37, v38, v2
	v_sub_u32_e32 v38, v19, v38
	ds_read_u8 v40, v37
	ds_read_u8 v41, v38
	v_cmp_le_i32_e64 s[14:15], v9, v37
	v_cmp_gt_i32_e64 s[12:13], v10, v38
                                        ; implicit-def: $vgpr39
	s_waitcnt lgkmcnt(0)
	v_cmp_lt_u16_sdwa s[16:17], v41, v40 src0_sel:BYTE_0 src1_sel:BYTE_0
	s_or_b64 s[14:15], s[14:15], s[16:17]
	s_and_b64 s[12:13], s[12:13], s[14:15]
	s_xor_b64 s[14:15], s[12:13], -1
	s_and_saveexec_b64 s[16:17], s[14:15]
	s_xor_b64 s[14:15], exec, s[16:17]
; %bb.7:                                ;   in Loop: Header=BB83_2 Depth=1
	ds_read_u8 v39, v37 offset:1
; %bb.8:                                ;   in Loop: Header=BB83_2 Depth=1
	s_or_saveexec_b64 s[14:15], s[14:15]
	v_mov_b32_e32 v42, v41
	s_xor_b64 exec, exec, s[14:15]
	s_cbranch_execz .LBB83_10
; %bb.9:                                ;   in Loop: Header=BB83_2 Depth=1
	ds_read_u8 v42, v38 offset:1
	s_waitcnt lgkmcnt(1)
	v_mov_b32_e32 v39, v40
.LBB83_10:                              ;   in Loop: Header=BB83_2 Depth=1
	s_or_b64 exec, exec, s[14:15]
	v_add_u32_e32 v43, 1, v37
	v_cndmask_b32_e64 v40, v40, v41, s[12:13]
	v_add_u32_e32 v41, 1, v38
	v_cndmask_b32_e64 v43, v43, v37, s[12:13]
	v_cndmask_b32_e64 v41, v38, v41, s[12:13]
	;; [unrolled: 1-line block ×3, first 2 shown]
	v_perm_b32 v38, v36, v35, s22
	v_perm_b32 v35, v35, v36, s22
	v_cmp_ge_i32_e64 s[12:13], v43, v9
	s_waitcnt lgkmcnt(0)
	v_cmp_lt_u16_sdwa s[14:15], v42, v39 src0_sel:BYTE_0 src1_sel:BYTE_0
	v_cndmask_b32_e64 v35, v35, v38, s[10:11]
	v_cmp_lt_i32_e64 s[10:11], v41, v10
	s_or_b64 s[12:13], s[12:13], s[14:15]
	s_and_b64 s[10:11], s[10:11], s[12:13]
	v_cndmask_b32_e64 v36, v43, v41, s[10:11]
	; wave barrier
	ds_write_b8 v1, v35
	v_lshrrev_b16_e32 v35, 8, v35
	ds_write_b8 v1, v35 offset:1
	s_waitcnt lgkmcnt(0)
	; wave barrier
	ds_read_u8 v35, v37
	ds_read_u8 v36, v36
	v_cndmask_b32_e64 v38, v39, v42, s[10:11]
	s_waitcnt lgkmcnt(0)
	; wave barrier
	ds_write_b8 v1, v40
	ds_write_b8 v1, v38 offset:1
	v_mov_b32_e32 v38, v30
	s_waitcnt lgkmcnt(0)
	; wave barrier
	s_and_saveexec_b64 s[12:13], s[2:3]
	s_cbranch_execz .LBB83_14
; %bb.11:                               ;   in Loop: Header=BB83_2 Depth=1
	s_mov_b64 s[14:15], 0
	v_mov_b32_e32 v38, v30
	v_mov_b32_e32 v37, v25
.LBB83_12:                              ;   Parent Loop BB83_2 Depth=1
                                        ; =>  This Inner Loop Header: Depth=2
	v_sub_u32_e32 v39, v37, v38
	v_lshrrev_b32_e32 v39, 1, v39
	v_add_u32_e32 v39, v39, v38
	v_add_u32_e32 v40, v3, v39
	v_xad_u32 v41, v39, -1, v20
	ds_read_u8 v40, v40
	ds_read_u8 v41, v41
	v_add_u32_e32 v42, 1, v39
	s_waitcnt lgkmcnt(0)
	v_cmp_lt_u16_e64 s[10:11], v41, v40
	v_cndmask_b32_e64 v37, v37, v39, s[10:11]
	v_cndmask_b32_e64 v38, v42, v38, s[10:11]
	v_cmp_ge_i32_e64 s[10:11], v38, v37
	s_or_b64 s[14:15], s[10:11], s[14:15]
	s_andn2_b64 exec, exec, s[14:15]
	s_cbranch_execnz .LBB83_12
; %bb.13:                               ;   in Loop: Header=BB83_2 Depth=1
	s_or_b64 exec, exec, s[14:15]
.LBB83_14:                              ;   in Loop: Header=BB83_2 Depth=1
	s_or_b64 exec, exec, s[12:13]
	v_add_u32_e32 v37, v38, v3
	v_sub_u32_e32 v38, v20, v38
	ds_read_u8 v39, v37
	ds_read_u8 v40, v38
	v_cmp_le_i32_e64 s[12:13], v11, v37
	v_cmp_gt_i32_e64 s[10:11], v12, v38
                                        ; implicit-def: $vgpr41
	s_waitcnt lgkmcnt(0)
	v_cmp_lt_u16_sdwa s[14:15], v40, v39 src0_sel:BYTE_0 src1_sel:BYTE_0
	s_or_b64 s[12:13], s[12:13], s[14:15]
	s_and_b64 s[10:11], s[10:11], s[12:13]
	s_xor_b64 s[12:13], s[10:11], -1
	s_and_saveexec_b64 s[14:15], s[12:13]
	s_xor_b64 s[12:13], exec, s[14:15]
; %bb.15:                               ;   in Loop: Header=BB83_2 Depth=1
	ds_read_u8 v41, v37 offset:1
; %bb.16:                               ;   in Loop: Header=BB83_2 Depth=1
	s_or_saveexec_b64 s[12:13], s[12:13]
	v_mov_b32_e32 v42, v40
	s_xor_b64 exec, exec, s[12:13]
	s_cbranch_execz .LBB83_18
; %bb.17:                               ;   in Loop: Header=BB83_2 Depth=1
	ds_read_u8 v42, v38 offset:1
	s_waitcnt lgkmcnt(1)
	v_mov_b32_e32 v41, v39
.LBB83_18:                              ;   in Loop: Header=BB83_2 Depth=1
	s_or_b64 exec, exec, s[12:13]
	v_add_u32_e32 v43, 1, v37
	v_cndmask_b32_e64 v39, v39, v40, s[10:11]
	v_add_u32_e32 v40, 1, v38
	v_cndmask_b32_e64 v43, v43, v37, s[10:11]
	v_cndmask_b32_e64 v40, v38, v40, s[10:11]
	v_cmp_ge_i32_e64 s[12:13], v43, v11
	s_waitcnt lgkmcnt(0)
	v_cmp_lt_u16_sdwa s[14:15], v42, v41 src0_sel:BYTE_0 src1_sel:BYTE_0
	v_cndmask_b32_e64 v37, v37, v38, s[10:11]
	v_cmp_lt_i32_e64 s[10:11], v40, v12
	s_or_b64 s[12:13], s[12:13], s[14:15]
	s_and_b64 s[10:11], s[10:11], s[12:13]
	v_cndmask_b32_e64 v40, v43, v40, s[10:11]
	; wave barrier
	ds_write_b8 v1, v35
	ds_write_b8 v1, v36 offset:1
	s_waitcnt lgkmcnt(0)
	; wave barrier
	ds_read_u8 v35, v37
	ds_read_u8 v36, v40
	v_cndmask_b32_e64 v38, v41, v42, s[10:11]
	s_waitcnt lgkmcnt(0)
	; wave barrier
	ds_write_b8 v1, v39
	ds_write_b8 v1, v38 offset:1
	v_mov_b32_e32 v38, v31
	s_waitcnt lgkmcnt(0)
	; wave barrier
	s_and_saveexec_b64 s[12:13], s[4:5]
	s_cbranch_execz .LBB83_22
; %bb.19:                               ;   in Loop: Header=BB83_2 Depth=1
	s_mov_b64 s[14:15], 0
	v_mov_b32_e32 v38, v31
	v_mov_b32_e32 v37, v26
.LBB83_20:                              ;   Parent Loop BB83_2 Depth=1
                                        ; =>  This Inner Loop Header: Depth=2
	v_sub_u32_e32 v39, v37, v38
	v_lshrrev_b32_e32 v39, 1, v39
	v_add_u32_e32 v39, v39, v38
	v_add_u32_e32 v40, v4, v39
	v_xad_u32 v41, v39, -1, v21
	ds_read_u8 v40, v40
	ds_read_u8 v41, v41
	v_add_u32_e32 v42, 1, v39
	s_waitcnt lgkmcnt(0)
	v_cmp_lt_u16_e64 s[10:11], v41, v40
	v_cndmask_b32_e64 v37, v37, v39, s[10:11]
	v_cndmask_b32_e64 v38, v42, v38, s[10:11]
	v_cmp_ge_i32_e64 s[10:11], v38, v37
	s_or_b64 s[14:15], s[10:11], s[14:15]
	s_andn2_b64 exec, exec, s[14:15]
	s_cbranch_execnz .LBB83_20
; %bb.21:                               ;   in Loop: Header=BB83_2 Depth=1
	s_or_b64 exec, exec, s[14:15]
.LBB83_22:                              ;   in Loop: Header=BB83_2 Depth=1
	s_or_b64 exec, exec, s[12:13]
	v_add_u32_e32 v37, v38, v4
	v_sub_u32_e32 v38, v21, v38
	ds_read_u8 v39, v37
	ds_read_u8 v40, v38
	v_cmp_le_i32_e64 s[12:13], v13, v37
	v_cmp_gt_i32_e64 s[10:11], v14, v38
                                        ; implicit-def: $vgpr41
	s_waitcnt lgkmcnt(0)
	v_cmp_lt_u16_sdwa s[14:15], v40, v39 src0_sel:BYTE_0 src1_sel:BYTE_0
	s_or_b64 s[12:13], s[12:13], s[14:15]
	s_and_b64 s[10:11], s[10:11], s[12:13]
	s_xor_b64 s[12:13], s[10:11], -1
	s_and_saveexec_b64 s[14:15], s[12:13]
	s_xor_b64 s[12:13], exec, s[14:15]
; %bb.23:                               ;   in Loop: Header=BB83_2 Depth=1
	ds_read_u8 v41, v37 offset:1
; %bb.24:                               ;   in Loop: Header=BB83_2 Depth=1
	s_or_saveexec_b64 s[12:13], s[12:13]
	v_mov_b32_e32 v42, v40
	s_xor_b64 exec, exec, s[12:13]
	s_cbranch_execz .LBB83_26
; %bb.25:                               ;   in Loop: Header=BB83_2 Depth=1
	ds_read_u8 v42, v38 offset:1
	s_waitcnt lgkmcnt(1)
	v_mov_b32_e32 v41, v39
.LBB83_26:                              ;   in Loop: Header=BB83_2 Depth=1
	s_or_b64 exec, exec, s[12:13]
	v_add_u32_e32 v43, 1, v37
	v_cndmask_b32_e64 v39, v39, v40, s[10:11]
	v_add_u32_e32 v40, 1, v38
	v_cndmask_b32_e64 v43, v43, v37, s[10:11]
	v_cndmask_b32_e64 v40, v38, v40, s[10:11]
	v_cmp_ge_i32_e64 s[12:13], v43, v13
	s_waitcnt lgkmcnt(0)
	v_cmp_lt_u16_sdwa s[14:15], v42, v41 src0_sel:BYTE_0 src1_sel:BYTE_0
	v_cndmask_b32_e64 v37, v37, v38, s[10:11]
	v_cmp_lt_i32_e64 s[10:11], v40, v14
	s_or_b64 s[12:13], s[12:13], s[14:15]
	s_and_b64 s[10:11], s[10:11], s[12:13]
	v_cndmask_b32_e64 v40, v43, v40, s[10:11]
	; wave barrier
	ds_write_b8 v1, v35
	ds_write_b8 v1, v36 offset:1
	s_waitcnt lgkmcnt(0)
	; wave barrier
	ds_read_u8 v35, v37
	ds_read_u8 v36, v40
	v_cndmask_b32_e64 v38, v41, v42, s[10:11]
	s_waitcnt lgkmcnt(0)
	; wave barrier
	ds_write_b8 v1, v39
	ds_write_b8 v1, v38 offset:1
	v_mov_b32_e32 v38, v32
	s_waitcnt lgkmcnt(0)
	; wave barrier
	s_and_saveexec_b64 s[12:13], s[6:7]
	s_cbranch_execz .LBB83_30
; %bb.27:                               ;   in Loop: Header=BB83_2 Depth=1
	s_mov_b64 s[14:15], 0
	v_mov_b32_e32 v38, v32
	v_mov_b32_e32 v37, v27
.LBB83_28:                              ;   Parent Loop BB83_2 Depth=1
                                        ; =>  This Inner Loop Header: Depth=2
	v_sub_u32_e32 v39, v37, v38
	v_lshrrev_b32_e32 v39, 1, v39
	v_add_u32_e32 v39, v39, v38
	v_add_u32_e32 v40, v5, v39
	v_xad_u32 v41, v39, -1, v22
	ds_read_u8 v40, v40
	ds_read_u8 v41, v41
	v_add_u32_e32 v42, 1, v39
	s_waitcnt lgkmcnt(0)
	v_cmp_lt_u16_e64 s[10:11], v41, v40
	v_cndmask_b32_e64 v37, v37, v39, s[10:11]
	v_cndmask_b32_e64 v38, v42, v38, s[10:11]
	v_cmp_ge_i32_e64 s[10:11], v38, v37
	s_or_b64 s[14:15], s[10:11], s[14:15]
	s_andn2_b64 exec, exec, s[14:15]
	s_cbranch_execnz .LBB83_28
; %bb.29:                               ;   in Loop: Header=BB83_2 Depth=1
	s_or_b64 exec, exec, s[14:15]
.LBB83_30:                              ;   in Loop: Header=BB83_2 Depth=1
	s_or_b64 exec, exec, s[12:13]
	v_add_u32_e32 v37, v38, v5
	v_sub_u32_e32 v38, v22, v38
	ds_read_u8 v39, v37
	ds_read_u8 v40, v38
	v_cmp_le_i32_e64 s[12:13], v15, v37
	v_cmp_gt_i32_e64 s[10:11], v16, v38
                                        ; implicit-def: $vgpr41
	s_waitcnt lgkmcnt(0)
	v_cmp_lt_u16_sdwa s[14:15], v40, v39 src0_sel:BYTE_0 src1_sel:BYTE_0
	s_or_b64 s[12:13], s[12:13], s[14:15]
	s_and_b64 s[10:11], s[10:11], s[12:13]
	s_xor_b64 s[12:13], s[10:11], -1
	s_and_saveexec_b64 s[14:15], s[12:13]
	s_xor_b64 s[12:13], exec, s[14:15]
; %bb.31:                               ;   in Loop: Header=BB83_2 Depth=1
	ds_read_u8 v41, v37 offset:1
; %bb.32:                               ;   in Loop: Header=BB83_2 Depth=1
	s_or_saveexec_b64 s[12:13], s[12:13]
	v_mov_b32_e32 v42, v40
	s_xor_b64 exec, exec, s[12:13]
	s_cbranch_execz .LBB83_34
; %bb.33:                               ;   in Loop: Header=BB83_2 Depth=1
	ds_read_u8 v42, v38 offset:1
	s_waitcnt lgkmcnt(1)
	v_mov_b32_e32 v41, v39
.LBB83_34:                              ;   in Loop: Header=BB83_2 Depth=1
	s_or_b64 exec, exec, s[12:13]
	v_add_u32_e32 v43, 1, v37
	v_cndmask_b32_e64 v39, v39, v40, s[10:11]
	v_add_u32_e32 v40, 1, v38
	v_cndmask_b32_e64 v43, v43, v37, s[10:11]
	v_cndmask_b32_e64 v40, v38, v40, s[10:11]
	v_cmp_ge_i32_e64 s[12:13], v43, v15
	s_waitcnt lgkmcnt(0)
	v_cmp_lt_u16_sdwa s[14:15], v42, v41 src0_sel:BYTE_0 src1_sel:BYTE_0
	v_cndmask_b32_e64 v37, v37, v38, s[10:11]
	v_cmp_lt_i32_e64 s[10:11], v40, v16
	s_or_b64 s[12:13], s[12:13], s[14:15]
	s_and_b64 s[10:11], s[10:11], s[12:13]
	v_cndmask_b32_e64 v40, v43, v40, s[10:11]
	; wave barrier
	ds_write_b8 v1, v35
	ds_write_b8 v1, v36 offset:1
	s_waitcnt lgkmcnt(0)
	; wave barrier
	ds_read_u8 v35, v37
	ds_read_u8 v36, v40
	v_cndmask_b32_e64 v38, v41, v42, s[10:11]
	s_waitcnt lgkmcnt(0)
	; wave barrier
	ds_write_b8 v1, v39
	ds_write_b8 v1, v38 offset:1
	v_mov_b32_e32 v38, v33
	s_waitcnt lgkmcnt(0)
	; wave barrier
	s_and_saveexec_b64 s[12:13], s[8:9]
	s_cbranch_execz .LBB83_38
; %bb.35:                               ;   in Loop: Header=BB83_2 Depth=1
	s_mov_b64 s[14:15], 0
	v_mov_b32_e32 v38, v33
	v_mov_b32_e32 v37, v28
.LBB83_36:                              ;   Parent Loop BB83_2 Depth=1
                                        ; =>  This Inner Loop Header: Depth=2
	v_sub_u32_e32 v39, v37, v38
	v_lshrrev_b32_e32 v39, 1, v39
	v_add_u32_e32 v39, v39, v38
	v_add_u32_e32 v40, v6, v39
	v_xad_u32 v41, v39, -1, v23
	ds_read_u8 v40, v40
	ds_read_u8 v41, v41
	v_add_u32_e32 v42, 1, v39
	s_waitcnt lgkmcnt(0)
	v_cmp_lt_u16_e64 s[10:11], v41, v40
	v_cndmask_b32_e64 v37, v37, v39, s[10:11]
	v_cndmask_b32_e64 v38, v42, v38, s[10:11]
	v_cmp_ge_i32_e64 s[10:11], v38, v37
	s_or_b64 s[14:15], s[10:11], s[14:15]
	s_andn2_b64 exec, exec, s[14:15]
	s_cbranch_execnz .LBB83_36
; %bb.37:                               ;   in Loop: Header=BB83_2 Depth=1
	s_or_b64 exec, exec, s[14:15]
.LBB83_38:                              ;   in Loop: Header=BB83_2 Depth=1
	s_or_b64 exec, exec, s[12:13]
	v_add_u32_e32 v37, v38, v6
	v_sub_u32_e32 v38, v23, v38
	ds_read_u8 v39, v37
	ds_read_u8 v40, v38
	v_cmp_le_i32_e64 s[12:13], v17, v37
	v_cmp_gt_i32_e64 s[10:11], v18, v38
                                        ; implicit-def: $vgpr41
	s_waitcnt lgkmcnt(0)
	v_cmp_lt_u16_sdwa s[14:15], v40, v39 src0_sel:BYTE_0 src1_sel:BYTE_0
	s_or_b64 s[12:13], s[12:13], s[14:15]
	s_and_b64 s[10:11], s[10:11], s[12:13]
	s_xor_b64 s[12:13], s[10:11], -1
	s_and_saveexec_b64 s[14:15], s[12:13]
	s_xor_b64 s[12:13], exec, s[14:15]
; %bb.39:                               ;   in Loop: Header=BB83_2 Depth=1
	ds_read_u8 v41, v37 offset:1
; %bb.40:                               ;   in Loop: Header=BB83_2 Depth=1
	s_or_saveexec_b64 s[12:13], s[12:13]
	v_mov_b32_e32 v42, v40
	s_xor_b64 exec, exec, s[12:13]
	s_cbranch_execz .LBB83_42
; %bb.41:                               ;   in Loop: Header=BB83_2 Depth=1
	ds_read_u8 v42, v38 offset:1
	s_waitcnt lgkmcnt(1)
	v_mov_b32_e32 v41, v39
.LBB83_42:                              ;   in Loop: Header=BB83_2 Depth=1
	s_or_b64 exec, exec, s[12:13]
	v_add_u32_e32 v43, 1, v37
	v_cndmask_b32_e64 v39, v39, v40, s[10:11]
	v_add_u32_e32 v40, 1, v38
	v_cndmask_b32_e64 v43, v43, v37, s[10:11]
	v_cndmask_b32_e64 v40, v38, v40, s[10:11]
	v_cmp_ge_i32_e64 s[12:13], v43, v17
	s_waitcnt lgkmcnt(0)
	v_cmp_lt_u16_sdwa s[14:15], v42, v41 src0_sel:BYTE_0 src1_sel:BYTE_0
	v_cndmask_b32_e64 v37, v37, v38, s[10:11]
	v_cmp_lt_i32_e64 s[10:11], v40, v18
	s_or_b64 s[12:13], s[12:13], s[14:15]
	s_and_b64 s[10:11], s[10:11], s[12:13]
	v_cndmask_b32_e64 v40, v43, v40, s[10:11]
	; wave barrier
	ds_write_b8 v1, v35
	ds_write_b8 v1, v36 offset:1
	s_waitcnt lgkmcnt(0)
	; wave barrier
	ds_read_u8 v35, v37
	ds_read_u8 v36, v40
	v_mov_b32_e32 v37, v7
	v_cndmask_b32_e64 v38, v41, v42, s[10:11]
	s_waitcnt lgkmcnt(0)
	; wave barrier
	ds_write_b8 v1, v39
	ds_write_b8 v1, v38 offset:1
	s_waitcnt lgkmcnt(0)
	; wave barrier
	s_and_saveexec_b64 s[12:13], vcc
	s_cbranch_execz .LBB83_46
; %bb.43:                               ;   in Loop: Header=BB83_2 Depth=1
	s_mov_b64 s[14:15], 0
	v_mov_b32_e32 v37, v7
	v_mov_b32_e32 v38, v8
.LBB83_44:                              ;   Parent Loop BB83_2 Depth=1
                                        ; =>  This Inner Loop Header: Depth=2
	v_sub_u32_e32 v39, v38, v37
	v_lshrrev_b32_e32 v39, 1, v39
	v_add_u32_e32 v39, v39, v37
	v_xad_u32 v40, v39, -1, v34
	ds_read_u8 v41, v39
	ds_read_u8 v40, v40
	v_add_u32_e32 v42, 1, v39
	s_waitcnt lgkmcnt(0)
	v_cmp_lt_u16_e64 s[10:11], v40, v41
	v_cndmask_b32_e64 v38, v38, v39, s[10:11]
	v_cndmask_b32_e64 v37, v42, v37, s[10:11]
	v_cmp_ge_i32_e64 s[10:11], v37, v38
	s_or_b64 s[14:15], s[10:11], s[14:15]
	s_andn2_b64 exec, exec, s[14:15]
	s_cbranch_execnz .LBB83_44
; %bb.45:                               ;   in Loop: Header=BB83_2 Depth=1
	s_or_b64 exec, exec, s[14:15]
.LBB83_46:                              ;   in Loop: Header=BB83_2 Depth=1
	s_or_b64 exec, exec, s[12:13]
	v_sub_u32_e32 v40, v34, v37
	ds_read_u8 v38, v37
	ds_read_u8 v39, v40
	v_cmp_le_i32_e64 s[12:13], 64, v37
	v_cmp_gt_i32_e64 s[10:11], s23, v40
                                        ; implicit-def: $vgpr42
                                        ; implicit-def: $vgpr41
	s_waitcnt lgkmcnt(0)
	v_cmp_lt_u16_sdwa s[14:15], v39, v38 src0_sel:BYTE_0 src1_sel:BYTE_0
	s_or_b64 s[12:13], s[12:13], s[14:15]
	s_and_b64 s[10:11], s[10:11], s[12:13]
	s_xor_b64 s[12:13], s[10:11], -1
	s_and_saveexec_b64 s[14:15], s[12:13]
	s_xor_b64 s[12:13], exec, s[14:15]
; %bb.47:                               ;   in Loop: Header=BB83_2 Depth=1
	ds_read_u8 v42, v37 offset:1
	v_add_u32_e32 v41, 1, v37
; %bb.48:                               ;   in Loop: Header=BB83_2 Depth=1
	s_or_saveexec_b64 s[12:13], s[12:13]
	v_mov_b32_e32 v43, v37
	v_mov_b32_e32 v44, v39
	s_xor_b64 exec, exec, s[12:13]
	s_cbranch_execz .LBB83_1
; %bb.49:                               ;   in Loop: Header=BB83_2 Depth=1
	ds_read_u8 v44, v40 offset:1
	s_waitcnt lgkmcnt(1)
	v_add_u32_e32 v42, 1, v40
	v_mov_b32_e32 v43, v40
	v_mov_b32_e32 v41, v37
	;; [unrolled: 1-line block ×4, first 2 shown]
	s_branch .LBB83_1
.LBB83_50:
	s_add_u32 s0, s18, s20
	s_addc_u32 s1, s19, 0
	v_mov_b32_e32 v1, s1
	v_add_co_u32_e32 v0, vcc, s0, v0
	s_waitcnt lgkmcnt(1)
	v_add_u16_e32 v2, v38, v35
	v_addc_co_u32_e32 v1, vcc, 0, v1, vcc
	s_waitcnt lgkmcnt(0)
	v_add_u16_e32 v3, v37, v36
	global_store_byte v[0:1], v2, off
	global_store_byte v[0:1], v3, off offset:64
	s_endpgm
	.section	.rodata,"a",@progbits
	.p2align	6, 0x0
	.amdhsa_kernel _Z17sort_pairs_kernelIhLj64ELj2EN10test_utils4lessELj10EEvPKT_PS2_T2_
		.amdhsa_group_segment_fixed_size 129
		.amdhsa_private_segment_fixed_size 0
		.amdhsa_kernarg_size 20
		.amdhsa_user_sgpr_count 6
		.amdhsa_user_sgpr_private_segment_buffer 1
		.amdhsa_user_sgpr_dispatch_ptr 0
		.amdhsa_user_sgpr_queue_ptr 0
		.amdhsa_user_sgpr_kernarg_segment_ptr 1
		.amdhsa_user_sgpr_dispatch_id 0
		.amdhsa_user_sgpr_flat_scratch_init 0
		.amdhsa_user_sgpr_private_segment_size 0
		.amdhsa_uses_dynamic_stack 0
		.amdhsa_system_sgpr_private_segment_wavefront_offset 0
		.amdhsa_system_sgpr_workgroup_id_x 1
		.amdhsa_system_sgpr_workgroup_id_y 0
		.amdhsa_system_sgpr_workgroup_id_z 0
		.amdhsa_system_sgpr_workgroup_info 0
		.amdhsa_system_vgpr_workitem_id 0
		.amdhsa_next_free_vgpr 46
		.amdhsa_next_free_sgpr 24
		.amdhsa_reserve_vcc 1
		.amdhsa_reserve_flat_scratch 0
		.amdhsa_float_round_mode_32 0
		.amdhsa_float_round_mode_16_64 0
		.amdhsa_float_denorm_mode_32 3
		.amdhsa_float_denorm_mode_16_64 3
		.amdhsa_dx10_clamp 1
		.amdhsa_ieee_mode 1
		.amdhsa_fp16_overflow 0
		.amdhsa_exception_fp_ieee_invalid_op 0
		.amdhsa_exception_fp_denorm_src 0
		.amdhsa_exception_fp_ieee_div_zero 0
		.amdhsa_exception_fp_ieee_overflow 0
		.amdhsa_exception_fp_ieee_underflow 0
		.amdhsa_exception_fp_ieee_inexact 0
		.amdhsa_exception_int_div_zero 0
	.end_amdhsa_kernel
	.section	.text._Z17sort_pairs_kernelIhLj64ELj2EN10test_utils4lessELj10EEvPKT_PS2_T2_,"axG",@progbits,_Z17sort_pairs_kernelIhLj64ELj2EN10test_utils4lessELj10EEvPKT_PS2_T2_,comdat
.Lfunc_end83:
	.size	_Z17sort_pairs_kernelIhLj64ELj2EN10test_utils4lessELj10EEvPKT_PS2_T2_, .Lfunc_end83-_Z17sort_pairs_kernelIhLj64ELj2EN10test_utils4lessELj10EEvPKT_PS2_T2_
                                        ; -- End function
	.set _Z17sort_pairs_kernelIhLj64ELj2EN10test_utils4lessELj10EEvPKT_PS2_T2_.num_vgpr, 46
	.set _Z17sort_pairs_kernelIhLj64ELj2EN10test_utils4lessELj10EEvPKT_PS2_T2_.num_agpr, 0
	.set _Z17sort_pairs_kernelIhLj64ELj2EN10test_utils4lessELj10EEvPKT_PS2_T2_.numbered_sgpr, 24
	.set _Z17sort_pairs_kernelIhLj64ELj2EN10test_utils4lessELj10EEvPKT_PS2_T2_.num_named_barrier, 0
	.set _Z17sort_pairs_kernelIhLj64ELj2EN10test_utils4lessELj10EEvPKT_PS2_T2_.private_seg_size, 0
	.set _Z17sort_pairs_kernelIhLj64ELj2EN10test_utils4lessELj10EEvPKT_PS2_T2_.uses_vcc, 1
	.set _Z17sort_pairs_kernelIhLj64ELj2EN10test_utils4lessELj10EEvPKT_PS2_T2_.uses_flat_scratch, 0
	.set _Z17sort_pairs_kernelIhLj64ELj2EN10test_utils4lessELj10EEvPKT_PS2_T2_.has_dyn_sized_stack, 0
	.set _Z17sort_pairs_kernelIhLj64ELj2EN10test_utils4lessELj10EEvPKT_PS2_T2_.has_recursion, 0
	.set _Z17sort_pairs_kernelIhLj64ELj2EN10test_utils4lessELj10EEvPKT_PS2_T2_.has_indirect_call, 0
	.section	.AMDGPU.csdata,"",@progbits
; Kernel info:
; codeLenInByte = 2884
; TotalNumSgprs: 28
; NumVgprs: 46
; ScratchSize: 0
; MemoryBound: 0
; FloatMode: 240
; IeeeMode: 1
; LDSByteSize: 129 bytes/workgroup (compile time only)
; SGPRBlocks: 3
; VGPRBlocks: 11
; NumSGPRsForWavesPerEU: 28
; NumVGPRsForWavesPerEU: 46
; Occupancy: 5
; WaveLimiterHint : 0
; COMPUTE_PGM_RSRC2:SCRATCH_EN: 0
; COMPUTE_PGM_RSRC2:USER_SGPR: 6
; COMPUTE_PGM_RSRC2:TRAP_HANDLER: 0
; COMPUTE_PGM_RSRC2:TGID_X_EN: 1
; COMPUTE_PGM_RSRC2:TGID_Y_EN: 0
; COMPUTE_PGM_RSRC2:TGID_Z_EN: 0
; COMPUTE_PGM_RSRC2:TIDIG_COMP_CNT: 0
	.section	.text._Z16sort_keys_kernelIhLj64ELj3EN10test_utils4lessELj10EEvPKT_PS2_T2_,"axG",@progbits,_Z16sort_keys_kernelIhLj64ELj3EN10test_utils4lessELj10EEvPKT_PS2_T2_,comdat
	.protected	_Z16sort_keys_kernelIhLj64ELj3EN10test_utils4lessELj10EEvPKT_PS2_T2_ ; -- Begin function _Z16sort_keys_kernelIhLj64ELj3EN10test_utils4lessELj10EEvPKT_PS2_T2_
	.globl	_Z16sort_keys_kernelIhLj64ELj3EN10test_utils4lessELj10EEvPKT_PS2_T2_
	.p2align	8
	.type	_Z16sort_keys_kernelIhLj64ELj3EN10test_utils4lessELj10EEvPKT_PS2_T2_,@function
_Z16sort_keys_kernelIhLj64ELj3EN10test_utils4lessELj10EEvPKT_PS2_T2_: ; @_Z16sort_keys_kernelIhLj64ELj3EN10test_utils4lessELj10EEvPKT_PS2_T2_
; %bb.0:
	s_load_dwordx4 s[16:19], s[4:5], 0x0
	s_mul_i32 s20, s6, 0xc0
	v_and_b32_e32 v1, 62, v0
	v_and_b32_e32 v2, 1, v0
	;; [unrolled: 1-line block ×3, first 2 shown]
	s_waitcnt lgkmcnt(0)
	s_add_u32 s0, s16, s20
	s_addc_u32 s1, s17, 0
	global_load_ubyte v26, v0, s[0:1] offset:64
	global_load_ubyte v27, v0, s[0:1] offset:128
	global_load_ubyte v28, v0, s[0:1]
	v_and_b32_e32 v4, 56, v0
	v_and_b32_e32 v5, 48, v0
	;; [unrolled: 1-line block ×3, first 2 shown]
	v_mul_u32_u24_e32 v7, 3, v1
	v_cmp_eq_u32_e32 vcc, 1, v2
	v_mul_u32_u24_e32 v2, 3, v3
	v_mul_u32_u24_e32 v3, 3, v4
	;; [unrolled: 1-line block ×4, first 2 shown]
	v_min_u32_e32 v16, 0xbd, v7
	v_min_u32_e32 v8, 0xba, v7
	;; [unrolled: 1-line block ×15, first 2 shown]
	v_add_u32_e32 v6, 3, v16
	v_add_u32_e32 v7, 6, v8
	v_and_b32_e32 v29, 3, v0
	v_and_b32_e32 v30, 7, v0
	;; [unrolled: 1-line block ×4, first 2 shown]
	v_cndmask_b32_e64 v24, 0, 3, vcc
	v_add_u32_e32 v8, 6, v17
	v_add_u32_e32 v9, 12, v9
	;; [unrolled: 1-line block ×8, first 2 shown]
	v_sub_u32_e32 v39, v7, v6
	s_mov_b32 s2, 0xc0c0004
	v_mul_u32_u24_e32 v25, 3, v29
	v_mul_u32_u24_e32 v31, 3, v30
	;; [unrolled: 1-line block ×4, first 2 shown]
	v_sub_u32_e32 v40, v9, v8
	v_sub_u32_e32 v41, v11, v10
	;; [unrolled: 1-line block ×7, first 2 shown]
	v_cmp_ge_i32_e32 vcc, v24, v39
	v_add_u32_e32 v16, v16, v24
	v_sub_u32_e32 v19, v8, v1
	v_sub_u32_e32 v21, v13, v3
	;; [unrolled: 1-line block ×3, first 2 shown]
	v_add_u32_e32 v18, v6, v24
	v_sub_u32_e32 v45, v25, v40
	v_sub_u32_e32 v46, v31, v41
	v_min_i32_e32 v20, v31, v20
	v_sub_u32_e32 v47, v33, v43
	v_sub_u32_e32 v48, v34, v44
	v_min_i32_e32 v23, v24, v23
	v_cndmask_b32_e32 v24, 0, v42, vcc
	v_cmp_ge_i32_e32 vcc, v25, v40
	v_cmp_ge_i32_e64 s[4:5], v33, v43
	v_cmp_ge_i32_e64 s[6:7], v34, v44
	v_mad_u32_u24 v17, v29, 3, v17
	v_min_i32_e32 v19, v25, v19
	v_min_i32_e32 v21, v33, v21
	;; [unrolled: 1-line block ×3, first 2 shown]
	v_cndmask_b32_e32 v25, 0, v45, vcc
	v_cndmask_b32_e64 v33, 0, v48, s[6:7]
	v_mad_u32_u24 v34, v35, 3, v38
	s_movk_i32 s16, 0xc0
	s_mov_b32 s17, 0
	v_cmp_lt_i32_e32 vcc, v24, v23
	v_cmp_lt_i32_e64 s[0:1], v25, v19
	s_waitcnt vmcnt(0)
	v_perm_b32 v26, v28, v26, s2
	v_cmp_ge_i32_e64 s[2:3], v31, v41
	v_mad_u32_u24 v28, v30, 3, v36
	v_mad_u32_u24 v31, v32, 3, v37
	v_mul_u32_u24_e32 v36, 3, v0
	v_mov_b32_e32 v37, 0x60
	v_lshl_or_b32 v42, v27, 16, v26
	v_mad_u32_u24 v26, v29, 3, v8
	v_cndmask_b32_e64 v27, 0, v46, s[2:3]
	v_mad_u32_u24 v29, v30, 3, v10
	v_cndmask_b32_e64 v30, 0, v47, s[4:5]
	v_sub_u32_e64 v38, v36, v37 clamp
	v_min_i32_e32 v39, 0x60, v36
	v_cmp_lt_i32_e64 s[2:3], v27, v20
	v_cmp_lt_i32_e64 s[4:5], v30, v21
	v_mad_u32_u24 v32, v32, 3, v13
	v_cmp_lt_i32_e64 s[6:7], v33, v22
	v_mad_u32_u24 v35, v35, 3, v15
	v_cmp_lt_i32_e64 s[8:9], v38, v39
	s_mov_b32 s21, 0x7060405
	s_movk_i32 s22, 0xff
	s_movk_i32 s23, 0xff00
	s_mov_b32 s24, 0xffff0000
	v_mad_u32_u24 v40, v0, 3, v37
	v_mov_b32_e32 v41, 8
	s_branch .LBB84_2
.LBB84_1:                               ;   in Loop: Header=BB84_2 Depth=1
	s_or_b64 exec, exec, s[14:15]
	v_cndmask_b32_e64 v45, v45, v46, s[12:13]
	v_cmp_ge_i32_e64 s[12:13], v48, v37
	s_waitcnt lgkmcnt(0)
	v_cmp_lt_u16_sdwa s[14:15], v50, v44 src0_sel:BYTE_0 src1_sel:BYTE_0
	v_cndmask_b32_e64 v43, v42, v43, s[10:11]
	v_cmp_gt_i32_e64 s[10:11], s16, v47
	s_or_b64 s[12:13], s[12:13], s[14:15]
	s_and_b64 s[10:11], s[10:11], s[12:13]
	v_cndmask_b32_e64 v44, v44, v50, s[10:11]
	v_lshlrev_b16_e32 v42, 8, v45
	v_and_b32_e32 v46, 0xff, v44
	v_or_b32_sdwa v42, v43, v42 dst_sel:DWORD dst_unused:UNUSED_PAD src0_sel:BYTE_0 src1_sel:DWORD
	v_lshlrev_b32_e32 v46, 16, v46
	s_add_i32 s17, s17, 1
	s_cmp_eq_u32 s17, 10
	v_or_b32_sdwa v42, v42, v46 dst_sel:DWORD dst_unused:UNUSED_PAD src0_sel:WORD_0 src1_sel:DWORD
	s_cbranch_scc1 .LBB84_74
.LBB84_2:                               ; =>This Loop Header: Depth=1
                                        ;     Child Loop BB84_4 Depth 2
                                        ;     Child Loop BB84_16 Depth 2
	;; [unrolled: 1-line block ×6, first 2 shown]
	v_lshrrev_b32_e32 v44, 8, v42
	v_perm_b32 v43, v42, v42, s21
	v_cmp_lt_u16_sdwa s[10:11], v44, v42 src0_sel:BYTE_0 src1_sel:BYTE_0
	v_cndmask_b32_e64 v43, v42, v43, s[10:11]
	v_and_b32_sdwa v45, v43, s23 dst_sel:DWORD dst_unused:UNUSED_PAD src0_sel:WORD_1 src1_sel:DWORD
	v_max_u16_sdwa v46, v44, v42 dst_sel:DWORD dst_unused:UNUSED_PAD src0_sel:BYTE_0 src1_sel:BYTE_0
	v_lshlrev_b16_sdwa v47, v41, v43 dst_sel:DWORD dst_unused:UNUSED_PAD src0_sel:DWORD src1_sel:WORD_1
	v_or_b32_sdwa v45, v46, v45 dst_sel:WORD_1 dst_unused:UNUSED_PAD src0_sel:DWORD src1_sel:DWORD
	v_min_u16_sdwa v42, v44, v42 dst_sel:DWORD dst_unused:UNUSED_PAD src0_sel:BYTE_0 src1_sel:BYTE_0
	v_and_b32_sdwa v44, v43, s22 dst_sel:DWORD dst_unused:UNUSED_PAD src0_sel:WORD_1 src1_sel:DWORD
	v_or_b32_sdwa v47, v43, v47 dst_sel:DWORD dst_unused:UNUSED_PAD src0_sel:BYTE_0 src1_sel:DWORD
	v_or_b32_sdwa v45, v47, v45 dst_sel:DWORD dst_unused:UNUSED_PAD src0_sel:WORD_0 src1_sel:DWORD
	v_cmp_lt_u16_e64 s[10:11], v44, v46
	v_cndmask_b32_e64 v43, v43, v45, s[10:11]
	v_min_u16_e32 v45, v44, v46
	v_lshlrev_b16_e32 v46, 8, v42
	v_or_b32_e32 v45, v45, v46
	v_and_b32_e32 v45, 0xffff, v45
	v_and_or_b32 v45, v43, s24, v45
	v_cmp_lt_u16_e64 s[10:11], v44, v42
	v_cndmask_b32_e64 v42, v43, v45, s[10:11]
	v_lshrrev_b32_e32 v43, 8, v42
	v_mov_b32_e32 v44, v24
	; wave barrier
	ds_write_b8 v36, v42
	ds_write_b8 v36, v43 offset:1
	ds_write_b8_d16_hi v36, v42 offset:2
	s_waitcnt lgkmcnt(0)
	; wave barrier
	s_and_saveexec_b64 s[12:13], vcc
	s_cbranch_execz .LBB84_6
; %bb.3:                                ;   in Loop: Header=BB84_2 Depth=1
	s_mov_b64 s[14:15], 0
	v_mov_b32_e32 v44, v24
	v_mov_b32_e32 v42, v23
.LBB84_4:                               ;   Parent Loop BB84_2 Depth=1
                                        ; =>  This Inner Loop Header: Depth=2
	v_sub_u32_e32 v43, v42, v44
	v_lshrrev_b32_e32 v43, 1, v43
	v_add_u32_e32 v43, v43, v44
	v_add_u32_e32 v45, v5, v43
	v_xad_u32 v46, v43, -1, v16
	ds_read_u8 v45, v45
	ds_read_u8 v46, v46 offset:3
	v_add_u32_e32 v47, 1, v43
	s_waitcnt lgkmcnt(0)
	v_cmp_lt_u16_e64 s[10:11], v46, v45
	v_cndmask_b32_e64 v42, v42, v43, s[10:11]
	v_cndmask_b32_e64 v44, v47, v44, s[10:11]
	v_cmp_ge_i32_e64 s[10:11], v44, v42
	s_or_b64 s[14:15], s[10:11], s[14:15]
	s_andn2_b64 exec, exec, s[14:15]
	s_cbranch_execnz .LBB84_4
; %bb.5:                                ;   in Loop: Header=BB84_2 Depth=1
	s_or_b64 exec, exec, s[14:15]
.LBB84_6:                               ;   in Loop: Header=BB84_2 Depth=1
	s_or_b64 exec, exec, s[12:13]
	v_add_u32_e32 v45, v44, v5
	v_sub_u32_e32 v48, v16, v44
	ds_read_u8 v42, v45
	ds_read_u8 v43, v48 offset:3
	v_sub_u32_e32 v47, v18, v44
	v_cmp_le_i32_e64 s[12:13], v6, v45
	v_cmp_gt_i32_e64 s[10:11], v7, v47
                                        ; implicit-def: $vgpr44
	s_waitcnt lgkmcnt(0)
	v_cmp_lt_u16_sdwa s[14:15], v43, v42 src0_sel:BYTE_0 src1_sel:BYTE_0
	s_or_b64 s[12:13], s[12:13], s[14:15]
	s_and_b64 s[10:11], s[10:11], s[12:13]
	s_xor_b64 s[12:13], s[10:11], -1
	s_and_saveexec_b64 s[14:15], s[12:13]
	s_xor_b64 s[12:13], exec, s[14:15]
; %bb.7:                                ;   in Loop: Header=BB84_2 Depth=1
	ds_read_u8 v44, v45 offset:1
                                        ; implicit-def: $vgpr48
; %bb.8:                                ;   in Loop: Header=BB84_2 Depth=1
	s_or_saveexec_b64 s[12:13], s[12:13]
	v_mov_b32_e32 v46, v43
	s_xor_b64 exec, exec, s[12:13]
	s_cbranch_execz .LBB84_10
; %bb.9:                                ;   in Loop: Header=BB84_2 Depth=1
	ds_read_u8 v46, v48 offset:4
	s_waitcnt lgkmcnt(1)
	v_mov_b32_e32 v44, v42
.LBB84_10:                              ;   in Loop: Header=BB84_2 Depth=1
	s_or_b64 exec, exec, s[12:13]
	v_add_u32_e32 v49, 1, v45
	v_add_u32_e32 v48, 1, v47
	v_cndmask_b32_e64 v45, v49, v45, s[10:11]
	v_cndmask_b32_e64 v47, v47, v48, s[10:11]
	v_cmp_ge_i32_e64 s[14:15], v45, v6
	s_waitcnt lgkmcnt(0)
	v_cmp_lt_u16_sdwa s[26:27], v46, v44 src0_sel:BYTE_0 src1_sel:BYTE_0
	v_cmp_lt_i32_e64 s[12:13], v47, v7
	s_or_b64 s[14:15], s[14:15], s[26:27]
	s_and_b64 s[12:13], s[12:13], s[14:15]
	s_xor_b64 s[14:15], s[12:13], -1
                                        ; implicit-def: $vgpr48
	s_and_saveexec_b64 s[26:27], s[14:15]
	s_xor_b64 s[14:15], exec, s[26:27]
; %bb.11:                               ;   in Loop: Header=BB84_2 Depth=1
	ds_read_u8 v48, v45 offset:1
; %bb.12:                               ;   in Loop: Header=BB84_2 Depth=1
	s_or_saveexec_b64 s[14:15], s[14:15]
	v_mov_b32_e32 v49, v46
	s_xor_b64 exec, exec, s[14:15]
	s_cbranch_execz .LBB84_14
; %bb.13:                               ;   in Loop: Header=BB84_2 Depth=1
	ds_read_u8 v49, v47 offset:1
	s_waitcnt lgkmcnt(1)
	v_mov_b32_e32 v48, v44
.LBB84_14:                              ;   in Loop: Header=BB84_2 Depth=1
	s_or_b64 exec, exec, s[14:15]
	v_add_u32_e32 v50, 1, v45
	v_cndmask_b32_e64 v44, v44, v46, s[12:13]
	v_add_u32_e32 v46, 1, v47
	v_cndmask_b32_e64 v45, v50, v45, s[12:13]
	v_cndmask_b32_e64 v46, v47, v46, s[12:13]
	v_cmp_ge_i32_e64 s[12:13], v45, v6
	s_waitcnt lgkmcnt(0)
	v_cmp_lt_u16_sdwa s[14:15], v49, v48 src0_sel:BYTE_0 src1_sel:BYTE_0
	v_cndmask_b32_e64 v42, v42, v43, s[10:11]
	v_cmp_lt_i32_e64 s[10:11], v46, v7
	s_or_b64 s[12:13], s[12:13], s[14:15]
	s_and_b64 s[10:11], s[10:11], s[12:13]
	v_cndmask_b32_e64 v43, v48, v49, s[10:11]
	; wave barrier
	ds_write_b8 v36, v42
	ds_write_b8 v36, v44 offset:1
	ds_write_b8 v36, v43 offset:2
	v_mov_b32_e32 v44, v25
	s_waitcnt lgkmcnt(0)
	; wave barrier
	s_and_saveexec_b64 s[12:13], s[0:1]
	s_cbranch_execz .LBB84_18
; %bb.15:                               ;   in Loop: Header=BB84_2 Depth=1
	s_mov_b64 s[14:15], 0
	v_mov_b32_e32 v44, v25
	v_mov_b32_e32 v42, v19
.LBB84_16:                              ;   Parent Loop BB84_2 Depth=1
                                        ; =>  This Inner Loop Header: Depth=2
	v_sub_u32_e32 v43, v42, v44
	v_lshrrev_b32_e32 v43, 1, v43
	v_add_u32_e32 v43, v43, v44
	v_add_u32_e32 v45, v1, v43
	v_xad_u32 v46, v43, -1, v17
	ds_read_u8 v45, v45
	ds_read_u8 v46, v46 offset:6
	v_add_u32_e32 v47, 1, v43
	s_waitcnt lgkmcnt(0)
	v_cmp_lt_u16_e64 s[10:11], v46, v45
	v_cndmask_b32_e64 v42, v42, v43, s[10:11]
	v_cndmask_b32_e64 v44, v47, v44, s[10:11]
	v_cmp_ge_i32_e64 s[10:11], v44, v42
	s_or_b64 s[14:15], s[10:11], s[14:15]
	s_andn2_b64 exec, exec, s[14:15]
	s_cbranch_execnz .LBB84_16
; %bb.17:                               ;   in Loop: Header=BB84_2 Depth=1
	s_or_b64 exec, exec, s[14:15]
.LBB84_18:                              ;   in Loop: Header=BB84_2 Depth=1
	s_or_b64 exec, exec, s[12:13]
	v_add_u32_e32 v45, v44, v1
	v_sub_u32_e32 v48, v17, v44
	ds_read_u8 v42, v45
	ds_read_u8 v43, v48 offset:6
	v_sub_u32_e32 v47, v26, v44
	v_cmp_le_i32_e64 s[12:13], v8, v45
	v_cmp_gt_i32_e64 s[10:11], v9, v47
                                        ; implicit-def: $vgpr44
	s_waitcnt lgkmcnt(0)
	v_cmp_lt_u16_sdwa s[14:15], v43, v42 src0_sel:BYTE_0 src1_sel:BYTE_0
	s_or_b64 s[12:13], s[12:13], s[14:15]
	s_and_b64 s[10:11], s[10:11], s[12:13]
	s_xor_b64 s[12:13], s[10:11], -1
	s_and_saveexec_b64 s[14:15], s[12:13]
	s_xor_b64 s[12:13], exec, s[14:15]
; %bb.19:                               ;   in Loop: Header=BB84_2 Depth=1
	ds_read_u8 v44, v45 offset:1
                                        ; implicit-def: $vgpr48
; %bb.20:                               ;   in Loop: Header=BB84_2 Depth=1
	s_or_saveexec_b64 s[12:13], s[12:13]
	v_mov_b32_e32 v46, v43
	s_xor_b64 exec, exec, s[12:13]
	s_cbranch_execz .LBB84_22
; %bb.21:                               ;   in Loop: Header=BB84_2 Depth=1
	ds_read_u8 v46, v48 offset:7
	s_waitcnt lgkmcnt(1)
	v_mov_b32_e32 v44, v42
.LBB84_22:                              ;   in Loop: Header=BB84_2 Depth=1
	s_or_b64 exec, exec, s[12:13]
	v_add_u32_e32 v49, 1, v45
	v_add_u32_e32 v48, 1, v47
	v_cndmask_b32_e64 v45, v49, v45, s[10:11]
	v_cndmask_b32_e64 v47, v47, v48, s[10:11]
	v_cmp_ge_i32_e64 s[14:15], v45, v8
	s_waitcnt lgkmcnt(0)
	v_cmp_lt_u16_sdwa s[26:27], v46, v44 src0_sel:BYTE_0 src1_sel:BYTE_0
	v_cmp_lt_i32_e64 s[12:13], v47, v9
	s_or_b64 s[14:15], s[14:15], s[26:27]
	s_and_b64 s[12:13], s[12:13], s[14:15]
	s_xor_b64 s[14:15], s[12:13], -1
                                        ; implicit-def: $vgpr48
	s_and_saveexec_b64 s[26:27], s[14:15]
	s_xor_b64 s[14:15], exec, s[26:27]
; %bb.23:                               ;   in Loop: Header=BB84_2 Depth=1
	ds_read_u8 v48, v45 offset:1
; %bb.24:                               ;   in Loop: Header=BB84_2 Depth=1
	s_or_saveexec_b64 s[14:15], s[14:15]
	v_mov_b32_e32 v49, v46
	s_xor_b64 exec, exec, s[14:15]
	s_cbranch_execz .LBB84_26
; %bb.25:                               ;   in Loop: Header=BB84_2 Depth=1
	ds_read_u8 v49, v47 offset:1
	s_waitcnt lgkmcnt(1)
	v_mov_b32_e32 v48, v44
.LBB84_26:                              ;   in Loop: Header=BB84_2 Depth=1
	s_or_b64 exec, exec, s[14:15]
	v_add_u32_e32 v50, 1, v45
	v_cndmask_b32_e64 v44, v44, v46, s[12:13]
	v_add_u32_e32 v46, 1, v47
	v_cndmask_b32_e64 v45, v50, v45, s[12:13]
	v_cndmask_b32_e64 v46, v47, v46, s[12:13]
	v_cmp_ge_i32_e64 s[12:13], v45, v8
	s_waitcnt lgkmcnt(0)
	v_cmp_lt_u16_sdwa s[14:15], v49, v48 src0_sel:BYTE_0 src1_sel:BYTE_0
	v_cndmask_b32_e64 v42, v42, v43, s[10:11]
	v_cmp_lt_i32_e64 s[10:11], v46, v9
	s_or_b64 s[12:13], s[12:13], s[14:15]
	s_and_b64 s[10:11], s[10:11], s[12:13]
	v_cndmask_b32_e64 v43, v48, v49, s[10:11]
	; wave barrier
	ds_write_b8 v36, v42
	ds_write_b8 v36, v44 offset:1
	ds_write_b8 v36, v43 offset:2
	v_mov_b32_e32 v44, v27
	s_waitcnt lgkmcnt(0)
	; wave barrier
	s_and_saveexec_b64 s[12:13], s[2:3]
	s_cbranch_execz .LBB84_30
; %bb.27:                               ;   in Loop: Header=BB84_2 Depth=1
	s_mov_b64 s[14:15], 0
	v_mov_b32_e32 v44, v27
	v_mov_b32_e32 v42, v20
.LBB84_28:                              ;   Parent Loop BB84_2 Depth=1
                                        ; =>  This Inner Loop Header: Depth=2
	v_sub_u32_e32 v43, v42, v44
	v_lshrrev_b32_e32 v43, 1, v43
	v_add_u32_e32 v43, v43, v44
	v_add_u32_e32 v45, v2, v43
	v_xad_u32 v46, v43, -1, v28
	ds_read_u8 v45, v45
	ds_read_u8 v46, v46 offset:12
	v_add_u32_e32 v47, 1, v43
	s_waitcnt lgkmcnt(0)
	v_cmp_lt_u16_e64 s[10:11], v46, v45
	v_cndmask_b32_e64 v42, v42, v43, s[10:11]
	v_cndmask_b32_e64 v44, v47, v44, s[10:11]
	v_cmp_ge_i32_e64 s[10:11], v44, v42
	s_or_b64 s[14:15], s[10:11], s[14:15]
	s_andn2_b64 exec, exec, s[14:15]
	s_cbranch_execnz .LBB84_28
; %bb.29:                               ;   in Loop: Header=BB84_2 Depth=1
	s_or_b64 exec, exec, s[14:15]
.LBB84_30:                              ;   in Loop: Header=BB84_2 Depth=1
	s_or_b64 exec, exec, s[12:13]
	v_add_u32_e32 v45, v44, v2
	v_sub_u32_e32 v48, v28, v44
	ds_read_u8 v42, v45
	ds_read_u8 v43, v48 offset:12
	v_sub_u32_e32 v47, v29, v44
	v_cmp_le_i32_e64 s[12:13], v10, v45
	v_cmp_gt_i32_e64 s[10:11], v11, v47
                                        ; implicit-def: $vgpr44
	s_waitcnt lgkmcnt(0)
	v_cmp_lt_u16_sdwa s[14:15], v43, v42 src0_sel:BYTE_0 src1_sel:BYTE_0
	s_or_b64 s[12:13], s[12:13], s[14:15]
	s_and_b64 s[10:11], s[10:11], s[12:13]
	s_xor_b64 s[12:13], s[10:11], -1
	s_and_saveexec_b64 s[14:15], s[12:13]
	s_xor_b64 s[12:13], exec, s[14:15]
; %bb.31:                               ;   in Loop: Header=BB84_2 Depth=1
	ds_read_u8 v44, v45 offset:1
                                        ; implicit-def: $vgpr48
; %bb.32:                               ;   in Loop: Header=BB84_2 Depth=1
	s_or_saveexec_b64 s[12:13], s[12:13]
	v_mov_b32_e32 v46, v43
	s_xor_b64 exec, exec, s[12:13]
	s_cbranch_execz .LBB84_34
; %bb.33:                               ;   in Loop: Header=BB84_2 Depth=1
	ds_read_u8 v46, v48 offset:13
	s_waitcnt lgkmcnt(1)
	v_mov_b32_e32 v44, v42
.LBB84_34:                              ;   in Loop: Header=BB84_2 Depth=1
	s_or_b64 exec, exec, s[12:13]
	v_add_u32_e32 v49, 1, v45
	v_add_u32_e32 v48, 1, v47
	v_cndmask_b32_e64 v45, v49, v45, s[10:11]
	v_cndmask_b32_e64 v47, v47, v48, s[10:11]
	v_cmp_ge_i32_e64 s[14:15], v45, v10
	s_waitcnt lgkmcnt(0)
	v_cmp_lt_u16_sdwa s[26:27], v46, v44 src0_sel:BYTE_0 src1_sel:BYTE_0
	v_cmp_lt_i32_e64 s[12:13], v47, v11
	s_or_b64 s[14:15], s[14:15], s[26:27]
	s_and_b64 s[12:13], s[12:13], s[14:15]
	s_xor_b64 s[14:15], s[12:13], -1
                                        ; implicit-def: $vgpr48
	s_and_saveexec_b64 s[26:27], s[14:15]
	s_xor_b64 s[14:15], exec, s[26:27]
; %bb.35:                               ;   in Loop: Header=BB84_2 Depth=1
	ds_read_u8 v48, v45 offset:1
; %bb.36:                               ;   in Loop: Header=BB84_2 Depth=1
	s_or_saveexec_b64 s[14:15], s[14:15]
	v_mov_b32_e32 v49, v46
	s_xor_b64 exec, exec, s[14:15]
	s_cbranch_execz .LBB84_38
; %bb.37:                               ;   in Loop: Header=BB84_2 Depth=1
	ds_read_u8 v49, v47 offset:1
	s_waitcnt lgkmcnt(1)
	v_mov_b32_e32 v48, v44
.LBB84_38:                              ;   in Loop: Header=BB84_2 Depth=1
	s_or_b64 exec, exec, s[14:15]
	v_add_u32_e32 v50, 1, v45
	v_cndmask_b32_e64 v44, v44, v46, s[12:13]
	v_add_u32_e32 v46, 1, v47
	v_cndmask_b32_e64 v45, v50, v45, s[12:13]
	v_cndmask_b32_e64 v46, v47, v46, s[12:13]
	v_cmp_ge_i32_e64 s[12:13], v45, v10
	s_waitcnt lgkmcnt(0)
	v_cmp_lt_u16_sdwa s[14:15], v49, v48 src0_sel:BYTE_0 src1_sel:BYTE_0
	v_cndmask_b32_e64 v42, v42, v43, s[10:11]
	v_cmp_lt_i32_e64 s[10:11], v46, v11
	s_or_b64 s[12:13], s[12:13], s[14:15]
	s_and_b64 s[10:11], s[10:11], s[12:13]
	v_cndmask_b32_e64 v43, v48, v49, s[10:11]
	; wave barrier
	ds_write_b8 v36, v42
	ds_write_b8 v36, v44 offset:1
	ds_write_b8 v36, v43 offset:2
	v_mov_b32_e32 v44, v30
	s_waitcnt lgkmcnt(0)
	; wave barrier
	s_and_saveexec_b64 s[12:13], s[4:5]
	s_cbranch_execz .LBB84_42
; %bb.39:                               ;   in Loop: Header=BB84_2 Depth=1
	s_mov_b64 s[14:15], 0
	v_mov_b32_e32 v44, v30
	v_mov_b32_e32 v42, v21
.LBB84_40:                              ;   Parent Loop BB84_2 Depth=1
                                        ; =>  This Inner Loop Header: Depth=2
	v_sub_u32_e32 v43, v42, v44
	v_lshrrev_b32_e32 v43, 1, v43
	v_add_u32_e32 v43, v43, v44
	v_add_u32_e32 v45, v3, v43
	v_xad_u32 v46, v43, -1, v31
	ds_read_u8 v45, v45
	ds_read_u8 v46, v46 offset:24
	v_add_u32_e32 v47, 1, v43
	s_waitcnt lgkmcnt(0)
	v_cmp_lt_u16_e64 s[10:11], v46, v45
	v_cndmask_b32_e64 v42, v42, v43, s[10:11]
	v_cndmask_b32_e64 v44, v47, v44, s[10:11]
	v_cmp_ge_i32_e64 s[10:11], v44, v42
	s_or_b64 s[14:15], s[10:11], s[14:15]
	s_andn2_b64 exec, exec, s[14:15]
	s_cbranch_execnz .LBB84_40
; %bb.41:                               ;   in Loop: Header=BB84_2 Depth=1
	s_or_b64 exec, exec, s[14:15]
.LBB84_42:                              ;   in Loop: Header=BB84_2 Depth=1
	s_or_b64 exec, exec, s[12:13]
	v_add_u32_e32 v45, v44, v3
	v_sub_u32_e32 v48, v31, v44
	ds_read_u8 v42, v45
	ds_read_u8 v43, v48 offset:24
	v_sub_u32_e32 v47, v32, v44
	v_cmp_le_i32_e64 s[12:13], v13, v45
	v_cmp_gt_i32_e64 s[10:11], v12, v47
                                        ; implicit-def: $vgpr44
	s_waitcnt lgkmcnt(0)
	v_cmp_lt_u16_sdwa s[14:15], v43, v42 src0_sel:BYTE_0 src1_sel:BYTE_0
	s_or_b64 s[12:13], s[12:13], s[14:15]
	s_and_b64 s[10:11], s[10:11], s[12:13]
	s_xor_b64 s[12:13], s[10:11], -1
	s_and_saveexec_b64 s[14:15], s[12:13]
	s_xor_b64 s[12:13], exec, s[14:15]
; %bb.43:                               ;   in Loop: Header=BB84_2 Depth=1
	ds_read_u8 v44, v45 offset:1
                                        ; implicit-def: $vgpr48
; %bb.44:                               ;   in Loop: Header=BB84_2 Depth=1
	s_or_saveexec_b64 s[12:13], s[12:13]
	v_mov_b32_e32 v46, v43
	s_xor_b64 exec, exec, s[12:13]
	s_cbranch_execz .LBB84_46
; %bb.45:                               ;   in Loop: Header=BB84_2 Depth=1
	ds_read_u8 v46, v48 offset:25
	s_waitcnt lgkmcnt(1)
	v_mov_b32_e32 v44, v42
.LBB84_46:                              ;   in Loop: Header=BB84_2 Depth=1
	s_or_b64 exec, exec, s[12:13]
	v_add_u32_e32 v49, 1, v45
	v_add_u32_e32 v48, 1, v47
	v_cndmask_b32_e64 v45, v49, v45, s[10:11]
	v_cndmask_b32_e64 v47, v47, v48, s[10:11]
	v_cmp_ge_i32_e64 s[14:15], v45, v13
	s_waitcnt lgkmcnt(0)
	v_cmp_lt_u16_sdwa s[26:27], v46, v44 src0_sel:BYTE_0 src1_sel:BYTE_0
	v_cmp_lt_i32_e64 s[12:13], v47, v12
	s_or_b64 s[14:15], s[14:15], s[26:27]
	s_and_b64 s[12:13], s[12:13], s[14:15]
	s_xor_b64 s[14:15], s[12:13], -1
                                        ; implicit-def: $vgpr48
	s_and_saveexec_b64 s[26:27], s[14:15]
	s_xor_b64 s[14:15], exec, s[26:27]
; %bb.47:                               ;   in Loop: Header=BB84_2 Depth=1
	ds_read_u8 v48, v45 offset:1
; %bb.48:                               ;   in Loop: Header=BB84_2 Depth=1
	s_or_saveexec_b64 s[14:15], s[14:15]
	v_mov_b32_e32 v49, v46
	s_xor_b64 exec, exec, s[14:15]
	s_cbranch_execz .LBB84_50
; %bb.49:                               ;   in Loop: Header=BB84_2 Depth=1
	ds_read_u8 v49, v47 offset:1
	s_waitcnt lgkmcnt(1)
	v_mov_b32_e32 v48, v44
.LBB84_50:                              ;   in Loop: Header=BB84_2 Depth=1
	s_or_b64 exec, exec, s[14:15]
	v_add_u32_e32 v50, 1, v45
	v_cndmask_b32_e64 v44, v44, v46, s[12:13]
	v_add_u32_e32 v46, 1, v47
	v_cndmask_b32_e64 v45, v50, v45, s[12:13]
	v_cndmask_b32_e64 v46, v47, v46, s[12:13]
	v_cmp_ge_i32_e64 s[12:13], v45, v13
	s_waitcnt lgkmcnt(0)
	v_cmp_lt_u16_sdwa s[14:15], v49, v48 src0_sel:BYTE_0 src1_sel:BYTE_0
	v_cndmask_b32_e64 v42, v42, v43, s[10:11]
	v_cmp_lt_i32_e64 s[10:11], v46, v12
	s_or_b64 s[12:13], s[12:13], s[14:15]
	s_and_b64 s[10:11], s[10:11], s[12:13]
	v_cndmask_b32_e64 v43, v48, v49, s[10:11]
	; wave barrier
	ds_write_b8 v36, v42
	ds_write_b8 v36, v44 offset:1
	ds_write_b8 v36, v43 offset:2
	v_mov_b32_e32 v44, v33
	s_waitcnt lgkmcnt(0)
	; wave barrier
	s_and_saveexec_b64 s[12:13], s[6:7]
	s_cbranch_execz .LBB84_54
; %bb.51:                               ;   in Loop: Header=BB84_2 Depth=1
	s_mov_b64 s[14:15], 0
	v_mov_b32_e32 v44, v33
	v_mov_b32_e32 v42, v22
.LBB84_52:                              ;   Parent Loop BB84_2 Depth=1
                                        ; =>  This Inner Loop Header: Depth=2
	v_sub_u32_e32 v43, v42, v44
	v_lshrrev_b32_e32 v43, 1, v43
	v_add_u32_e32 v43, v43, v44
	v_add_u32_e32 v45, v4, v43
	v_xad_u32 v46, v43, -1, v34
	ds_read_u8 v45, v45
	ds_read_u8 v46, v46 offset:48
	v_add_u32_e32 v47, 1, v43
	s_waitcnt lgkmcnt(0)
	v_cmp_lt_u16_e64 s[10:11], v46, v45
	v_cndmask_b32_e64 v42, v42, v43, s[10:11]
	v_cndmask_b32_e64 v44, v47, v44, s[10:11]
	v_cmp_ge_i32_e64 s[10:11], v44, v42
	s_or_b64 s[14:15], s[10:11], s[14:15]
	s_andn2_b64 exec, exec, s[14:15]
	s_cbranch_execnz .LBB84_52
; %bb.53:                               ;   in Loop: Header=BB84_2 Depth=1
	s_or_b64 exec, exec, s[14:15]
.LBB84_54:                              ;   in Loop: Header=BB84_2 Depth=1
	s_or_b64 exec, exec, s[12:13]
	v_add_u32_e32 v45, v44, v4
	v_sub_u32_e32 v48, v34, v44
	ds_read_u8 v42, v45
	ds_read_u8 v43, v48 offset:48
	v_sub_u32_e32 v47, v35, v44
	v_cmp_le_i32_e64 s[12:13], v15, v45
	v_cmp_gt_i32_e64 s[10:11], v14, v47
                                        ; implicit-def: $vgpr44
	s_waitcnt lgkmcnt(0)
	v_cmp_lt_u16_sdwa s[14:15], v43, v42 src0_sel:BYTE_0 src1_sel:BYTE_0
	s_or_b64 s[12:13], s[12:13], s[14:15]
	s_and_b64 s[10:11], s[10:11], s[12:13]
	s_xor_b64 s[12:13], s[10:11], -1
	s_and_saveexec_b64 s[14:15], s[12:13]
	s_xor_b64 s[12:13], exec, s[14:15]
; %bb.55:                               ;   in Loop: Header=BB84_2 Depth=1
	ds_read_u8 v44, v45 offset:1
                                        ; implicit-def: $vgpr48
; %bb.56:                               ;   in Loop: Header=BB84_2 Depth=1
	s_or_saveexec_b64 s[12:13], s[12:13]
	v_mov_b32_e32 v46, v43
	s_xor_b64 exec, exec, s[12:13]
	s_cbranch_execz .LBB84_58
; %bb.57:                               ;   in Loop: Header=BB84_2 Depth=1
	ds_read_u8 v46, v48 offset:49
	s_waitcnt lgkmcnt(1)
	v_mov_b32_e32 v44, v42
.LBB84_58:                              ;   in Loop: Header=BB84_2 Depth=1
	s_or_b64 exec, exec, s[12:13]
	v_add_u32_e32 v49, 1, v45
	v_add_u32_e32 v48, 1, v47
	v_cndmask_b32_e64 v45, v49, v45, s[10:11]
	v_cndmask_b32_e64 v47, v47, v48, s[10:11]
	v_cmp_ge_i32_e64 s[14:15], v45, v15
	s_waitcnt lgkmcnt(0)
	v_cmp_lt_u16_sdwa s[26:27], v46, v44 src0_sel:BYTE_0 src1_sel:BYTE_0
	v_cmp_lt_i32_e64 s[12:13], v47, v14
	s_or_b64 s[14:15], s[14:15], s[26:27]
	s_and_b64 s[12:13], s[12:13], s[14:15]
	s_xor_b64 s[14:15], s[12:13], -1
                                        ; implicit-def: $vgpr48
	s_and_saveexec_b64 s[26:27], s[14:15]
	s_xor_b64 s[14:15], exec, s[26:27]
; %bb.59:                               ;   in Loop: Header=BB84_2 Depth=1
	ds_read_u8 v48, v45 offset:1
; %bb.60:                               ;   in Loop: Header=BB84_2 Depth=1
	s_or_saveexec_b64 s[14:15], s[14:15]
	v_mov_b32_e32 v49, v46
	s_xor_b64 exec, exec, s[14:15]
	s_cbranch_execz .LBB84_62
; %bb.61:                               ;   in Loop: Header=BB84_2 Depth=1
	ds_read_u8 v49, v47 offset:1
	s_waitcnt lgkmcnt(1)
	v_mov_b32_e32 v48, v44
.LBB84_62:                              ;   in Loop: Header=BB84_2 Depth=1
	s_or_b64 exec, exec, s[14:15]
	v_add_u32_e32 v50, 1, v45
	v_cndmask_b32_e64 v44, v44, v46, s[12:13]
	v_add_u32_e32 v46, 1, v47
	v_cndmask_b32_e64 v45, v50, v45, s[12:13]
	v_cndmask_b32_e64 v46, v47, v46, s[12:13]
	v_cmp_ge_i32_e64 s[12:13], v45, v15
	s_waitcnt lgkmcnt(0)
	v_cmp_lt_u16_sdwa s[14:15], v49, v48 src0_sel:BYTE_0 src1_sel:BYTE_0
	v_cndmask_b32_e64 v42, v42, v43, s[10:11]
	v_cmp_lt_i32_e64 s[10:11], v46, v14
	s_or_b64 s[12:13], s[12:13], s[14:15]
	s_and_b64 s[10:11], s[10:11], s[12:13]
	v_cndmask_b32_e64 v43, v48, v49, s[10:11]
	; wave barrier
	ds_write_b8 v36, v42
	ds_write_b8 v36, v44 offset:1
	ds_write_b8 v36, v43 offset:2
	v_mov_b32_e32 v44, v38
	s_waitcnt lgkmcnt(0)
	; wave barrier
	s_and_saveexec_b64 s[12:13], s[8:9]
	s_cbranch_execz .LBB84_66
; %bb.63:                               ;   in Loop: Header=BB84_2 Depth=1
	s_mov_b64 s[14:15], 0
	v_mov_b32_e32 v44, v38
	v_mov_b32_e32 v42, v39
.LBB84_64:                              ;   Parent Loop BB84_2 Depth=1
                                        ; =>  This Inner Loop Header: Depth=2
	v_sub_u32_e32 v43, v42, v44
	v_lshrrev_b32_e32 v43, 1, v43
	v_add_u32_e32 v43, v43, v44
	v_xad_u32 v45, v43, -1, v36
	ds_read_u8 v46, v43
	ds_read_u8 v45, v45 offset:96
	v_add_u32_e32 v47, 1, v43
	s_waitcnt lgkmcnt(0)
	v_cmp_lt_u16_e64 s[10:11], v45, v46
	v_cndmask_b32_e64 v42, v42, v43, s[10:11]
	v_cndmask_b32_e64 v44, v47, v44, s[10:11]
	v_cmp_ge_i32_e64 s[10:11], v44, v42
	s_or_b64 s[14:15], s[10:11], s[14:15]
	s_andn2_b64 exec, exec, s[14:15]
	s_cbranch_execnz .LBB84_64
; %bb.65:                               ;   in Loop: Header=BB84_2 Depth=1
	s_or_b64 exec, exec, s[14:15]
.LBB84_66:                              ;   in Loop: Header=BB84_2 Depth=1
	s_or_b64 exec, exec, s[12:13]
	v_sub_u32_e32 v48, v36, v44
	ds_read_u8 v42, v44
	ds_read_u8 v43, v48 offset:96
	v_sub_u32_e32 v47, v40, v44
	v_cmp_le_i32_e64 s[12:13], v37, v44
	v_cmp_gt_i32_e64 s[10:11], s16, v47
                                        ; implicit-def: $vgpr45
	s_waitcnt lgkmcnt(0)
	v_cmp_lt_u16_sdwa s[14:15], v43, v42 src0_sel:BYTE_0 src1_sel:BYTE_0
	s_or_b64 s[12:13], s[12:13], s[14:15]
	s_and_b64 s[10:11], s[10:11], s[12:13]
	s_xor_b64 s[12:13], s[10:11], -1
	s_and_saveexec_b64 s[14:15], s[12:13]
	s_xor_b64 s[12:13], exec, s[14:15]
; %bb.67:                               ;   in Loop: Header=BB84_2 Depth=1
	ds_read_u8 v45, v44 offset:1
                                        ; implicit-def: $vgpr48
; %bb.68:                               ;   in Loop: Header=BB84_2 Depth=1
	s_or_saveexec_b64 s[12:13], s[12:13]
	v_mov_b32_e32 v46, v43
	s_xor_b64 exec, exec, s[12:13]
	s_cbranch_execz .LBB84_70
; %bb.69:                               ;   in Loop: Header=BB84_2 Depth=1
	ds_read_u8 v46, v48 offset:97
	s_waitcnt lgkmcnt(1)
	v_mov_b32_e32 v45, v42
.LBB84_70:                              ;   in Loop: Header=BB84_2 Depth=1
	s_or_b64 exec, exec, s[12:13]
	v_add_u32_e32 v49, 1, v44
	v_add_u32_e32 v48, 1, v47
	v_cndmask_b32_e64 v49, v49, v44, s[10:11]
	v_cndmask_b32_e64 v47, v47, v48, s[10:11]
	v_cmp_ge_i32_e64 s[14:15], v49, v37
	s_waitcnt lgkmcnt(0)
	v_cmp_lt_u16_sdwa s[26:27], v46, v45 src0_sel:BYTE_0 src1_sel:BYTE_0
	v_cmp_gt_i32_e64 s[12:13], s16, v47
	s_or_b64 s[14:15], s[14:15], s[26:27]
	s_and_b64 s[12:13], s[12:13], s[14:15]
	s_xor_b64 s[14:15], s[12:13], -1
                                        ; implicit-def: $vgpr44
                                        ; implicit-def: $vgpr48
	s_and_saveexec_b64 s[26:27], s[14:15]
	s_xor_b64 s[14:15], exec, s[26:27]
; %bb.71:                               ;   in Loop: Header=BB84_2 Depth=1
	ds_read_u8 v44, v49 offset:1
	v_add_u32_e32 v48, 1, v49
                                        ; implicit-def: $vgpr49
; %bb.72:                               ;   in Loop: Header=BB84_2 Depth=1
	s_or_saveexec_b64 s[14:15], s[14:15]
	v_mov_b32_e32 v50, v46
	s_xor_b64 exec, exec, s[14:15]
	s_cbranch_execz .LBB84_1
; %bb.73:                               ;   in Loop: Header=BB84_2 Depth=1
	ds_read_u8 v50, v47 offset:1
	v_add_u32_e32 v47, 1, v47
	v_mov_b32_e32 v48, v49
	s_waitcnt lgkmcnt(1)
	v_mov_b32_e32 v44, v45
	s_branch .LBB84_1
.LBB84_74:
	s_add_u32 s0, s18, s20
	s_addc_u32 s1, s19, 0
	v_mov_b32_e32 v1, s1
	v_add_co_u32_e32 v0, vcc, s0, v0
	v_addc_co_u32_e32 v1, vcc, 0, v1, vcc
	global_store_byte v[0:1], v43, off
	global_store_byte v[0:1], v45, off offset:64
	global_store_byte v[0:1], v44, off offset:128
	s_endpgm
	.section	.rodata,"a",@progbits
	.p2align	6, 0x0
	.amdhsa_kernel _Z16sort_keys_kernelIhLj64ELj3EN10test_utils4lessELj10EEvPKT_PS2_T2_
		.amdhsa_group_segment_fixed_size 193
		.amdhsa_private_segment_fixed_size 0
		.amdhsa_kernarg_size 20
		.amdhsa_user_sgpr_count 6
		.amdhsa_user_sgpr_private_segment_buffer 1
		.amdhsa_user_sgpr_dispatch_ptr 0
		.amdhsa_user_sgpr_queue_ptr 0
		.amdhsa_user_sgpr_kernarg_segment_ptr 1
		.amdhsa_user_sgpr_dispatch_id 0
		.amdhsa_user_sgpr_flat_scratch_init 0
		.amdhsa_user_sgpr_private_segment_size 0
		.amdhsa_uses_dynamic_stack 0
		.amdhsa_system_sgpr_private_segment_wavefront_offset 0
		.amdhsa_system_sgpr_workgroup_id_x 1
		.amdhsa_system_sgpr_workgroup_id_y 0
		.amdhsa_system_sgpr_workgroup_id_z 0
		.amdhsa_system_sgpr_workgroup_info 0
		.amdhsa_system_vgpr_workitem_id 0
		.amdhsa_next_free_vgpr 51
		.amdhsa_next_free_sgpr 28
		.amdhsa_reserve_vcc 1
		.amdhsa_reserve_flat_scratch 0
		.amdhsa_float_round_mode_32 0
		.amdhsa_float_round_mode_16_64 0
		.amdhsa_float_denorm_mode_32 3
		.amdhsa_float_denorm_mode_16_64 3
		.amdhsa_dx10_clamp 1
		.amdhsa_ieee_mode 1
		.amdhsa_fp16_overflow 0
		.amdhsa_exception_fp_ieee_invalid_op 0
		.amdhsa_exception_fp_denorm_src 0
		.amdhsa_exception_fp_ieee_div_zero 0
		.amdhsa_exception_fp_ieee_overflow 0
		.amdhsa_exception_fp_ieee_underflow 0
		.amdhsa_exception_fp_ieee_inexact 0
		.amdhsa_exception_int_div_zero 0
	.end_amdhsa_kernel
	.section	.text._Z16sort_keys_kernelIhLj64ELj3EN10test_utils4lessELj10EEvPKT_PS2_T2_,"axG",@progbits,_Z16sort_keys_kernelIhLj64ELj3EN10test_utils4lessELj10EEvPKT_PS2_T2_,comdat
.Lfunc_end84:
	.size	_Z16sort_keys_kernelIhLj64ELj3EN10test_utils4lessELj10EEvPKT_PS2_T2_, .Lfunc_end84-_Z16sort_keys_kernelIhLj64ELj3EN10test_utils4lessELj10EEvPKT_PS2_T2_
                                        ; -- End function
	.set _Z16sort_keys_kernelIhLj64ELj3EN10test_utils4lessELj10EEvPKT_PS2_T2_.num_vgpr, 51
	.set _Z16sort_keys_kernelIhLj64ELj3EN10test_utils4lessELj10EEvPKT_PS2_T2_.num_agpr, 0
	.set _Z16sort_keys_kernelIhLj64ELj3EN10test_utils4lessELj10EEvPKT_PS2_T2_.numbered_sgpr, 28
	.set _Z16sort_keys_kernelIhLj64ELj3EN10test_utils4lessELj10EEvPKT_PS2_T2_.num_named_barrier, 0
	.set _Z16sort_keys_kernelIhLj64ELj3EN10test_utils4lessELj10EEvPKT_PS2_T2_.private_seg_size, 0
	.set _Z16sort_keys_kernelIhLj64ELj3EN10test_utils4lessELj10EEvPKT_PS2_T2_.uses_vcc, 1
	.set _Z16sort_keys_kernelIhLj64ELj3EN10test_utils4lessELj10EEvPKT_PS2_T2_.uses_flat_scratch, 0
	.set _Z16sort_keys_kernelIhLj64ELj3EN10test_utils4lessELj10EEvPKT_PS2_T2_.has_dyn_sized_stack, 0
	.set _Z16sort_keys_kernelIhLj64ELj3EN10test_utils4lessELj10EEvPKT_PS2_T2_.has_recursion, 0
	.set _Z16sort_keys_kernelIhLj64ELj3EN10test_utils4lessELj10EEvPKT_PS2_T2_.has_indirect_call, 0
	.section	.AMDGPU.csdata,"",@progbits
; Kernel info:
; codeLenInByte = 3732
; TotalNumSgprs: 32
; NumVgprs: 51
; ScratchSize: 0
; MemoryBound: 0
; FloatMode: 240
; IeeeMode: 1
; LDSByteSize: 193 bytes/workgroup (compile time only)
; SGPRBlocks: 3
; VGPRBlocks: 12
; NumSGPRsForWavesPerEU: 32
; NumVGPRsForWavesPerEU: 51
; Occupancy: 4
; WaveLimiterHint : 0
; COMPUTE_PGM_RSRC2:SCRATCH_EN: 0
; COMPUTE_PGM_RSRC2:USER_SGPR: 6
; COMPUTE_PGM_RSRC2:TRAP_HANDLER: 0
; COMPUTE_PGM_RSRC2:TGID_X_EN: 1
; COMPUTE_PGM_RSRC2:TGID_Y_EN: 0
; COMPUTE_PGM_RSRC2:TGID_Z_EN: 0
; COMPUTE_PGM_RSRC2:TIDIG_COMP_CNT: 0
	.section	.text._Z17sort_pairs_kernelIhLj64ELj3EN10test_utils4lessELj10EEvPKT_PS2_T2_,"axG",@progbits,_Z17sort_pairs_kernelIhLj64ELj3EN10test_utils4lessELj10EEvPKT_PS2_T2_,comdat
	.protected	_Z17sort_pairs_kernelIhLj64ELj3EN10test_utils4lessELj10EEvPKT_PS2_T2_ ; -- Begin function _Z17sort_pairs_kernelIhLj64ELj3EN10test_utils4lessELj10EEvPKT_PS2_T2_
	.globl	_Z17sort_pairs_kernelIhLj64ELj3EN10test_utils4lessELj10EEvPKT_PS2_T2_
	.p2align	8
	.type	_Z17sort_pairs_kernelIhLj64ELj3EN10test_utils4lessELj10EEvPKT_PS2_T2_,@function
_Z17sort_pairs_kernelIhLj64ELj3EN10test_utils4lessELj10EEvPKT_PS2_T2_: ; @_Z17sort_pairs_kernelIhLj64ELj3EN10test_utils4lessELj10EEvPKT_PS2_T2_
; %bb.0:
	s_load_dwordx4 s[20:23], s[4:5], 0x0
	s_mul_i32 s24, s6, 0xc0
	v_and_b32_e32 v1, 62, v0
	v_and_b32_e32 v2, 1, v0
	;; [unrolled: 1-line block ×3, first 2 shown]
	s_waitcnt lgkmcnt(0)
	s_add_u32 s0, s20, s24
	s_addc_u32 s1, s21, 0
	global_load_ubyte v24, v0, s[0:1]
	global_load_ubyte v25, v0, s[0:1] offset:64
	global_load_ubyte v26, v0, s[0:1] offset:128
	v_and_b32_e32 v4, 56, v0
	v_and_b32_e32 v5, 48, v0
	;; [unrolled: 1-line block ×3, first 2 shown]
	v_mul_u32_u24_e32 v7, 3, v1
	v_cmp_eq_u32_e32 vcc, 1, v2
	v_mul_u32_u24_e32 v2, 3, v3
	v_mul_u32_u24_e32 v3, 3, v4
	;; [unrolled: 1-line block ×4, first 2 shown]
	v_min_u32_e32 v16, 0xbd, v7
	v_min_u32_e32 v8, 0xba, v7
	;; [unrolled: 1-line block ×10, first 2 shown]
	v_and_b32_e32 v27, 3, v0
	v_and_b32_e32 v29, 7, v0
	;; [unrolled: 1-line block ×4, first 2 shown]
	v_min_u32_e32 v1, 0xc0, v2
	v_min_u32_e32 v2, 0xc0, v3
	;; [unrolled: 1-line block ×5, first 2 shown]
	v_add_u32_e32 v6, 3, v16
	v_add_u32_e32 v7, 6, v8
	;; [unrolled: 1-line block ×10, first 2 shown]
	s_mov_b32 s25, 0xc0c0004
	v_cndmask_b32_e64 v23, 0, 3, vcc
	v_mul_u32_u24_e32 v28, 3, v27
	v_mul_u32_u24_e32 v30, 3, v29
	;; [unrolled: 1-line block ×4, first 2 shown]
	v_sub_u32_e32 v39, v7, v6
	v_sub_u32_e32 v18, v8, v1
	;; [unrolled: 1-line block ×12, first 2 shown]
	v_min_i32_e32 v18, v28, v18
	v_sub_u32_e32 v49, v30, v41
	v_sub_u32_e32 v50, v31, v46
	v_min_i32_e32 v20, v31, v20
	v_sub_u32_e32 v51, v33, v47
	v_cmp_ge_i32_e32 vcc, v23, v39
	v_cmp_ge_i32_e64 s[0:1], v28, v40
	v_cmp_ge_i32_e64 s[2:3], v30, v41
	v_mad_u32_u24 v28, v29, 3, v36
	v_cmp_ge_i32_e64 s[4:5], v31, v46
	v_mad_u32_u24 v31, v32, 3, v37
	v_cmp_ge_i32_e64 s[6:7], v33, v47
	v_mul_u32_u24_e32 v36, 3, v0
	v_mov_b32_e32 v37, 0x60
	v_add_u32_e32 v16, v16, v23
	v_add_u32_e32 v17, v6, v23
	v_min_i32_e32 v19, v30, v19
	v_min_i32_e32 v21, v33, v21
	;; [unrolled: 1-line block ×3, first 2 shown]
	v_cndmask_b32_e32 v23, 0, v42, vcc
	v_cndmask_b32_e64 v30, 0, v50, s[4:5]
	s_waitcnt vmcnt(2)
	v_add_u16_e32 v43, 1, v24
	s_waitcnt vmcnt(1)
	v_perm_b32 v39, v24, v25, s25
	s_waitcnt vmcnt(0)
	v_lshlrev_b32_e32 v45, 16, v26
	v_add_u16_e32 v44, 1, v25
	v_add_u16_e32 v42, 1, v26
	v_or_b32_e32 v45, v39, v45
	v_cndmask_b32_e64 v24, 0, v48, s[0:1]
	v_mad_u32_u24 v25, v27, 3, v34
	v_mad_u32_u24 v26, v27, 3, v8
	v_cndmask_b32_e64 v27, 0, v49, s[2:3]
	v_cndmask_b32_e64 v33, 0, v51, s[6:7]
	v_mad_u32_u24 v34, v35, 3, v38
	v_sub_u32_e64 v38, v36, v37 clamp
	v_min_i32_e32 v39, 0x60, v36
	s_movk_i32 s26, 0xc0
	s_mov_b32 s27, 0
	v_cmp_lt_i32_e32 vcc, v23, v22
	v_cmp_lt_i32_e64 s[0:1], v24, v18
	v_cmp_lt_i32_e64 s[2:3], v27, v19
	v_mad_u32_u24 v29, v29, 3, v10
	v_cmp_lt_i32_e64 s[4:5], v30, v20
	v_mad_u32_u24 v32, v32, 3, v13
	;; [unrolled: 2-line block ×3, first 2 shown]
	v_cmp_lt_i32_e64 s[8:9], v38, v39
	s_mov_b32 s28, 0x7060405
	s_movk_i32 s29, 0xff
	s_movk_i32 s30, 0xff00
	s_mov_b32 s31, 0xffff0000
	s_mov_b32 s33, 0xc0c0001
	;; [unrolled: 1-line block ×3, first 2 shown]
	v_mad_u32_u24 v40, v0, 3, v37
	v_mov_b32_e32 v41, 8
	s_branch .LBB85_2
.LBB85_1:                               ;   in Loop: Header=BB85_2 Depth=1
	s_or_b64 exec, exec, s[14:15]
	v_cndmask_b32_e64 v47, v47, v48, s[10:11]
	v_cndmask_b32_e64 v48, v49, v50, s[12:13]
	v_cmp_ge_i32_e64 s[12:13], v52, v37
	s_waitcnt lgkmcnt(0)
	v_cmp_lt_u16_sdwa s[14:15], v56, v54 src0_sel:BYTE_0 src1_sel:BYTE_0
	v_cndmask_b32_e64 v45, v45, v46, s[10:11]
	v_cmp_gt_i32_e64 s[10:11], s26, v51
	s_or_b64 s[12:13], s[12:13], s[14:15]
	s_and_b64 s[10:11], s[10:11], s[12:13]
	v_cndmask_b32_e64 v51, v52, v51, s[10:11]
	; wave barrier
	ds_write_b8 v36, v42
	ds_write_b8 v36, v44 offset:1
	ds_write_b8 v36, v43 offset:2
	s_waitcnt lgkmcnt(0)
	; wave barrier
	ds_read_u8 v43, v45
	ds_read_u8 v44, v53
	;; [unrolled: 1-line block ×3, first 2 shown]
	v_cndmask_b32_e64 v46, v54, v56, s[10:11]
	v_lshlrev_b16_e32 v49, 8, v48
	v_and_b32_e32 v50, 0xff, v46
	v_or_b32_sdwa v49, v47, v49 dst_sel:DWORD dst_unused:UNUSED_PAD src0_sel:BYTE_0 src1_sel:DWORD
	v_lshlrev_b32_e32 v45, 16, v50
	s_add_i32 s27, s27, 1
	s_cmp_eq_u32 s27, 10
	v_or_b32_sdwa v45, v49, v45 dst_sel:DWORD dst_unused:UNUSED_PAD src0_sel:WORD_0 src1_sel:DWORD
	s_cbranch_scc1 .LBB85_74
.LBB85_2:                               ; =>This Loop Header: Depth=1
                                        ;     Child Loop BB85_4 Depth 2
                                        ;     Child Loop BB85_16 Depth 2
	;; [unrolled: 1-line block ×6, first 2 shown]
	v_lshrrev_b32_e32 v47, 8, v45
	v_perm_b32 v46, v45, v45, s28
	v_cmp_lt_u16_sdwa s[10:11], v47, v45 src0_sel:BYTE_0 src1_sel:BYTE_0
	v_cndmask_b32_e64 v46, v45, v46, s[10:11]
	v_and_b32_sdwa v48, v46, s30 dst_sel:DWORD dst_unused:UNUSED_PAD src0_sel:WORD_1 src1_sel:DWORD
	v_max_u16_sdwa v45, v47, v45 dst_sel:DWORD dst_unused:UNUSED_PAD src0_sel:BYTE_0 src1_sel:BYTE_0
	v_lshlrev_b16_sdwa v49, v41, v46 dst_sel:DWORD dst_unused:UNUSED_PAD src0_sel:DWORD src1_sel:WORD_1
	v_or_b32_sdwa v47, v45, v48 dst_sel:WORD_1 dst_unused:UNUSED_PAD src0_sel:DWORD src1_sel:DWORD
	v_and_b32_sdwa v48, v46, s29 dst_sel:DWORD dst_unused:UNUSED_PAD src0_sel:WORD_1 src1_sel:DWORD
	v_or_b32_sdwa v49, v46, v49 dst_sel:DWORD dst_unused:UNUSED_PAD src0_sel:BYTE_0 src1_sel:DWORD
	v_or_b32_sdwa v47, v49, v47 dst_sel:DWORD dst_unused:UNUSED_PAD src0_sel:WORD_0 src1_sel:DWORD
	v_cmp_lt_u16_e64 s[12:13], v48, v45
	v_cndmask_b32_e64 v46, v46, v47, s[12:13]
	v_lshlrev_b16_e32 v47, 8, v46
	v_min_u16_e32 v45, v48, v45
	v_or_b32_e32 v47, v45, v47
	v_and_b32_e32 v47, 0xffff, v47
	v_and_or_b32 v47, v46, s31, v47
	v_cmp_lt_u16_sdwa s[14:15], v45, v46 src0_sel:DWORD src1_sel:BYTE_0
	v_cndmask_b32_e64 v45, v46, v47, s[14:15]
	v_lshrrev_b32_e32 v46, 8, v45
	v_mov_b32_e32 v47, v23
	; wave barrier
	ds_write_b8 v36, v45
	ds_write_b8 v36, v46 offset:1
	ds_write_b8_d16_hi v36, v45 offset:2
	s_waitcnt lgkmcnt(0)
	; wave barrier
	s_and_saveexec_b64 s[18:19], vcc
	s_cbranch_execz .LBB85_6
; %bb.3:                                ;   in Loop: Header=BB85_2 Depth=1
	s_mov_b64 s[20:21], 0
	v_mov_b32_e32 v47, v23
	v_mov_b32_e32 v45, v22
.LBB85_4:                               ;   Parent Loop BB85_2 Depth=1
                                        ; =>  This Inner Loop Header: Depth=2
	v_sub_u32_e32 v46, v45, v47
	v_lshrrev_b32_e32 v46, 1, v46
	v_add_u32_e32 v46, v46, v47
	v_add_u32_e32 v48, v5, v46
	v_xad_u32 v49, v46, -1, v16
	ds_read_u8 v48, v48
	ds_read_u8 v49, v49 offset:3
	v_add_u32_e32 v50, 1, v46
	s_waitcnt lgkmcnt(0)
	v_cmp_lt_u16_e64 s[16:17], v49, v48
	v_cndmask_b32_e64 v45, v45, v46, s[16:17]
	v_cndmask_b32_e64 v47, v50, v47, s[16:17]
	v_cmp_ge_i32_e64 s[16:17], v47, v45
	s_or_b64 s[20:21], s[16:17], s[20:21]
	s_andn2_b64 exec, exec, s[20:21]
	s_cbranch_execnz .LBB85_4
; %bb.5:                                ;   in Loop: Header=BB85_2 Depth=1
	s_or_b64 exec, exec, s[20:21]
.LBB85_6:                               ;   in Loop: Header=BB85_2 Depth=1
	s_or_b64 exec, exec, s[18:19]
	v_add_u32_e32 v45, v47, v5
	v_sub_u32_e32 v50, v16, v47
	ds_read_u8 v46, v45
	ds_read_u8 v48, v50 offset:3
	v_sub_u32_e32 v47, v17, v47
	v_cmp_le_i32_e64 s[18:19], v6, v45
	v_cmp_gt_i32_e64 s[16:17], v7, v47
                                        ; implicit-def: $vgpr49
	s_waitcnt lgkmcnt(0)
	v_cmp_lt_u16_sdwa s[20:21], v48, v46 src0_sel:BYTE_0 src1_sel:BYTE_0
	s_or_b64 s[18:19], s[18:19], s[20:21]
	s_and_b64 s[16:17], s[16:17], s[18:19]
	s_xor_b64 s[18:19], s[16:17], -1
	s_and_saveexec_b64 s[20:21], s[18:19]
	s_xor_b64 s[18:19], exec, s[20:21]
; %bb.7:                                ;   in Loop: Header=BB85_2 Depth=1
	ds_read_u8 v49, v45 offset:1
                                        ; implicit-def: $vgpr50
; %bb.8:                                ;   in Loop: Header=BB85_2 Depth=1
	s_or_saveexec_b64 s[18:19], s[18:19]
	v_mov_b32_e32 v51, v48
	s_xor_b64 exec, exec, s[18:19]
	s_cbranch_execz .LBB85_10
; %bb.9:                                ;   in Loop: Header=BB85_2 Depth=1
	ds_read_u8 v51, v50 offset:4
	s_waitcnt lgkmcnt(1)
	v_mov_b32_e32 v49, v46
.LBB85_10:                              ;   in Loop: Header=BB85_2 Depth=1
	s_or_b64 exec, exec, s[18:19]
	v_add_u32_e32 v53, 1, v45
	v_add_u32_e32 v50, 1, v47
	v_cndmask_b32_e64 v53, v53, v45, s[16:17]
	v_cndmask_b32_e64 v52, v47, v50, s[16:17]
	v_cmp_ge_i32_e64 s[20:21], v53, v6
	s_waitcnt lgkmcnt(0)
	v_cmp_lt_u16_sdwa s[36:37], v51, v49 src0_sel:BYTE_0 src1_sel:BYTE_0
	v_cmp_lt_i32_e64 s[18:19], v52, v7
	s_or_b64 s[20:21], s[20:21], s[36:37]
	s_and_b64 s[18:19], s[18:19], s[20:21]
	s_xor_b64 s[20:21], s[18:19], -1
                                        ; implicit-def: $vgpr50
	s_and_saveexec_b64 s[36:37], s[20:21]
	s_xor_b64 s[20:21], exec, s[36:37]
; %bb.11:                               ;   in Loop: Header=BB85_2 Depth=1
	ds_read_u8 v50, v53 offset:1
; %bb.12:                               ;   in Loop: Header=BB85_2 Depth=1
	s_or_saveexec_b64 s[20:21], s[20:21]
	v_mov_b32_e32 v54, v51
	s_xor_b64 exec, exec, s[20:21]
	s_cbranch_execz .LBB85_14
; %bb.13:                               ;   in Loop: Header=BB85_2 Depth=1
	ds_read_u8 v54, v52 offset:1
	s_waitcnt lgkmcnt(1)
	v_mov_b32_e32 v50, v49
.LBB85_14:                              ;   in Loop: Header=BB85_2 Depth=1
	s_or_b64 exec, exec, s[20:21]
	v_cndmask_b32_e64 v45, v45, v47, s[16:17]
	v_perm_b32 v47, v44, v43, s25
	v_perm_b32 v43, v43, v44, s25
	v_and_b32_e32 v44, 0xff, v42
	v_cndmask_b32_e64 v43, v43, v47, s[10:11]
	v_lshlrev_b32_e32 v44, 16, v44
	v_lshrrev_b16_e32 v47, 8, v43
	v_or_b32_e32 v44, v43, v44
	v_perm_b32 v42, v43, v42, s25
	v_lshlrev_b32_e32 v43, 16, v47
	v_or_b32_e32 v42, v42, v43
	v_cndmask_b32_e64 v42, v44, v42, s[12:13]
	v_add_u32_e32 v55, 1, v53
	v_perm_b32 v43, 0, v42, s33
	v_cndmask_b32_e64 v49, v49, v51, s[18:19]
	v_add_u32_e32 v51, 1, v52
	v_cndmask_b32_e64 v55, v55, v53, s[18:19]
	v_and_or_b32 v43, v42, s34, v43
	v_cndmask_b32_e64 v51, v52, v51, s[18:19]
	v_cndmask_b32_e64 v42, v42, v43, s[14:15]
	v_cmp_ge_i32_e64 s[12:13], v55, v6
	s_waitcnt lgkmcnt(0)
	v_cmp_lt_u16_sdwa s[14:15], v54, v50 src0_sel:BYTE_0 src1_sel:BYTE_0
	v_cmp_lt_i32_e64 s[10:11], v51, v7
	s_or_b64 s[12:13], s[12:13], s[14:15]
	s_and_b64 s[10:11], s[10:11], s[12:13]
	v_cndmask_b32_e64 v43, v55, v51, s[10:11]
	v_lshrrev_b32_e32 v44, 8, v42
	v_cndmask_b32_e64 v52, v53, v52, s[18:19]
	; wave barrier
	ds_write_b8 v36, v42
	ds_write_b8 v36, v44 offset:1
	ds_write_b8_d16_hi v36, v42 offset:2
	s_waitcnt lgkmcnt(0)
	; wave barrier
	ds_read_u8 v42, v45
	ds_read_u8 v43, v43
	;; [unrolled: 1-line block ×3, first 2 shown]
	v_cndmask_b32_e64 v46, v46, v48, s[16:17]
	v_cndmask_b32_e64 v47, v50, v54, s[10:11]
	s_waitcnt lgkmcnt(0)
	; wave barrier
	ds_write_b8 v36, v46
	ds_write_b8 v36, v49 offset:1
	ds_write_b8 v36, v47 offset:2
	v_mov_b32_e32 v47, v24
	s_waitcnt lgkmcnt(0)
	; wave barrier
	s_and_saveexec_b64 s[12:13], s[0:1]
	s_cbranch_execz .LBB85_18
; %bb.15:                               ;   in Loop: Header=BB85_2 Depth=1
	s_mov_b64 s[14:15], 0
	v_mov_b32_e32 v47, v24
	v_mov_b32_e32 v45, v18
.LBB85_16:                              ;   Parent Loop BB85_2 Depth=1
                                        ; =>  This Inner Loop Header: Depth=2
	v_sub_u32_e32 v46, v45, v47
	v_lshrrev_b32_e32 v46, 1, v46
	v_add_u32_e32 v46, v46, v47
	v_add_u32_e32 v48, v1, v46
	v_xad_u32 v49, v46, -1, v25
	ds_read_u8 v48, v48
	ds_read_u8 v49, v49 offset:6
	v_add_u32_e32 v50, 1, v46
	s_waitcnt lgkmcnt(0)
	v_cmp_lt_u16_e64 s[10:11], v49, v48
	v_cndmask_b32_e64 v45, v45, v46, s[10:11]
	v_cndmask_b32_e64 v47, v50, v47, s[10:11]
	v_cmp_ge_i32_e64 s[10:11], v47, v45
	s_or_b64 s[14:15], s[10:11], s[14:15]
	s_andn2_b64 exec, exec, s[14:15]
	s_cbranch_execnz .LBB85_16
; %bb.17:                               ;   in Loop: Header=BB85_2 Depth=1
	s_or_b64 exec, exec, s[14:15]
.LBB85_18:                              ;   in Loop: Header=BB85_2 Depth=1
	s_or_b64 exec, exec, s[12:13]
	v_add_u32_e32 v45, v47, v1
	v_sub_u32_e32 v51, v25, v47
	ds_read_u8 v46, v45
	ds_read_u8 v48, v51 offset:6
	v_sub_u32_e32 v47, v26, v47
	v_cmp_le_i32_e64 s[12:13], v8, v45
	v_cmp_gt_i32_e64 s[10:11], v9, v47
                                        ; implicit-def: $vgpr49
	s_waitcnt lgkmcnt(0)
	v_cmp_lt_u16_sdwa s[14:15], v48, v46 src0_sel:BYTE_0 src1_sel:BYTE_0
	s_or_b64 s[12:13], s[12:13], s[14:15]
	s_and_b64 s[10:11], s[10:11], s[12:13]
	s_xor_b64 s[12:13], s[10:11], -1
	s_and_saveexec_b64 s[14:15], s[12:13]
	s_xor_b64 s[12:13], exec, s[14:15]
; %bb.19:                               ;   in Loop: Header=BB85_2 Depth=1
	ds_read_u8 v49, v45 offset:1
                                        ; implicit-def: $vgpr51
; %bb.20:                               ;   in Loop: Header=BB85_2 Depth=1
	s_or_saveexec_b64 s[12:13], s[12:13]
	v_mov_b32_e32 v50, v48
	s_xor_b64 exec, exec, s[12:13]
	s_cbranch_execz .LBB85_22
; %bb.21:                               ;   in Loop: Header=BB85_2 Depth=1
	ds_read_u8 v50, v51 offset:7
	s_waitcnt lgkmcnt(1)
	v_mov_b32_e32 v49, v46
.LBB85_22:                              ;   in Loop: Header=BB85_2 Depth=1
	s_or_b64 exec, exec, s[12:13]
	v_add_u32_e32 v52, 1, v45
	v_add_u32_e32 v51, 1, v47
	v_cndmask_b32_e64 v52, v52, v45, s[10:11]
	v_cndmask_b32_e64 v51, v47, v51, s[10:11]
	v_cmp_ge_i32_e64 s[14:15], v52, v8
	s_waitcnt lgkmcnt(0)
	v_cmp_lt_u16_sdwa s[16:17], v50, v49 src0_sel:BYTE_0 src1_sel:BYTE_0
	v_cmp_lt_i32_e64 s[12:13], v51, v9
	s_or_b64 s[14:15], s[14:15], s[16:17]
	s_and_b64 s[12:13], s[12:13], s[14:15]
	s_xor_b64 s[14:15], s[12:13], -1
                                        ; implicit-def: $vgpr53
	s_and_saveexec_b64 s[16:17], s[14:15]
	s_xor_b64 s[14:15], exec, s[16:17]
; %bb.23:                               ;   in Loop: Header=BB85_2 Depth=1
	ds_read_u8 v53, v52 offset:1
; %bb.24:                               ;   in Loop: Header=BB85_2 Depth=1
	s_or_saveexec_b64 s[14:15], s[14:15]
	v_mov_b32_e32 v54, v50
	s_xor_b64 exec, exec, s[14:15]
	s_cbranch_execz .LBB85_26
; %bb.25:                               ;   in Loop: Header=BB85_2 Depth=1
	ds_read_u8 v54, v51 offset:1
	s_waitcnt lgkmcnt(1)
	v_mov_b32_e32 v53, v49
.LBB85_26:                              ;   in Loop: Header=BB85_2 Depth=1
	s_or_b64 exec, exec, s[14:15]
	v_add_u32_e32 v55, 1, v52
	v_cndmask_b32_e64 v49, v49, v50, s[12:13]
	v_add_u32_e32 v50, 1, v51
	v_cndmask_b32_e64 v55, v55, v52, s[12:13]
	v_cndmask_b32_e64 v50, v51, v50, s[12:13]
	;; [unrolled: 1-line block ×3, first 2 shown]
	v_cmp_ge_i32_e64 s[12:13], v55, v8
	s_waitcnt lgkmcnt(0)
	v_cmp_lt_u16_sdwa s[14:15], v54, v53 src0_sel:BYTE_0 src1_sel:BYTE_0
	v_cndmask_b32_e64 v46, v46, v48, s[10:11]
	v_cndmask_b32_e64 v45, v45, v47, s[10:11]
	v_cmp_lt_i32_e64 s[10:11], v50, v9
	s_or_b64 s[12:13], s[12:13], s[14:15]
	s_and_b64 s[10:11], s[10:11], s[12:13]
	v_cndmask_b32_e64 v48, v55, v50, s[10:11]
	; wave barrier
	ds_write_b8 v36, v42
	ds_write_b8 v36, v44 offset:1
	ds_write_b8 v36, v43 offset:2
	s_waitcnt lgkmcnt(0)
	; wave barrier
	ds_read_u8 v42, v45
	ds_read_u8 v43, v48
	;; [unrolled: 1-line block ×3, first 2 shown]
	v_cndmask_b32_e64 v47, v53, v54, s[10:11]
	s_waitcnt lgkmcnt(0)
	; wave barrier
	ds_write_b8 v36, v46
	ds_write_b8 v36, v49 offset:1
	ds_write_b8 v36, v47 offset:2
	v_mov_b32_e32 v47, v27
	s_waitcnt lgkmcnt(0)
	; wave barrier
	s_and_saveexec_b64 s[12:13], s[2:3]
	s_cbranch_execz .LBB85_30
; %bb.27:                               ;   in Loop: Header=BB85_2 Depth=1
	s_mov_b64 s[14:15], 0
	v_mov_b32_e32 v47, v27
	v_mov_b32_e32 v45, v19
.LBB85_28:                              ;   Parent Loop BB85_2 Depth=1
                                        ; =>  This Inner Loop Header: Depth=2
	v_sub_u32_e32 v46, v45, v47
	v_lshrrev_b32_e32 v46, 1, v46
	v_add_u32_e32 v46, v46, v47
	v_add_u32_e32 v48, v2, v46
	v_xad_u32 v49, v46, -1, v28
	ds_read_u8 v48, v48
	ds_read_u8 v49, v49 offset:12
	v_add_u32_e32 v50, 1, v46
	s_waitcnt lgkmcnt(0)
	v_cmp_lt_u16_e64 s[10:11], v49, v48
	v_cndmask_b32_e64 v45, v45, v46, s[10:11]
	v_cndmask_b32_e64 v47, v50, v47, s[10:11]
	v_cmp_ge_i32_e64 s[10:11], v47, v45
	s_or_b64 s[14:15], s[10:11], s[14:15]
	s_andn2_b64 exec, exec, s[14:15]
	s_cbranch_execnz .LBB85_28
; %bb.29:                               ;   in Loop: Header=BB85_2 Depth=1
	s_or_b64 exec, exec, s[14:15]
.LBB85_30:                              ;   in Loop: Header=BB85_2 Depth=1
	s_or_b64 exec, exec, s[12:13]
	v_add_u32_e32 v45, v47, v2
	v_sub_u32_e32 v51, v28, v47
	ds_read_u8 v46, v45
	ds_read_u8 v48, v51 offset:12
	v_sub_u32_e32 v47, v29, v47
	v_cmp_le_i32_e64 s[12:13], v10, v45
	v_cmp_gt_i32_e64 s[10:11], v11, v47
                                        ; implicit-def: $vgpr49
	s_waitcnt lgkmcnt(0)
	v_cmp_lt_u16_sdwa s[14:15], v48, v46 src0_sel:BYTE_0 src1_sel:BYTE_0
	s_or_b64 s[12:13], s[12:13], s[14:15]
	s_and_b64 s[10:11], s[10:11], s[12:13]
	s_xor_b64 s[12:13], s[10:11], -1
	s_and_saveexec_b64 s[14:15], s[12:13]
	s_xor_b64 s[12:13], exec, s[14:15]
; %bb.31:                               ;   in Loop: Header=BB85_2 Depth=1
	ds_read_u8 v49, v45 offset:1
                                        ; implicit-def: $vgpr51
; %bb.32:                               ;   in Loop: Header=BB85_2 Depth=1
	s_or_saveexec_b64 s[12:13], s[12:13]
	v_mov_b32_e32 v50, v48
	s_xor_b64 exec, exec, s[12:13]
	s_cbranch_execz .LBB85_34
; %bb.33:                               ;   in Loop: Header=BB85_2 Depth=1
	ds_read_u8 v50, v51 offset:13
	s_waitcnt lgkmcnt(1)
	v_mov_b32_e32 v49, v46
.LBB85_34:                              ;   in Loop: Header=BB85_2 Depth=1
	s_or_b64 exec, exec, s[12:13]
	v_add_u32_e32 v52, 1, v45
	v_add_u32_e32 v51, 1, v47
	v_cndmask_b32_e64 v52, v52, v45, s[10:11]
	v_cndmask_b32_e64 v51, v47, v51, s[10:11]
	v_cmp_ge_i32_e64 s[14:15], v52, v10
	s_waitcnt lgkmcnt(0)
	v_cmp_lt_u16_sdwa s[16:17], v50, v49 src0_sel:BYTE_0 src1_sel:BYTE_0
	v_cmp_lt_i32_e64 s[12:13], v51, v11
	s_or_b64 s[14:15], s[14:15], s[16:17]
	s_and_b64 s[12:13], s[12:13], s[14:15]
	s_xor_b64 s[14:15], s[12:13], -1
                                        ; implicit-def: $vgpr53
	s_and_saveexec_b64 s[16:17], s[14:15]
	s_xor_b64 s[14:15], exec, s[16:17]
; %bb.35:                               ;   in Loop: Header=BB85_2 Depth=1
	ds_read_u8 v53, v52 offset:1
; %bb.36:                               ;   in Loop: Header=BB85_2 Depth=1
	s_or_saveexec_b64 s[14:15], s[14:15]
	v_mov_b32_e32 v54, v50
	s_xor_b64 exec, exec, s[14:15]
	s_cbranch_execz .LBB85_38
; %bb.37:                               ;   in Loop: Header=BB85_2 Depth=1
	ds_read_u8 v54, v51 offset:1
	s_waitcnt lgkmcnt(1)
	v_mov_b32_e32 v53, v49
.LBB85_38:                              ;   in Loop: Header=BB85_2 Depth=1
	s_or_b64 exec, exec, s[14:15]
	v_add_u32_e32 v55, 1, v52
	v_cndmask_b32_e64 v49, v49, v50, s[12:13]
	v_add_u32_e32 v50, 1, v51
	v_cndmask_b32_e64 v55, v55, v52, s[12:13]
	v_cndmask_b32_e64 v50, v51, v50, s[12:13]
	;; [unrolled: 1-line block ×3, first 2 shown]
	v_cmp_ge_i32_e64 s[12:13], v55, v10
	s_waitcnt lgkmcnt(0)
	v_cmp_lt_u16_sdwa s[14:15], v54, v53 src0_sel:BYTE_0 src1_sel:BYTE_0
	v_cndmask_b32_e64 v46, v46, v48, s[10:11]
	v_cndmask_b32_e64 v45, v45, v47, s[10:11]
	v_cmp_lt_i32_e64 s[10:11], v50, v11
	s_or_b64 s[12:13], s[12:13], s[14:15]
	s_and_b64 s[10:11], s[10:11], s[12:13]
	v_cndmask_b32_e64 v48, v55, v50, s[10:11]
	; wave barrier
	ds_write_b8 v36, v42
	ds_write_b8 v36, v44 offset:1
	ds_write_b8 v36, v43 offset:2
	s_waitcnt lgkmcnt(0)
	; wave barrier
	ds_read_u8 v42, v45
	ds_read_u8 v43, v48
	;; [unrolled: 1-line block ×3, first 2 shown]
	v_cndmask_b32_e64 v47, v53, v54, s[10:11]
	s_waitcnt lgkmcnt(0)
	; wave barrier
	ds_write_b8 v36, v46
	ds_write_b8 v36, v49 offset:1
	ds_write_b8 v36, v47 offset:2
	v_mov_b32_e32 v47, v30
	s_waitcnt lgkmcnt(0)
	; wave barrier
	s_and_saveexec_b64 s[12:13], s[4:5]
	s_cbranch_execz .LBB85_42
; %bb.39:                               ;   in Loop: Header=BB85_2 Depth=1
	s_mov_b64 s[14:15], 0
	v_mov_b32_e32 v47, v30
	v_mov_b32_e32 v45, v20
.LBB85_40:                              ;   Parent Loop BB85_2 Depth=1
                                        ; =>  This Inner Loop Header: Depth=2
	v_sub_u32_e32 v46, v45, v47
	v_lshrrev_b32_e32 v46, 1, v46
	v_add_u32_e32 v46, v46, v47
	v_add_u32_e32 v48, v3, v46
	v_xad_u32 v49, v46, -1, v31
	ds_read_u8 v48, v48
	ds_read_u8 v49, v49 offset:24
	v_add_u32_e32 v50, 1, v46
	s_waitcnt lgkmcnt(0)
	v_cmp_lt_u16_e64 s[10:11], v49, v48
	v_cndmask_b32_e64 v45, v45, v46, s[10:11]
	v_cndmask_b32_e64 v47, v50, v47, s[10:11]
	v_cmp_ge_i32_e64 s[10:11], v47, v45
	s_or_b64 s[14:15], s[10:11], s[14:15]
	s_andn2_b64 exec, exec, s[14:15]
	s_cbranch_execnz .LBB85_40
; %bb.41:                               ;   in Loop: Header=BB85_2 Depth=1
	s_or_b64 exec, exec, s[14:15]
.LBB85_42:                              ;   in Loop: Header=BB85_2 Depth=1
	s_or_b64 exec, exec, s[12:13]
	v_add_u32_e32 v45, v47, v3
	v_sub_u32_e32 v51, v31, v47
	ds_read_u8 v46, v45
	ds_read_u8 v48, v51 offset:24
	v_sub_u32_e32 v47, v32, v47
	v_cmp_le_i32_e64 s[12:13], v13, v45
	v_cmp_gt_i32_e64 s[10:11], v12, v47
                                        ; implicit-def: $vgpr49
	s_waitcnt lgkmcnt(0)
	v_cmp_lt_u16_sdwa s[14:15], v48, v46 src0_sel:BYTE_0 src1_sel:BYTE_0
	s_or_b64 s[12:13], s[12:13], s[14:15]
	s_and_b64 s[10:11], s[10:11], s[12:13]
	s_xor_b64 s[12:13], s[10:11], -1
	s_and_saveexec_b64 s[14:15], s[12:13]
	s_xor_b64 s[12:13], exec, s[14:15]
; %bb.43:                               ;   in Loop: Header=BB85_2 Depth=1
	ds_read_u8 v49, v45 offset:1
                                        ; implicit-def: $vgpr51
; %bb.44:                               ;   in Loop: Header=BB85_2 Depth=1
	s_or_saveexec_b64 s[12:13], s[12:13]
	v_mov_b32_e32 v50, v48
	s_xor_b64 exec, exec, s[12:13]
	s_cbranch_execz .LBB85_46
; %bb.45:                               ;   in Loop: Header=BB85_2 Depth=1
	ds_read_u8 v50, v51 offset:25
	s_waitcnt lgkmcnt(1)
	v_mov_b32_e32 v49, v46
.LBB85_46:                              ;   in Loop: Header=BB85_2 Depth=1
	s_or_b64 exec, exec, s[12:13]
	v_add_u32_e32 v52, 1, v45
	v_add_u32_e32 v51, 1, v47
	v_cndmask_b32_e64 v52, v52, v45, s[10:11]
	v_cndmask_b32_e64 v51, v47, v51, s[10:11]
	v_cmp_ge_i32_e64 s[14:15], v52, v13
	s_waitcnt lgkmcnt(0)
	v_cmp_lt_u16_sdwa s[16:17], v50, v49 src0_sel:BYTE_0 src1_sel:BYTE_0
	v_cmp_lt_i32_e64 s[12:13], v51, v12
	s_or_b64 s[14:15], s[14:15], s[16:17]
	s_and_b64 s[12:13], s[12:13], s[14:15]
	s_xor_b64 s[14:15], s[12:13], -1
                                        ; implicit-def: $vgpr53
	s_and_saveexec_b64 s[16:17], s[14:15]
	s_xor_b64 s[14:15], exec, s[16:17]
; %bb.47:                               ;   in Loop: Header=BB85_2 Depth=1
	ds_read_u8 v53, v52 offset:1
; %bb.48:                               ;   in Loop: Header=BB85_2 Depth=1
	s_or_saveexec_b64 s[14:15], s[14:15]
	v_mov_b32_e32 v54, v50
	s_xor_b64 exec, exec, s[14:15]
	s_cbranch_execz .LBB85_50
; %bb.49:                               ;   in Loop: Header=BB85_2 Depth=1
	ds_read_u8 v54, v51 offset:1
	s_waitcnt lgkmcnt(1)
	v_mov_b32_e32 v53, v49
.LBB85_50:                              ;   in Loop: Header=BB85_2 Depth=1
	s_or_b64 exec, exec, s[14:15]
	v_add_u32_e32 v55, 1, v52
	v_cndmask_b32_e64 v49, v49, v50, s[12:13]
	v_add_u32_e32 v50, 1, v51
	v_cndmask_b32_e64 v55, v55, v52, s[12:13]
	v_cndmask_b32_e64 v50, v51, v50, s[12:13]
	;; [unrolled: 1-line block ×3, first 2 shown]
	v_cmp_ge_i32_e64 s[12:13], v55, v13
	s_waitcnt lgkmcnt(0)
	v_cmp_lt_u16_sdwa s[14:15], v54, v53 src0_sel:BYTE_0 src1_sel:BYTE_0
	v_cndmask_b32_e64 v46, v46, v48, s[10:11]
	v_cndmask_b32_e64 v45, v45, v47, s[10:11]
	v_cmp_lt_i32_e64 s[10:11], v50, v12
	s_or_b64 s[12:13], s[12:13], s[14:15]
	s_and_b64 s[10:11], s[10:11], s[12:13]
	v_cndmask_b32_e64 v48, v55, v50, s[10:11]
	; wave barrier
	ds_write_b8 v36, v42
	ds_write_b8 v36, v44 offset:1
	ds_write_b8 v36, v43 offset:2
	s_waitcnt lgkmcnt(0)
	; wave barrier
	ds_read_u8 v42, v45
	ds_read_u8 v43, v48
	;; [unrolled: 1-line block ×3, first 2 shown]
	v_cndmask_b32_e64 v47, v53, v54, s[10:11]
	s_waitcnt lgkmcnt(0)
	; wave barrier
	ds_write_b8 v36, v46
	ds_write_b8 v36, v49 offset:1
	ds_write_b8 v36, v47 offset:2
	v_mov_b32_e32 v47, v33
	s_waitcnt lgkmcnt(0)
	; wave barrier
	s_and_saveexec_b64 s[12:13], s[6:7]
	s_cbranch_execz .LBB85_54
; %bb.51:                               ;   in Loop: Header=BB85_2 Depth=1
	s_mov_b64 s[14:15], 0
	v_mov_b32_e32 v47, v33
	v_mov_b32_e32 v45, v21
.LBB85_52:                              ;   Parent Loop BB85_2 Depth=1
                                        ; =>  This Inner Loop Header: Depth=2
	v_sub_u32_e32 v46, v45, v47
	v_lshrrev_b32_e32 v46, 1, v46
	v_add_u32_e32 v46, v46, v47
	v_add_u32_e32 v48, v4, v46
	v_xad_u32 v49, v46, -1, v34
	ds_read_u8 v48, v48
	ds_read_u8 v49, v49 offset:48
	v_add_u32_e32 v50, 1, v46
	s_waitcnt lgkmcnt(0)
	v_cmp_lt_u16_e64 s[10:11], v49, v48
	v_cndmask_b32_e64 v45, v45, v46, s[10:11]
	v_cndmask_b32_e64 v47, v50, v47, s[10:11]
	v_cmp_ge_i32_e64 s[10:11], v47, v45
	s_or_b64 s[14:15], s[10:11], s[14:15]
	s_andn2_b64 exec, exec, s[14:15]
	s_cbranch_execnz .LBB85_52
; %bb.53:                               ;   in Loop: Header=BB85_2 Depth=1
	s_or_b64 exec, exec, s[14:15]
.LBB85_54:                              ;   in Loop: Header=BB85_2 Depth=1
	s_or_b64 exec, exec, s[12:13]
	v_add_u32_e32 v45, v47, v4
	v_sub_u32_e32 v51, v34, v47
	ds_read_u8 v46, v45
	ds_read_u8 v48, v51 offset:48
	v_sub_u32_e32 v47, v35, v47
	v_cmp_le_i32_e64 s[12:13], v15, v45
	v_cmp_gt_i32_e64 s[10:11], v14, v47
                                        ; implicit-def: $vgpr49
	s_waitcnt lgkmcnt(0)
	v_cmp_lt_u16_sdwa s[14:15], v48, v46 src0_sel:BYTE_0 src1_sel:BYTE_0
	s_or_b64 s[12:13], s[12:13], s[14:15]
	s_and_b64 s[10:11], s[10:11], s[12:13]
	s_xor_b64 s[12:13], s[10:11], -1
	s_and_saveexec_b64 s[14:15], s[12:13]
	s_xor_b64 s[12:13], exec, s[14:15]
; %bb.55:                               ;   in Loop: Header=BB85_2 Depth=1
	ds_read_u8 v49, v45 offset:1
                                        ; implicit-def: $vgpr51
; %bb.56:                               ;   in Loop: Header=BB85_2 Depth=1
	s_or_saveexec_b64 s[12:13], s[12:13]
	v_mov_b32_e32 v50, v48
	s_xor_b64 exec, exec, s[12:13]
	s_cbranch_execz .LBB85_58
; %bb.57:                               ;   in Loop: Header=BB85_2 Depth=1
	ds_read_u8 v50, v51 offset:49
	s_waitcnt lgkmcnt(1)
	v_mov_b32_e32 v49, v46
.LBB85_58:                              ;   in Loop: Header=BB85_2 Depth=1
	s_or_b64 exec, exec, s[12:13]
	v_add_u32_e32 v52, 1, v45
	v_add_u32_e32 v51, 1, v47
	v_cndmask_b32_e64 v52, v52, v45, s[10:11]
	v_cndmask_b32_e64 v51, v47, v51, s[10:11]
	v_cmp_ge_i32_e64 s[14:15], v52, v15
	s_waitcnt lgkmcnt(0)
	v_cmp_lt_u16_sdwa s[16:17], v50, v49 src0_sel:BYTE_0 src1_sel:BYTE_0
	v_cmp_lt_i32_e64 s[12:13], v51, v14
	s_or_b64 s[14:15], s[14:15], s[16:17]
	s_and_b64 s[12:13], s[12:13], s[14:15]
	s_xor_b64 s[14:15], s[12:13], -1
                                        ; implicit-def: $vgpr53
	s_and_saveexec_b64 s[16:17], s[14:15]
	s_xor_b64 s[14:15], exec, s[16:17]
; %bb.59:                               ;   in Loop: Header=BB85_2 Depth=1
	ds_read_u8 v53, v52 offset:1
; %bb.60:                               ;   in Loop: Header=BB85_2 Depth=1
	s_or_saveexec_b64 s[14:15], s[14:15]
	v_mov_b32_e32 v54, v50
	s_xor_b64 exec, exec, s[14:15]
	s_cbranch_execz .LBB85_62
; %bb.61:                               ;   in Loop: Header=BB85_2 Depth=1
	ds_read_u8 v54, v51 offset:1
	s_waitcnt lgkmcnt(1)
	v_mov_b32_e32 v53, v49
.LBB85_62:                              ;   in Loop: Header=BB85_2 Depth=1
	s_or_b64 exec, exec, s[14:15]
	v_add_u32_e32 v55, 1, v52
	v_cndmask_b32_e64 v49, v49, v50, s[12:13]
	v_add_u32_e32 v50, 1, v51
	v_cndmask_b32_e64 v55, v55, v52, s[12:13]
	v_cndmask_b32_e64 v50, v51, v50, s[12:13]
	;; [unrolled: 1-line block ×3, first 2 shown]
	v_cmp_ge_i32_e64 s[12:13], v55, v15
	s_waitcnt lgkmcnt(0)
	v_cmp_lt_u16_sdwa s[14:15], v54, v53 src0_sel:BYTE_0 src1_sel:BYTE_0
	v_cndmask_b32_e64 v46, v46, v48, s[10:11]
	v_cndmask_b32_e64 v45, v45, v47, s[10:11]
	v_cmp_lt_i32_e64 s[10:11], v50, v14
	s_or_b64 s[12:13], s[12:13], s[14:15]
	s_and_b64 s[10:11], s[10:11], s[12:13]
	v_cndmask_b32_e64 v48, v55, v50, s[10:11]
	; wave barrier
	ds_write_b8 v36, v42
	ds_write_b8 v36, v44 offset:1
	ds_write_b8 v36, v43 offset:2
	s_waitcnt lgkmcnt(0)
	; wave barrier
	ds_read_u8 v42, v45
	ds_read_u8 v43, v48
	;; [unrolled: 1-line block ×3, first 2 shown]
	v_mov_b32_e32 v45, v38
	v_cndmask_b32_e64 v47, v53, v54, s[10:11]
	s_waitcnt lgkmcnt(0)
	; wave barrier
	ds_write_b8 v36, v46
	ds_write_b8 v36, v49 offset:1
	ds_write_b8 v36, v47 offset:2
	s_waitcnt lgkmcnt(0)
	; wave barrier
	s_and_saveexec_b64 s[12:13], s[8:9]
	s_cbranch_execz .LBB85_66
; %bb.63:                               ;   in Loop: Header=BB85_2 Depth=1
	s_mov_b64 s[14:15], 0
	v_mov_b32_e32 v45, v38
	v_mov_b32_e32 v46, v39
.LBB85_64:                              ;   Parent Loop BB85_2 Depth=1
                                        ; =>  This Inner Loop Header: Depth=2
	v_sub_u32_e32 v47, v46, v45
	v_lshrrev_b32_e32 v47, 1, v47
	v_add_u32_e32 v47, v47, v45
	v_xad_u32 v48, v47, -1, v36
	ds_read_u8 v49, v47
	ds_read_u8 v48, v48 offset:96
	v_add_u32_e32 v50, 1, v47
	s_waitcnt lgkmcnt(0)
	v_cmp_lt_u16_e64 s[10:11], v48, v49
	v_cndmask_b32_e64 v46, v46, v47, s[10:11]
	v_cndmask_b32_e64 v45, v50, v45, s[10:11]
	v_cmp_ge_i32_e64 s[10:11], v45, v46
	s_or_b64 s[14:15], s[10:11], s[14:15]
	s_andn2_b64 exec, exec, s[14:15]
	s_cbranch_execnz .LBB85_64
; %bb.65:                               ;   in Loop: Header=BB85_2 Depth=1
	s_or_b64 exec, exec, s[14:15]
.LBB85_66:                              ;   in Loop: Header=BB85_2 Depth=1
	s_or_b64 exec, exec, s[12:13]
	v_sub_u32_e32 v51, v36, v45
	ds_read_u8 v47, v45
	ds_read_u8 v48, v51 offset:96
	v_sub_u32_e32 v46, v40, v45
	v_cmp_le_i32_e64 s[12:13], v37, v45
	v_cmp_gt_i32_e64 s[10:11], s26, v46
                                        ; implicit-def: $vgpr49
	s_waitcnt lgkmcnt(0)
	v_cmp_lt_u16_sdwa s[14:15], v48, v47 src0_sel:BYTE_0 src1_sel:BYTE_0
	s_or_b64 s[12:13], s[12:13], s[14:15]
	s_and_b64 s[10:11], s[10:11], s[12:13]
	s_xor_b64 s[12:13], s[10:11], -1
	s_and_saveexec_b64 s[14:15], s[12:13]
	s_xor_b64 s[12:13], exec, s[14:15]
; %bb.67:                               ;   in Loop: Header=BB85_2 Depth=1
	ds_read_u8 v49, v45 offset:1
                                        ; implicit-def: $vgpr51
; %bb.68:                               ;   in Loop: Header=BB85_2 Depth=1
	s_or_saveexec_b64 s[12:13], s[12:13]
	v_mov_b32_e32 v50, v48
	s_xor_b64 exec, exec, s[12:13]
	s_cbranch_execz .LBB85_70
; %bb.69:                               ;   in Loop: Header=BB85_2 Depth=1
	ds_read_u8 v50, v51 offset:97
	s_waitcnt lgkmcnt(1)
	v_mov_b32_e32 v49, v47
.LBB85_70:                              ;   in Loop: Header=BB85_2 Depth=1
	s_or_b64 exec, exec, s[12:13]
	v_add_u32_e32 v52, 1, v45
	v_add_u32_e32 v51, 1, v46
	v_cndmask_b32_e64 v55, v52, v45, s[10:11]
	v_cndmask_b32_e64 v51, v46, v51, s[10:11]
	v_cmp_ge_i32_e64 s[14:15], v55, v37
	s_waitcnt lgkmcnt(0)
	v_cmp_lt_u16_sdwa s[16:17], v50, v49 src0_sel:BYTE_0 src1_sel:BYTE_0
	v_cmp_gt_i32_e64 s[12:13], s26, v51
	s_or_b64 s[14:15], s[14:15], s[16:17]
	s_and_b64 s[12:13], s[12:13], s[14:15]
	s_xor_b64 s[14:15], s[12:13], -1
                                        ; implicit-def: $vgpr54
                                        ; implicit-def: $vgpr52
	s_and_saveexec_b64 s[16:17], s[14:15]
	s_xor_b64 s[14:15], exec, s[16:17]
; %bb.71:                               ;   in Loop: Header=BB85_2 Depth=1
	ds_read_u8 v54, v55 offset:1
	v_add_u32_e32 v52, 1, v55
; %bb.72:                               ;   in Loop: Header=BB85_2 Depth=1
	s_or_saveexec_b64 s[14:15], s[14:15]
	v_mov_b32_e32 v53, v55
	v_mov_b32_e32 v56, v50
	s_xor_b64 exec, exec, s[14:15]
	s_cbranch_execz .LBB85_1
; %bb.73:                               ;   in Loop: Header=BB85_2 Depth=1
	ds_read_u8 v56, v51 offset:1
	s_waitcnt lgkmcnt(1)
	v_add_u32_e32 v54, 1, v51
	v_mov_b32_e32 v53, v51
	v_mov_b32_e32 v52, v55
	;; [unrolled: 1-line block ×4, first 2 shown]
	s_branch .LBB85_1
.LBB85_74:
	s_add_u32 s0, s22, s24
	s_addc_u32 s1, s23, 0
	v_mov_b32_e32 v1, s1
	v_add_co_u32_e32 v0, vcc, s0, v0
	s_waitcnt lgkmcnt(2)
	v_add_u16_e32 v2, v47, v43
	v_addc_co_u32_e32 v1, vcc, 0, v1, vcc
	s_waitcnt lgkmcnt(1)
	v_add_u16_e32 v3, v48, v44
	s_waitcnt lgkmcnt(0)
	v_add_u16_e32 v4, v46, v42
	global_store_byte v[0:1], v2, off
	global_store_byte v[0:1], v3, off offset:64
	global_store_byte v[0:1], v4, off offset:128
	s_endpgm
	.section	.rodata,"a",@progbits
	.p2align	6, 0x0
	.amdhsa_kernel _Z17sort_pairs_kernelIhLj64ELj3EN10test_utils4lessELj10EEvPKT_PS2_T2_
		.amdhsa_group_segment_fixed_size 193
		.amdhsa_private_segment_fixed_size 0
		.amdhsa_kernarg_size 20
		.amdhsa_user_sgpr_count 6
		.amdhsa_user_sgpr_private_segment_buffer 1
		.amdhsa_user_sgpr_dispatch_ptr 0
		.amdhsa_user_sgpr_queue_ptr 0
		.amdhsa_user_sgpr_kernarg_segment_ptr 1
		.amdhsa_user_sgpr_dispatch_id 0
		.amdhsa_user_sgpr_flat_scratch_init 0
		.amdhsa_user_sgpr_private_segment_size 0
		.amdhsa_uses_dynamic_stack 0
		.amdhsa_system_sgpr_private_segment_wavefront_offset 0
		.amdhsa_system_sgpr_workgroup_id_x 1
		.amdhsa_system_sgpr_workgroup_id_y 0
		.amdhsa_system_sgpr_workgroup_id_z 0
		.amdhsa_system_sgpr_workgroup_info 0
		.amdhsa_system_vgpr_workitem_id 0
		.amdhsa_next_free_vgpr 57
		.amdhsa_next_free_sgpr 38
		.amdhsa_reserve_vcc 1
		.amdhsa_reserve_flat_scratch 0
		.amdhsa_float_round_mode_32 0
		.amdhsa_float_round_mode_16_64 0
		.amdhsa_float_denorm_mode_32 3
		.amdhsa_float_denorm_mode_16_64 3
		.amdhsa_dx10_clamp 1
		.amdhsa_ieee_mode 1
		.amdhsa_fp16_overflow 0
		.amdhsa_exception_fp_ieee_invalid_op 0
		.amdhsa_exception_fp_denorm_src 0
		.amdhsa_exception_fp_ieee_div_zero 0
		.amdhsa_exception_fp_ieee_overflow 0
		.amdhsa_exception_fp_ieee_underflow 0
		.amdhsa_exception_fp_ieee_inexact 0
		.amdhsa_exception_int_div_zero 0
	.end_amdhsa_kernel
	.section	.text._Z17sort_pairs_kernelIhLj64ELj3EN10test_utils4lessELj10EEvPKT_PS2_T2_,"axG",@progbits,_Z17sort_pairs_kernelIhLj64ELj3EN10test_utils4lessELj10EEvPKT_PS2_T2_,comdat
.Lfunc_end85:
	.size	_Z17sort_pairs_kernelIhLj64ELj3EN10test_utils4lessELj10EEvPKT_PS2_T2_, .Lfunc_end85-_Z17sort_pairs_kernelIhLj64ELj3EN10test_utils4lessELj10EEvPKT_PS2_T2_
                                        ; -- End function
	.set _Z17sort_pairs_kernelIhLj64ELj3EN10test_utils4lessELj10EEvPKT_PS2_T2_.num_vgpr, 57
	.set _Z17sort_pairs_kernelIhLj64ELj3EN10test_utils4lessELj10EEvPKT_PS2_T2_.num_agpr, 0
	.set _Z17sort_pairs_kernelIhLj64ELj3EN10test_utils4lessELj10EEvPKT_PS2_T2_.numbered_sgpr, 38
	.set _Z17sort_pairs_kernelIhLj64ELj3EN10test_utils4lessELj10EEvPKT_PS2_T2_.num_named_barrier, 0
	.set _Z17sort_pairs_kernelIhLj64ELj3EN10test_utils4lessELj10EEvPKT_PS2_T2_.private_seg_size, 0
	.set _Z17sort_pairs_kernelIhLj64ELj3EN10test_utils4lessELj10EEvPKT_PS2_T2_.uses_vcc, 1
	.set _Z17sort_pairs_kernelIhLj64ELj3EN10test_utils4lessELj10EEvPKT_PS2_T2_.uses_flat_scratch, 0
	.set _Z17sort_pairs_kernelIhLj64ELj3EN10test_utils4lessELj10EEvPKT_PS2_T2_.has_dyn_sized_stack, 0
	.set _Z17sort_pairs_kernelIhLj64ELj3EN10test_utils4lessELj10EEvPKT_PS2_T2_.has_recursion, 0
	.set _Z17sort_pairs_kernelIhLj64ELj3EN10test_utils4lessELj10EEvPKT_PS2_T2_.has_indirect_call, 0
	.section	.AMDGPU.csdata,"",@progbits
; Kernel info:
; codeLenInByte = 4368
; TotalNumSgprs: 42
; NumVgprs: 57
; ScratchSize: 0
; MemoryBound: 0
; FloatMode: 240
; IeeeMode: 1
; LDSByteSize: 193 bytes/workgroup (compile time only)
; SGPRBlocks: 5
; VGPRBlocks: 14
; NumSGPRsForWavesPerEU: 42
; NumVGPRsForWavesPerEU: 57
; Occupancy: 4
; WaveLimiterHint : 0
; COMPUTE_PGM_RSRC2:SCRATCH_EN: 0
; COMPUTE_PGM_RSRC2:USER_SGPR: 6
; COMPUTE_PGM_RSRC2:TRAP_HANDLER: 0
; COMPUTE_PGM_RSRC2:TGID_X_EN: 1
; COMPUTE_PGM_RSRC2:TGID_Y_EN: 0
; COMPUTE_PGM_RSRC2:TGID_Z_EN: 0
; COMPUTE_PGM_RSRC2:TIDIG_COMP_CNT: 0
	.section	.text._Z16sort_keys_kernelIhLj64ELj4EN10test_utils4lessELj10EEvPKT_PS2_T2_,"axG",@progbits,_Z16sort_keys_kernelIhLj64ELj4EN10test_utils4lessELj10EEvPKT_PS2_T2_,comdat
	.protected	_Z16sort_keys_kernelIhLj64ELj4EN10test_utils4lessELj10EEvPKT_PS2_T2_ ; -- Begin function _Z16sort_keys_kernelIhLj64ELj4EN10test_utils4lessELj10EEvPKT_PS2_T2_
	.globl	_Z16sort_keys_kernelIhLj64ELj4EN10test_utils4lessELj10EEvPKT_PS2_T2_
	.p2align	8
	.type	_Z16sort_keys_kernelIhLj64ELj4EN10test_utils4lessELj10EEvPKT_PS2_T2_,@function
_Z16sort_keys_kernelIhLj64ELj4EN10test_utils4lessELj10EEvPKT_PS2_T2_: ; @_Z16sort_keys_kernelIhLj64ELj4EN10test_utils4lessELj10EEvPKT_PS2_T2_
; %bb.0:
	s_load_dwordx4 s[16:19], s[4:5], 0x0
	s_lshl_b32 s20, s6, 8
	v_lshlrev_b32_e32 v2, 2, v0
	v_and_b32_e32 v3, 0xf8, v2
	v_and_b32_e32 v6, 0xc0, v2
	s_waitcnt lgkmcnt(0)
	s_add_u32 s0, s16, s20
	s_addc_u32 s1, s17, 0
	global_load_ubyte v35, v0, s[0:1] offset:64
	global_load_ubyte v36, v0, s[0:1] offset:128
	;; [unrolled: 1-line block ×3, first 2 shown]
	global_load_ubyte v38, v0, s[0:1]
	v_or_b32_e32 v10, 4, v3
	v_add_u32_e32 v11, 8, v3
	v_and_b32_e32 v25, 4, v2
	v_and_b32_e32 v4, 0xf0, v2
	;; [unrolled: 1-line block ×4, first 2 shown]
	v_or_b32_e32 v16, 32, v6
	v_add_u32_e32 v17, 64, v6
	v_sub_u32_e32 v24, v11, v10
	v_and_b32_e32 v33, 60, v2
	v_or_b32_e32 v12, 8, v4
	v_add_u32_e32 v13, 16, v4
	v_or_b32_e32 v14, 16, v5
	v_add_u32_e32 v15, 32, v5
	;; [unrolled: 2-line block ×3, first 2 shown]
	v_sub_u32_e32 v39, v17, v16
	v_sub_u32_e32 v30, v10, v3
	;; [unrolled: 1-line block ×3, first 2 shown]
	v_cmp_ge_i32_e64 s[0:1], v25, v24
	v_and_b32_e32 v26, 12, v2
	v_and_b32_e32 v27, 28, v2
	;; [unrolled: 1-line block ×3, first 2 shown]
	v_sub_u32_e32 v28, v13, v12
	v_sub_u32_e32 v29, v15, v14
	;; [unrolled: 1-line block ×3, first 2 shown]
	v_add_u32_e32 v20, v10, v25
	v_sub_u32_e32 v41, v16, v6
	v_min_i32_e32 v25, v25, v30
	v_sub_u32_e32 v46, v33, v39
	v_cndmask_b32_e64 v30, 0, v43, s[0:1]
	v_cmp_ge_i32_e64 s[0:1], v33, v39
	s_mov_b32 s10, 0xc0c0004
	v_mov_b32_e32 v1, 0x80
	v_sub_u32_e32 v31, v12, v4
	v_sub_u32_e32 v32, v14, v5
	v_add_u32_e32 v23, v16, v33
	v_sub_u32_e32 v42, v18, v7
	v_sub_u32_e32 v44, v26, v28
	v_cmp_ge_i32_e64 s[2:3], v26, v28
	v_sub_u32_e32 v45, v27, v29
	v_cmp_ge_i32_e64 s[4:5], v27, v29
	v_sub_u32_e32 v47, v34, v40
	v_min_i32_e32 v28, v33, v41
	v_cndmask_b32_e64 v33, 0, v46, s[0:1]
	v_cmp_ge_i32_e64 s[0:1], v34, v40
	v_sub_u32_e64 v8, v2, v1 clamp
	v_min_i32_e32 v9, 0x80, v2
	v_add_u32_e32 v21, v12, v26
	v_add_u32_e32 v22, v14, v27
	;; [unrolled: 1-line block ×3, first 2 shown]
	v_min_i32_e32 v26, v26, v31
	v_min_i32_e32 v27, v27, v32
	;; [unrolled: 1-line block ×3, first 2 shown]
	v_cndmask_b32_e64 v31, 0, v44, s[2:3]
	v_cndmask_b32_e64 v32, 0, v45, s[4:5]
	;; [unrolled: 1-line block ×3, first 2 shown]
	s_mov_b32 s21, 0
	s_mov_b32 s22, 0x7060405
	;; [unrolled: 1-line block ×4, first 2 shown]
	s_movk_i32 s25, 0xff00
	s_mov_b32 s26, 0xffff0000
	s_movk_i32 s27, 0x100
	v_cmp_lt_i32_e32 vcc, v8, v9
	v_cmp_lt_i32_e64 s[0:1], v30, v25
	v_cmp_lt_i32_e64 s[2:3], v31, v26
	v_cmp_lt_i32_e64 s[4:5], v32, v27
	v_cmp_lt_i32_e64 s[6:7], v33, v28
	v_cmp_lt_i32_e64 s[8:9], v34, v29
	s_waitcnt vmcnt(1)
	v_perm_b32 v36, v36, v37, s10
	s_waitcnt vmcnt(0)
	v_perm_b32 v35, v38, v35, s10
	v_lshl_or_b32 v40, v36, 16, v35
	v_add_u32_e32 v35, 0x80, v2
	s_branch .LBB86_2
.LBB86_1:                               ;   in Loop: Header=BB86_2 Depth=1
	s_or_b64 exec, exec, s[16:17]
	v_cndmask_b32_e64 v36, v36, v37, s[10:11]
	v_cndmask_b32_e64 v37, v38, v39, s[12:13]
	;; [unrolled: 1-line block ×3, first 2 shown]
	v_cmp_ge_i32_e64 s[12:13], v44, v1
	s_waitcnt lgkmcnt(0)
	v_cmp_lt_u16_sdwa s[14:15], v46, v43 src0_sel:BYTE_0 src1_sel:BYTE_0
	v_cmp_gt_i32_e64 s[10:11], s27, v42
	s_or_b64 s[12:13], s[12:13], s[14:15]
	s_and_b64 s[10:11], s[10:11], s[12:13]
	v_cndmask_b32_e64 v39, v43, v46, s[10:11]
	v_lshlrev_b16_e32 v40, 8, v37
	v_lshlrev_b16_e32 v41, 8, v39
	v_or_b32_sdwa v40, v36, v40 dst_sel:DWORD dst_unused:UNUSED_PAD src0_sel:BYTE_0 src1_sel:DWORD
	v_or_b32_sdwa v41, v38, v41 dst_sel:WORD_1 dst_unused:UNUSED_PAD src0_sel:BYTE_0 src1_sel:DWORD
	s_add_i32 s21, s21, 1
	s_cmp_eq_u32 s21, 10
	v_or_b32_sdwa v40, v40, v41 dst_sel:DWORD dst_unused:UNUSED_PAD src0_sel:WORD_0 src1_sel:DWORD
	s_cbranch_scc1 .LBB86_98
.LBB86_2:                               ; =>This Loop Header: Depth=1
                                        ;     Child Loop BB86_4 Depth 2
                                        ;     Child Loop BB86_20 Depth 2
	;; [unrolled: 1-line block ×6, first 2 shown]
	v_lshrrev_b32_e32 v37, 8, v40
	v_perm_b32 v36, v40, v40, s22
	v_cmp_lt_u16_sdwa s[10:11], v37, v40 src0_sel:BYTE_0 src1_sel:BYTE_0
	v_cndmask_b32_e64 v36, v40, v36, s[10:11]
	v_lshrrev_b32_e32 v38, 16, v36
	v_perm_b32 v39, 0, v38, s23
	v_lshlrev_b32_e32 v39, 16, v39
	v_and_or_b32 v39, v36, s24, v39
	v_cmp_lt_u16_sdwa s[10:11], v36, v38 src0_sel:BYTE_3 src1_sel:BYTE_0
	v_cndmask_b32_e64 v39, v36, v39, s[10:11]
	v_max_u16_sdwa v42, v36, v38 dst_sel:DWORD dst_unused:UNUSED_PAD src0_sel:BYTE_3 src1_sel:BYTE_0
	v_min_u16_sdwa v36, v36, v38 dst_sel:DWORD dst_unused:UNUSED_PAD src0_sel:BYTE_3 src1_sel:BYTE_0
	v_min_u16_sdwa v41, v37, v40 dst_sel:DWORD dst_unused:UNUSED_PAD src0_sel:BYTE_0 src1_sel:BYTE_0
	v_max_u16_sdwa v37, v37, v40 dst_sel:DWORD dst_unused:UNUSED_PAD src0_sel:BYTE_0 src1_sel:BYTE_0
	v_and_b32_sdwa v40, v39, s25 dst_sel:DWORD dst_unused:UNUSED_PAD src0_sel:WORD_1 src1_sel:DWORD
	v_lshlrev_b16_e32 v38, 8, v36
	v_or_b32_sdwa v40, v37, v40 dst_sel:WORD_1 dst_unused:UNUSED_PAD src0_sel:DWORD src1_sel:DWORD
	v_or_b32_sdwa v38, v39, v38 dst_sel:DWORD dst_unused:UNUSED_PAD src0_sel:BYTE_0 src1_sel:DWORD
	v_or_b32_sdwa v38, v38, v40 dst_sel:DWORD dst_unused:UNUSED_PAD src0_sel:WORD_0 src1_sel:DWORD
	v_cmp_lt_u16_e64 s[10:11], v36, v37
	v_cndmask_b32_e64 v38, v39, v38, s[10:11]
	v_min_u16_e32 v39, v36, v37
	v_lshlrev_b16_e32 v40, 8, v41
	v_or_b32_e32 v40, v39, v40
	v_and_b32_e32 v40, 0xffff, v40
	v_and_or_b32 v40, v38, s26, v40
	v_max_u16_e32 v43, v36, v37
	v_cmp_lt_u16_e64 s[10:11], v36, v41
	v_cndmask_b32_e64 v36, v38, v40, s[10:11]
	v_cndmask_b32_e64 v38, v39, v41, s[10:11]
	v_lshlrev_b16_e32 v39, 8, v43
	v_or_b32_sdwa v39, v42, v39 dst_sel:WORD_1 dst_unused:UNUSED_PAD src0_sel:DWORD src1_sel:DWORD
	v_and_or_b32 v39, v36, s24, v39
	v_cmp_gt_u16_e64 s[10:11], v37, v42
	v_cndmask_b32_e64 v36, v36, v39, s[10:11]
	v_cndmask_b32_e64 v39, v43, v42, s[10:11]
	v_and_b32_sdwa v37, v36, s25 dst_sel:DWORD dst_unused:UNUSED_PAD src0_sel:WORD_1 src1_sel:DWORD
	v_lshlrev_b16_e32 v40, 8, v39
	v_or_b32_sdwa v37, v38, v37 dst_sel:WORD_1 dst_unused:UNUSED_PAD src0_sel:DWORD src1_sel:DWORD
	v_or_b32_sdwa v40, v36, v40 dst_sel:DWORD dst_unused:UNUSED_PAD src0_sel:BYTE_0 src1_sel:DWORD
	v_or_b32_sdwa v37, v40, v37 dst_sel:DWORD dst_unused:UNUSED_PAD src0_sel:WORD_0 src1_sel:DWORD
	v_cmp_lt_u16_e64 s[10:11], v39, v38
	v_cndmask_b32_e64 v36, v36, v37, s[10:11]
	; wave barrier
	ds_write_b32 v2, v36
	v_mov_b32_e32 v36, v30
	s_waitcnt lgkmcnt(0)
	; wave barrier
	s_and_saveexec_b64 s[12:13], s[0:1]
	s_cbranch_execz .LBB86_6
; %bb.3:                                ;   in Loop: Header=BB86_2 Depth=1
	s_mov_b64 s[14:15], 0
	v_mov_b32_e32 v36, v30
	v_mov_b32_e32 v37, v25
.LBB86_4:                               ;   Parent Loop BB86_2 Depth=1
                                        ; =>  This Inner Loop Header: Depth=2
	v_sub_u32_e32 v38, v37, v36
	v_lshrrev_b32_e32 v38, 1, v38
	v_add_u32_e32 v38, v38, v36
	v_add_u32_e32 v39, v3, v38
	v_xad_u32 v40, v38, -1, v20
	ds_read_u8 v39, v39
	ds_read_u8 v40, v40
	v_add_u32_e32 v41, 1, v38
	s_waitcnt lgkmcnt(0)
	v_cmp_lt_u16_e64 s[10:11], v40, v39
	v_cndmask_b32_e64 v37, v37, v38, s[10:11]
	v_cndmask_b32_e64 v36, v41, v36, s[10:11]
	v_cmp_ge_i32_e64 s[10:11], v36, v37
	s_or_b64 s[14:15], s[10:11], s[14:15]
	s_andn2_b64 exec, exec, s[14:15]
	s_cbranch_execnz .LBB86_4
; %bb.5:                                ;   in Loop: Header=BB86_2 Depth=1
	s_or_b64 exec, exec, s[14:15]
.LBB86_6:                               ;   in Loop: Header=BB86_2 Depth=1
	s_or_b64 exec, exec, s[12:13]
	v_add_u32_e32 v40, v36, v3
	v_sub_u32_e32 v41, v20, v36
	ds_read_u8 v36, v40
	ds_read_u8 v37, v41
	v_cmp_le_i32_e64 s[12:13], v10, v40
	v_cmp_gt_i32_e64 s[10:11], v11, v41
                                        ; implicit-def: $vgpr38
	s_waitcnt lgkmcnt(0)
	v_cmp_lt_u16_sdwa s[14:15], v37, v36 src0_sel:BYTE_0 src1_sel:BYTE_0
	s_or_b64 s[12:13], s[12:13], s[14:15]
	s_and_b64 s[10:11], s[10:11], s[12:13]
	s_xor_b64 s[12:13], s[10:11], -1
	s_and_saveexec_b64 s[14:15], s[12:13]
	s_xor_b64 s[12:13], exec, s[14:15]
; %bb.7:                                ;   in Loop: Header=BB86_2 Depth=1
	ds_read_u8 v38, v40 offset:1
; %bb.8:                                ;   in Loop: Header=BB86_2 Depth=1
	s_or_saveexec_b64 s[12:13], s[12:13]
	v_mov_b32_e32 v39, v37
	s_xor_b64 exec, exec, s[12:13]
	s_cbranch_execz .LBB86_10
; %bb.9:                                ;   in Loop: Header=BB86_2 Depth=1
	ds_read_u8 v39, v41 offset:1
	s_waitcnt lgkmcnt(1)
	v_mov_b32_e32 v38, v36
.LBB86_10:                              ;   in Loop: Header=BB86_2 Depth=1
	s_or_b64 exec, exec, s[12:13]
	v_add_u32_e32 v43, 1, v40
	v_add_u32_e32 v42, 1, v41
	v_cndmask_b32_e64 v43, v43, v40, s[10:11]
	v_cndmask_b32_e64 v42, v41, v42, s[10:11]
	v_cmp_ge_i32_e64 s[14:15], v43, v10
	s_waitcnt lgkmcnt(0)
	v_cmp_lt_u16_sdwa s[16:17], v39, v38 src0_sel:BYTE_0 src1_sel:BYTE_0
	v_cmp_lt_i32_e64 s[12:13], v42, v11
	s_or_b64 s[14:15], s[14:15], s[16:17]
	s_and_b64 s[12:13], s[12:13], s[14:15]
	s_xor_b64 s[14:15], s[12:13], -1
                                        ; implicit-def: $vgpr40
	s_and_saveexec_b64 s[16:17], s[14:15]
	s_xor_b64 s[14:15], exec, s[16:17]
; %bb.11:                               ;   in Loop: Header=BB86_2 Depth=1
	ds_read_u8 v40, v43 offset:1
; %bb.12:                               ;   in Loop: Header=BB86_2 Depth=1
	s_or_saveexec_b64 s[14:15], s[14:15]
	v_mov_b32_e32 v41, v39
	s_xor_b64 exec, exec, s[14:15]
	s_cbranch_execz .LBB86_14
; %bb.13:                               ;   in Loop: Header=BB86_2 Depth=1
	ds_read_u8 v41, v42 offset:1
	s_waitcnt lgkmcnt(1)
	v_mov_b32_e32 v40, v38
.LBB86_14:                              ;   in Loop: Header=BB86_2 Depth=1
	s_or_b64 exec, exec, s[14:15]
	v_add_u32_e32 v45, 1, v43
	v_add_u32_e32 v44, 1, v42
	v_cndmask_b32_e64 v43, v45, v43, s[12:13]
	v_cndmask_b32_e64 v42, v42, v44, s[12:13]
	v_cmp_ge_i32_e64 s[16:17], v43, v10
	s_waitcnt lgkmcnt(0)
	v_cmp_lt_u16_sdwa s[28:29], v41, v40 src0_sel:BYTE_0 src1_sel:BYTE_0
	v_cmp_lt_i32_e64 s[14:15], v42, v11
	s_or_b64 s[16:17], s[16:17], s[28:29]
	s_and_b64 s[14:15], s[14:15], s[16:17]
	s_xor_b64 s[16:17], s[14:15], -1
                                        ; implicit-def: $vgpr44
	s_and_saveexec_b64 s[28:29], s[16:17]
	s_xor_b64 s[16:17], exec, s[28:29]
; %bb.15:                               ;   in Loop: Header=BB86_2 Depth=1
	ds_read_u8 v44, v43 offset:1
; %bb.16:                               ;   in Loop: Header=BB86_2 Depth=1
	s_or_saveexec_b64 s[16:17], s[16:17]
	v_mov_b32_e32 v45, v41
	s_xor_b64 exec, exec, s[16:17]
	s_cbranch_execz .LBB86_18
; %bb.17:                               ;   in Loop: Header=BB86_2 Depth=1
	ds_read_u8 v45, v42 offset:1
	s_waitcnt lgkmcnt(1)
	v_mov_b32_e32 v44, v40
.LBB86_18:                              ;   in Loop: Header=BB86_2 Depth=1
	s_or_b64 exec, exec, s[16:17]
	v_cndmask_b32_e64 v40, v40, v41, s[14:15]
	v_add_u32_e32 v41, 1, v42
	v_add_u32_e32 v46, 1, v43
	v_cndmask_b32_e64 v41, v42, v41, s[14:15]
	v_cndmask_b32_e64 v42, v46, v43, s[14:15]
	;; [unrolled: 1-line block ×3, first 2 shown]
	v_cmp_ge_i32_e64 s[12:13], v42, v10
	s_waitcnt lgkmcnt(0)
	v_cmp_lt_u16_sdwa s[14:15], v45, v44 src0_sel:BYTE_0 src1_sel:BYTE_0
	v_cndmask_b32_e64 v36, v36, v37, s[10:11]
	v_cmp_lt_i32_e64 s[10:11], v41, v11
	s_or_b64 s[12:13], s[12:13], s[14:15]
	s_and_b64 s[10:11], s[10:11], s[12:13]
	v_cndmask_b32_e64 v37, v44, v45, s[10:11]
	; wave barrier
	ds_write_b8 v2, v36
	ds_write_b8 v2, v38 offset:1
	ds_write_b8 v2, v40 offset:2
	;; [unrolled: 1-line block ×3, first 2 shown]
	v_mov_b32_e32 v36, v31
	s_waitcnt lgkmcnt(0)
	; wave barrier
	s_and_saveexec_b64 s[12:13], s[2:3]
	s_cbranch_execz .LBB86_22
; %bb.19:                               ;   in Loop: Header=BB86_2 Depth=1
	s_mov_b64 s[14:15], 0
	v_mov_b32_e32 v36, v31
	v_mov_b32_e32 v37, v26
.LBB86_20:                              ;   Parent Loop BB86_2 Depth=1
                                        ; =>  This Inner Loop Header: Depth=2
	v_sub_u32_e32 v38, v37, v36
	v_lshrrev_b32_e32 v38, 1, v38
	v_add_u32_e32 v38, v38, v36
	v_add_u32_e32 v39, v4, v38
	v_xad_u32 v40, v38, -1, v21
	ds_read_u8 v39, v39
	ds_read_u8 v40, v40
	v_add_u32_e32 v41, 1, v38
	s_waitcnt lgkmcnt(0)
	v_cmp_lt_u16_e64 s[10:11], v40, v39
	v_cndmask_b32_e64 v37, v37, v38, s[10:11]
	v_cndmask_b32_e64 v36, v41, v36, s[10:11]
	v_cmp_ge_i32_e64 s[10:11], v36, v37
	s_or_b64 s[14:15], s[10:11], s[14:15]
	s_andn2_b64 exec, exec, s[14:15]
	s_cbranch_execnz .LBB86_20
; %bb.21:                               ;   in Loop: Header=BB86_2 Depth=1
	s_or_b64 exec, exec, s[14:15]
.LBB86_22:                              ;   in Loop: Header=BB86_2 Depth=1
	s_or_b64 exec, exec, s[12:13]
	v_add_u32_e32 v40, v36, v4
	v_sub_u32_e32 v41, v21, v36
	ds_read_u8 v36, v40
	ds_read_u8 v37, v41
	v_cmp_le_i32_e64 s[12:13], v12, v40
	v_cmp_gt_i32_e64 s[10:11], v13, v41
                                        ; implicit-def: $vgpr38
	s_waitcnt lgkmcnt(0)
	v_cmp_lt_u16_sdwa s[14:15], v37, v36 src0_sel:BYTE_0 src1_sel:BYTE_0
	s_or_b64 s[12:13], s[12:13], s[14:15]
	s_and_b64 s[10:11], s[10:11], s[12:13]
	s_xor_b64 s[12:13], s[10:11], -1
	s_and_saveexec_b64 s[14:15], s[12:13]
	s_xor_b64 s[12:13], exec, s[14:15]
; %bb.23:                               ;   in Loop: Header=BB86_2 Depth=1
	ds_read_u8 v38, v40 offset:1
; %bb.24:                               ;   in Loop: Header=BB86_2 Depth=1
	s_or_saveexec_b64 s[12:13], s[12:13]
	v_mov_b32_e32 v39, v37
	s_xor_b64 exec, exec, s[12:13]
	s_cbranch_execz .LBB86_26
; %bb.25:                               ;   in Loop: Header=BB86_2 Depth=1
	ds_read_u8 v39, v41 offset:1
	s_waitcnt lgkmcnt(1)
	v_mov_b32_e32 v38, v36
.LBB86_26:                              ;   in Loop: Header=BB86_2 Depth=1
	s_or_b64 exec, exec, s[12:13]
	v_add_u32_e32 v43, 1, v40
	v_add_u32_e32 v42, 1, v41
	v_cndmask_b32_e64 v43, v43, v40, s[10:11]
	v_cndmask_b32_e64 v42, v41, v42, s[10:11]
	v_cmp_ge_i32_e64 s[14:15], v43, v12
	s_waitcnt lgkmcnt(0)
	v_cmp_lt_u16_sdwa s[16:17], v39, v38 src0_sel:BYTE_0 src1_sel:BYTE_0
	v_cmp_lt_i32_e64 s[12:13], v42, v13
	s_or_b64 s[14:15], s[14:15], s[16:17]
	s_and_b64 s[12:13], s[12:13], s[14:15]
	s_xor_b64 s[14:15], s[12:13], -1
                                        ; implicit-def: $vgpr40
	s_and_saveexec_b64 s[16:17], s[14:15]
	s_xor_b64 s[14:15], exec, s[16:17]
; %bb.27:                               ;   in Loop: Header=BB86_2 Depth=1
	ds_read_u8 v40, v43 offset:1
; %bb.28:                               ;   in Loop: Header=BB86_2 Depth=1
	s_or_saveexec_b64 s[14:15], s[14:15]
	v_mov_b32_e32 v41, v39
	s_xor_b64 exec, exec, s[14:15]
	s_cbranch_execz .LBB86_30
; %bb.29:                               ;   in Loop: Header=BB86_2 Depth=1
	ds_read_u8 v41, v42 offset:1
	s_waitcnt lgkmcnt(1)
	v_mov_b32_e32 v40, v38
.LBB86_30:                              ;   in Loop: Header=BB86_2 Depth=1
	s_or_b64 exec, exec, s[14:15]
	v_add_u32_e32 v45, 1, v43
	v_add_u32_e32 v44, 1, v42
	v_cndmask_b32_e64 v43, v45, v43, s[12:13]
	v_cndmask_b32_e64 v42, v42, v44, s[12:13]
	v_cmp_ge_i32_e64 s[16:17], v43, v12
	s_waitcnt lgkmcnt(0)
	v_cmp_lt_u16_sdwa s[28:29], v41, v40 src0_sel:BYTE_0 src1_sel:BYTE_0
	v_cmp_lt_i32_e64 s[14:15], v42, v13
	s_or_b64 s[16:17], s[16:17], s[28:29]
	s_and_b64 s[14:15], s[14:15], s[16:17]
	s_xor_b64 s[16:17], s[14:15], -1
                                        ; implicit-def: $vgpr44
	s_and_saveexec_b64 s[28:29], s[16:17]
	s_xor_b64 s[16:17], exec, s[28:29]
; %bb.31:                               ;   in Loop: Header=BB86_2 Depth=1
	ds_read_u8 v44, v43 offset:1
; %bb.32:                               ;   in Loop: Header=BB86_2 Depth=1
	s_or_saveexec_b64 s[16:17], s[16:17]
	v_mov_b32_e32 v45, v41
	s_xor_b64 exec, exec, s[16:17]
	s_cbranch_execz .LBB86_34
; %bb.33:                               ;   in Loop: Header=BB86_2 Depth=1
	ds_read_u8 v45, v42 offset:1
	s_waitcnt lgkmcnt(1)
	v_mov_b32_e32 v44, v40
.LBB86_34:                              ;   in Loop: Header=BB86_2 Depth=1
	s_or_b64 exec, exec, s[16:17]
	v_cndmask_b32_e64 v40, v40, v41, s[14:15]
	v_add_u32_e32 v41, 1, v42
	v_add_u32_e32 v46, 1, v43
	v_cndmask_b32_e64 v41, v42, v41, s[14:15]
	v_cndmask_b32_e64 v42, v46, v43, s[14:15]
	;; [unrolled: 1-line block ×3, first 2 shown]
	v_cmp_ge_i32_e64 s[12:13], v42, v12
	s_waitcnt lgkmcnt(0)
	v_cmp_lt_u16_sdwa s[14:15], v45, v44 src0_sel:BYTE_0 src1_sel:BYTE_0
	v_cndmask_b32_e64 v36, v36, v37, s[10:11]
	v_cmp_lt_i32_e64 s[10:11], v41, v13
	s_or_b64 s[12:13], s[12:13], s[14:15]
	s_and_b64 s[10:11], s[10:11], s[12:13]
	v_cndmask_b32_e64 v37, v44, v45, s[10:11]
	; wave barrier
	ds_write_b8 v2, v36
	ds_write_b8 v2, v38 offset:1
	ds_write_b8 v2, v40 offset:2
	;; [unrolled: 1-line block ×3, first 2 shown]
	v_mov_b32_e32 v36, v32
	s_waitcnt lgkmcnt(0)
	; wave barrier
	s_and_saveexec_b64 s[12:13], s[4:5]
	s_cbranch_execz .LBB86_38
; %bb.35:                               ;   in Loop: Header=BB86_2 Depth=1
	s_mov_b64 s[14:15], 0
	v_mov_b32_e32 v36, v32
	v_mov_b32_e32 v37, v27
.LBB86_36:                              ;   Parent Loop BB86_2 Depth=1
                                        ; =>  This Inner Loop Header: Depth=2
	v_sub_u32_e32 v38, v37, v36
	v_lshrrev_b32_e32 v38, 1, v38
	v_add_u32_e32 v38, v38, v36
	v_add_u32_e32 v39, v5, v38
	v_xad_u32 v40, v38, -1, v22
	ds_read_u8 v39, v39
	ds_read_u8 v40, v40
	v_add_u32_e32 v41, 1, v38
	s_waitcnt lgkmcnt(0)
	v_cmp_lt_u16_e64 s[10:11], v40, v39
	v_cndmask_b32_e64 v37, v37, v38, s[10:11]
	v_cndmask_b32_e64 v36, v41, v36, s[10:11]
	v_cmp_ge_i32_e64 s[10:11], v36, v37
	s_or_b64 s[14:15], s[10:11], s[14:15]
	s_andn2_b64 exec, exec, s[14:15]
	s_cbranch_execnz .LBB86_36
; %bb.37:                               ;   in Loop: Header=BB86_2 Depth=1
	s_or_b64 exec, exec, s[14:15]
.LBB86_38:                              ;   in Loop: Header=BB86_2 Depth=1
	s_or_b64 exec, exec, s[12:13]
	v_add_u32_e32 v40, v36, v5
	v_sub_u32_e32 v41, v22, v36
	ds_read_u8 v36, v40
	ds_read_u8 v37, v41
	v_cmp_le_i32_e64 s[12:13], v14, v40
	v_cmp_gt_i32_e64 s[10:11], v15, v41
                                        ; implicit-def: $vgpr38
	s_waitcnt lgkmcnt(0)
	v_cmp_lt_u16_sdwa s[14:15], v37, v36 src0_sel:BYTE_0 src1_sel:BYTE_0
	s_or_b64 s[12:13], s[12:13], s[14:15]
	s_and_b64 s[10:11], s[10:11], s[12:13]
	s_xor_b64 s[12:13], s[10:11], -1
	s_and_saveexec_b64 s[14:15], s[12:13]
	s_xor_b64 s[12:13], exec, s[14:15]
; %bb.39:                               ;   in Loop: Header=BB86_2 Depth=1
	ds_read_u8 v38, v40 offset:1
; %bb.40:                               ;   in Loop: Header=BB86_2 Depth=1
	s_or_saveexec_b64 s[12:13], s[12:13]
	v_mov_b32_e32 v39, v37
	s_xor_b64 exec, exec, s[12:13]
	s_cbranch_execz .LBB86_42
; %bb.41:                               ;   in Loop: Header=BB86_2 Depth=1
	ds_read_u8 v39, v41 offset:1
	s_waitcnt lgkmcnt(1)
	v_mov_b32_e32 v38, v36
.LBB86_42:                              ;   in Loop: Header=BB86_2 Depth=1
	s_or_b64 exec, exec, s[12:13]
	v_add_u32_e32 v43, 1, v40
	v_add_u32_e32 v42, 1, v41
	v_cndmask_b32_e64 v43, v43, v40, s[10:11]
	v_cndmask_b32_e64 v42, v41, v42, s[10:11]
	v_cmp_ge_i32_e64 s[14:15], v43, v14
	s_waitcnt lgkmcnt(0)
	v_cmp_lt_u16_sdwa s[16:17], v39, v38 src0_sel:BYTE_0 src1_sel:BYTE_0
	v_cmp_lt_i32_e64 s[12:13], v42, v15
	s_or_b64 s[14:15], s[14:15], s[16:17]
	s_and_b64 s[12:13], s[12:13], s[14:15]
	s_xor_b64 s[14:15], s[12:13], -1
                                        ; implicit-def: $vgpr40
	s_and_saveexec_b64 s[16:17], s[14:15]
	s_xor_b64 s[14:15], exec, s[16:17]
; %bb.43:                               ;   in Loop: Header=BB86_2 Depth=1
	ds_read_u8 v40, v43 offset:1
; %bb.44:                               ;   in Loop: Header=BB86_2 Depth=1
	s_or_saveexec_b64 s[14:15], s[14:15]
	v_mov_b32_e32 v41, v39
	s_xor_b64 exec, exec, s[14:15]
	s_cbranch_execz .LBB86_46
; %bb.45:                               ;   in Loop: Header=BB86_2 Depth=1
	ds_read_u8 v41, v42 offset:1
	s_waitcnt lgkmcnt(1)
	v_mov_b32_e32 v40, v38
.LBB86_46:                              ;   in Loop: Header=BB86_2 Depth=1
	s_or_b64 exec, exec, s[14:15]
	v_add_u32_e32 v45, 1, v43
	v_add_u32_e32 v44, 1, v42
	v_cndmask_b32_e64 v43, v45, v43, s[12:13]
	v_cndmask_b32_e64 v42, v42, v44, s[12:13]
	v_cmp_ge_i32_e64 s[16:17], v43, v14
	s_waitcnt lgkmcnt(0)
	v_cmp_lt_u16_sdwa s[28:29], v41, v40 src0_sel:BYTE_0 src1_sel:BYTE_0
	v_cmp_lt_i32_e64 s[14:15], v42, v15
	s_or_b64 s[16:17], s[16:17], s[28:29]
	s_and_b64 s[14:15], s[14:15], s[16:17]
	s_xor_b64 s[16:17], s[14:15], -1
                                        ; implicit-def: $vgpr44
	s_and_saveexec_b64 s[28:29], s[16:17]
	s_xor_b64 s[16:17], exec, s[28:29]
; %bb.47:                               ;   in Loop: Header=BB86_2 Depth=1
	ds_read_u8 v44, v43 offset:1
; %bb.48:                               ;   in Loop: Header=BB86_2 Depth=1
	s_or_saveexec_b64 s[16:17], s[16:17]
	v_mov_b32_e32 v45, v41
	s_xor_b64 exec, exec, s[16:17]
	s_cbranch_execz .LBB86_50
; %bb.49:                               ;   in Loop: Header=BB86_2 Depth=1
	ds_read_u8 v45, v42 offset:1
	s_waitcnt lgkmcnt(1)
	v_mov_b32_e32 v44, v40
.LBB86_50:                              ;   in Loop: Header=BB86_2 Depth=1
	s_or_b64 exec, exec, s[16:17]
	v_cndmask_b32_e64 v40, v40, v41, s[14:15]
	v_add_u32_e32 v41, 1, v42
	v_add_u32_e32 v46, 1, v43
	v_cndmask_b32_e64 v41, v42, v41, s[14:15]
	v_cndmask_b32_e64 v42, v46, v43, s[14:15]
	v_cndmask_b32_e64 v38, v38, v39, s[12:13]
	v_cmp_ge_i32_e64 s[12:13], v42, v14
	s_waitcnt lgkmcnt(0)
	v_cmp_lt_u16_sdwa s[14:15], v45, v44 src0_sel:BYTE_0 src1_sel:BYTE_0
	v_cndmask_b32_e64 v36, v36, v37, s[10:11]
	v_cmp_lt_i32_e64 s[10:11], v41, v15
	s_or_b64 s[12:13], s[12:13], s[14:15]
	s_and_b64 s[10:11], s[10:11], s[12:13]
	v_cndmask_b32_e64 v37, v44, v45, s[10:11]
	; wave barrier
	ds_write_b8 v2, v36
	ds_write_b8 v2, v38 offset:1
	ds_write_b8 v2, v40 offset:2
	;; [unrolled: 1-line block ×3, first 2 shown]
	v_mov_b32_e32 v36, v33
	s_waitcnt lgkmcnt(0)
	; wave barrier
	s_and_saveexec_b64 s[12:13], s[6:7]
	s_cbranch_execz .LBB86_54
; %bb.51:                               ;   in Loop: Header=BB86_2 Depth=1
	s_mov_b64 s[14:15], 0
	v_mov_b32_e32 v36, v33
	v_mov_b32_e32 v37, v28
.LBB86_52:                              ;   Parent Loop BB86_2 Depth=1
                                        ; =>  This Inner Loop Header: Depth=2
	v_sub_u32_e32 v38, v37, v36
	v_lshrrev_b32_e32 v38, 1, v38
	v_add_u32_e32 v38, v38, v36
	v_add_u32_e32 v39, v6, v38
	v_xad_u32 v40, v38, -1, v23
	ds_read_u8 v39, v39
	ds_read_u8 v40, v40
	v_add_u32_e32 v41, 1, v38
	s_waitcnt lgkmcnt(0)
	v_cmp_lt_u16_e64 s[10:11], v40, v39
	v_cndmask_b32_e64 v37, v37, v38, s[10:11]
	v_cndmask_b32_e64 v36, v41, v36, s[10:11]
	v_cmp_ge_i32_e64 s[10:11], v36, v37
	s_or_b64 s[14:15], s[10:11], s[14:15]
	s_andn2_b64 exec, exec, s[14:15]
	s_cbranch_execnz .LBB86_52
; %bb.53:                               ;   in Loop: Header=BB86_2 Depth=1
	s_or_b64 exec, exec, s[14:15]
.LBB86_54:                              ;   in Loop: Header=BB86_2 Depth=1
	s_or_b64 exec, exec, s[12:13]
	v_add_u32_e32 v40, v36, v6
	v_sub_u32_e32 v41, v23, v36
	ds_read_u8 v36, v40
	ds_read_u8 v37, v41
	v_cmp_le_i32_e64 s[12:13], v16, v40
	v_cmp_gt_i32_e64 s[10:11], v17, v41
                                        ; implicit-def: $vgpr38
	s_waitcnt lgkmcnt(0)
	v_cmp_lt_u16_sdwa s[14:15], v37, v36 src0_sel:BYTE_0 src1_sel:BYTE_0
	s_or_b64 s[12:13], s[12:13], s[14:15]
	s_and_b64 s[10:11], s[10:11], s[12:13]
	s_xor_b64 s[12:13], s[10:11], -1
	s_and_saveexec_b64 s[14:15], s[12:13]
	s_xor_b64 s[12:13], exec, s[14:15]
; %bb.55:                               ;   in Loop: Header=BB86_2 Depth=1
	ds_read_u8 v38, v40 offset:1
; %bb.56:                               ;   in Loop: Header=BB86_2 Depth=1
	s_or_saveexec_b64 s[12:13], s[12:13]
	v_mov_b32_e32 v39, v37
	s_xor_b64 exec, exec, s[12:13]
	s_cbranch_execz .LBB86_58
; %bb.57:                               ;   in Loop: Header=BB86_2 Depth=1
	ds_read_u8 v39, v41 offset:1
	s_waitcnt lgkmcnt(1)
	v_mov_b32_e32 v38, v36
.LBB86_58:                              ;   in Loop: Header=BB86_2 Depth=1
	s_or_b64 exec, exec, s[12:13]
	v_add_u32_e32 v43, 1, v40
	v_add_u32_e32 v42, 1, v41
	v_cndmask_b32_e64 v43, v43, v40, s[10:11]
	v_cndmask_b32_e64 v42, v41, v42, s[10:11]
	v_cmp_ge_i32_e64 s[14:15], v43, v16
	s_waitcnt lgkmcnt(0)
	v_cmp_lt_u16_sdwa s[16:17], v39, v38 src0_sel:BYTE_0 src1_sel:BYTE_0
	v_cmp_lt_i32_e64 s[12:13], v42, v17
	s_or_b64 s[14:15], s[14:15], s[16:17]
	s_and_b64 s[12:13], s[12:13], s[14:15]
	s_xor_b64 s[14:15], s[12:13], -1
                                        ; implicit-def: $vgpr40
	s_and_saveexec_b64 s[16:17], s[14:15]
	s_xor_b64 s[14:15], exec, s[16:17]
; %bb.59:                               ;   in Loop: Header=BB86_2 Depth=1
	ds_read_u8 v40, v43 offset:1
; %bb.60:                               ;   in Loop: Header=BB86_2 Depth=1
	s_or_saveexec_b64 s[14:15], s[14:15]
	v_mov_b32_e32 v41, v39
	s_xor_b64 exec, exec, s[14:15]
	s_cbranch_execz .LBB86_62
; %bb.61:                               ;   in Loop: Header=BB86_2 Depth=1
	ds_read_u8 v41, v42 offset:1
	s_waitcnt lgkmcnt(1)
	v_mov_b32_e32 v40, v38
.LBB86_62:                              ;   in Loop: Header=BB86_2 Depth=1
	s_or_b64 exec, exec, s[14:15]
	v_add_u32_e32 v45, 1, v43
	v_add_u32_e32 v44, 1, v42
	v_cndmask_b32_e64 v43, v45, v43, s[12:13]
	v_cndmask_b32_e64 v42, v42, v44, s[12:13]
	v_cmp_ge_i32_e64 s[16:17], v43, v16
	s_waitcnt lgkmcnt(0)
	v_cmp_lt_u16_sdwa s[28:29], v41, v40 src0_sel:BYTE_0 src1_sel:BYTE_0
	v_cmp_lt_i32_e64 s[14:15], v42, v17
	s_or_b64 s[16:17], s[16:17], s[28:29]
	s_and_b64 s[14:15], s[14:15], s[16:17]
	s_xor_b64 s[16:17], s[14:15], -1
                                        ; implicit-def: $vgpr44
	s_and_saveexec_b64 s[28:29], s[16:17]
	s_xor_b64 s[16:17], exec, s[28:29]
; %bb.63:                               ;   in Loop: Header=BB86_2 Depth=1
	ds_read_u8 v44, v43 offset:1
; %bb.64:                               ;   in Loop: Header=BB86_2 Depth=1
	s_or_saveexec_b64 s[16:17], s[16:17]
	v_mov_b32_e32 v45, v41
	s_xor_b64 exec, exec, s[16:17]
	s_cbranch_execz .LBB86_66
; %bb.65:                               ;   in Loop: Header=BB86_2 Depth=1
	ds_read_u8 v45, v42 offset:1
	s_waitcnt lgkmcnt(1)
	v_mov_b32_e32 v44, v40
.LBB86_66:                              ;   in Loop: Header=BB86_2 Depth=1
	s_or_b64 exec, exec, s[16:17]
	v_cndmask_b32_e64 v40, v40, v41, s[14:15]
	v_add_u32_e32 v41, 1, v42
	v_add_u32_e32 v46, 1, v43
	v_cndmask_b32_e64 v41, v42, v41, s[14:15]
	v_cndmask_b32_e64 v42, v46, v43, s[14:15]
	;; [unrolled: 1-line block ×3, first 2 shown]
	v_cmp_ge_i32_e64 s[12:13], v42, v16
	s_waitcnt lgkmcnt(0)
	v_cmp_lt_u16_sdwa s[14:15], v45, v44 src0_sel:BYTE_0 src1_sel:BYTE_0
	v_cndmask_b32_e64 v36, v36, v37, s[10:11]
	v_cmp_lt_i32_e64 s[10:11], v41, v17
	s_or_b64 s[12:13], s[12:13], s[14:15]
	s_and_b64 s[10:11], s[10:11], s[12:13]
	v_cndmask_b32_e64 v37, v44, v45, s[10:11]
	; wave barrier
	ds_write_b8 v2, v36
	ds_write_b8 v2, v38 offset:1
	ds_write_b8 v2, v40 offset:2
	;; [unrolled: 1-line block ×3, first 2 shown]
	v_mov_b32_e32 v36, v34
	s_waitcnt lgkmcnt(0)
	; wave barrier
	s_and_saveexec_b64 s[12:13], s[8:9]
	s_cbranch_execz .LBB86_70
; %bb.67:                               ;   in Loop: Header=BB86_2 Depth=1
	s_mov_b64 s[14:15], 0
	v_mov_b32_e32 v36, v34
	v_mov_b32_e32 v37, v29
.LBB86_68:                              ;   Parent Loop BB86_2 Depth=1
                                        ; =>  This Inner Loop Header: Depth=2
	v_sub_u32_e32 v38, v37, v36
	v_lshrrev_b32_e32 v38, 1, v38
	v_add_u32_e32 v38, v38, v36
	v_add_u32_e32 v39, v7, v38
	v_xad_u32 v40, v38, -1, v24
	ds_read_u8 v39, v39
	ds_read_u8 v40, v40
	v_add_u32_e32 v41, 1, v38
	s_waitcnt lgkmcnt(0)
	v_cmp_lt_u16_e64 s[10:11], v40, v39
	v_cndmask_b32_e64 v37, v37, v38, s[10:11]
	v_cndmask_b32_e64 v36, v41, v36, s[10:11]
	v_cmp_ge_i32_e64 s[10:11], v36, v37
	s_or_b64 s[14:15], s[10:11], s[14:15]
	s_andn2_b64 exec, exec, s[14:15]
	s_cbranch_execnz .LBB86_68
; %bb.69:                               ;   in Loop: Header=BB86_2 Depth=1
	s_or_b64 exec, exec, s[14:15]
.LBB86_70:                              ;   in Loop: Header=BB86_2 Depth=1
	s_or_b64 exec, exec, s[12:13]
	v_add_u32_e32 v40, v36, v7
	v_sub_u32_e32 v41, v24, v36
	ds_read_u8 v36, v40
	ds_read_u8 v37, v41
	v_cmp_le_i32_e64 s[12:13], v18, v40
	v_cmp_gt_i32_e64 s[10:11], v19, v41
                                        ; implicit-def: $vgpr38
	s_waitcnt lgkmcnt(0)
	v_cmp_lt_u16_sdwa s[14:15], v37, v36 src0_sel:BYTE_0 src1_sel:BYTE_0
	s_or_b64 s[12:13], s[12:13], s[14:15]
	s_and_b64 s[10:11], s[10:11], s[12:13]
	s_xor_b64 s[12:13], s[10:11], -1
	s_and_saveexec_b64 s[14:15], s[12:13]
	s_xor_b64 s[12:13], exec, s[14:15]
; %bb.71:                               ;   in Loop: Header=BB86_2 Depth=1
	ds_read_u8 v38, v40 offset:1
; %bb.72:                               ;   in Loop: Header=BB86_2 Depth=1
	s_or_saveexec_b64 s[12:13], s[12:13]
	v_mov_b32_e32 v39, v37
	s_xor_b64 exec, exec, s[12:13]
	s_cbranch_execz .LBB86_74
; %bb.73:                               ;   in Loop: Header=BB86_2 Depth=1
	ds_read_u8 v39, v41 offset:1
	s_waitcnt lgkmcnt(1)
	v_mov_b32_e32 v38, v36
.LBB86_74:                              ;   in Loop: Header=BB86_2 Depth=1
	s_or_b64 exec, exec, s[12:13]
	v_add_u32_e32 v43, 1, v40
	v_add_u32_e32 v42, 1, v41
	v_cndmask_b32_e64 v43, v43, v40, s[10:11]
	v_cndmask_b32_e64 v42, v41, v42, s[10:11]
	v_cmp_ge_i32_e64 s[14:15], v43, v18
	s_waitcnt lgkmcnt(0)
	v_cmp_lt_u16_sdwa s[16:17], v39, v38 src0_sel:BYTE_0 src1_sel:BYTE_0
	v_cmp_lt_i32_e64 s[12:13], v42, v19
	s_or_b64 s[14:15], s[14:15], s[16:17]
	s_and_b64 s[12:13], s[12:13], s[14:15]
	s_xor_b64 s[14:15], s[12:13], -1
                                        ; implicit-def: $vgpr40
	s_and_saveexec_b64 s[16:17], s[14:15]
	s_xor_b64 s[14:15], exec, s[16:17]
; %bb.75:                               ;   in Loop: Header=BB86_2 Depth=1
	ds_read_u8 v40, v43 offset:1
; %bb.76:                               ;   in Loop: Header=BB86_2 Depth=1
	s_or_saveexec_b64 s[14:15], s[14:15]
	v_mov_b32_e32 v41, v39
	s_xor_b64 exec, exec, s[14:15]
	s_cbranch_execz .LBB86_78
; %bb.77:                               ;   in Loop: Header=BB86_2 Depth=1
	ds_read_u8 v41, v42 offset:1
	s_waitcnt lgkmcnt(1)
	v_mov_b32_e32 v40, v38
.LBB86_78:                              ;   in Loop: Header=BB86_2 Depth=1
	s_or_b64 exec, exec, s[14:15]
	v_add_u32_e32 v45, 1, v43
	v_add_u32_e32 v44, 1, v42
	v_cndmask_b32_e64 v43, v45, v43, s[12:13]
	v_cndmask_b32_e64 v42, v42, v44, s[12:13]
	v_cmp_ge_i32_e64 s[16:17], v43, v18
	s_waitcnt lgkmcnt(0)
	v_cmp_lt_u16_sdwa s[28:29], v41, v40 src0_sel:BYTE_0 src1_sel:BYTE_0
	v_cmp_lt_i32_e64 s[14:15], v42, v19
	s_or_b64 s[16:17], s[16:17], s[28:29]
	s_and_b64 s[14:15], s[14:15], s[16:17]
	s_xor_b64 s[16:17], s[14:15], -1
                                        ; implicit-def: $vgpr44
	s_and_saveexec_b64 s[28:29], s[16:17]
	s_xor_b64 s[16:17], exec, s[28:29]
; %bb.79:                               ;   in Loop: Header=BB86_2 Depth=1
	ds_read_u8 v44, v43 offset:1
; %bb.80:                               ;   in Loop: Header=BB86_2 Depth=1
	s_or_saveexec_b64 s[16:17], s[16:17]
	v_mov_b32_e32 v45, v41
	s_xor_b64 exec, exec, s[16:17]
	s_cbranch_execz .LBB86_82
; %bb.81:                               ;   in Loop: Header=BB86_2 Depth=1
	ds_read_u8 v45, v42 offset:1
	s_waitcnt lgkmcnt(1)
	v_mov_b32_e32 v44, v40
.LBB86_82:                              ;   in Loop: Header=BB86_2 Depth=1
	s_or_b64 exec, exec, s[16:17]
	v_cndmask_b32_e64 v40, v40, v41, s[14:15]
	v_add_u32_e32 v41, 1, v42
	v_add_u32_e32 v46, 1, v43
	v_cndmask_b32_e64 v41, v42, v41, s[14:15]
	v_cndmask_b32_e64 v42, v46, v43, s[14:15]
	;; [unrolled: 1-line block ×3, first 2 shown]
	v_cmp_ge_i32_e64 s[12:13], v42, v18
	s_waitcnt lgkmcnt(0)
	v_cmp_lt_u16_sdwa s[14:15], v45, v44 src0_sel:BYTE_0 src1_sel:BYTE_0
	v_cndmask_b32_e64 v36, v36, v37, s[10:11]
	v_cmp_lt_i32_e64 s[10:11], v41, v19
	s_or_b64 s[12:13], s[12:13], s[14:15]
	s_and_b64 s[10:11], s[10:11], s[12:13]
	v_cndmask_b32_e64 v37, v44, v45, s[10:11]
	; wave barrier
	ds_write_b8 v2, v36
	ds_write_b8 v2, v38 offset:1
	ds_write_b8 v2, v40 offset:2
	;; [unrolled: 1-line block ×3, first 2 shown]
	v_mov_b32_e32 v40, v8
	s_waitcnt lgkmcnt(0)
	; wave barrier
	s_and_saveexec_b64 s[12:13], vcc
	s_cbranch_execz .LBB86_86
; %bb.83:                               ;   in Loop: Header=BB86_2 Depth=1
	s_mov_b64 s[14:15], 0
	v_mov_b32_e32 v40, v8
	v_mov_b32_e32 v36, v9
.LBB86_84:                              ;   Parent Loop BB86_2 Depth=1
                                        ; =>  This Inner Loop Header: Depth=2
	v_sub_u32_e32 v37, v36, v40
	v_lshrrev_b32_e32 v37, 1, v37
	v_add_u32_e32 v37, v37, v40
	v_xad_u32 v38, v37, -1, v35
	ds_read_u8 v39, v37
	ds_read_u8 v38, v38
	v_add_u32_e32 v41, 1, v37
	s_waitcnt lgkmcnt(0)
	v_cmp_lt_u16_e64 s[10:11], v38, v39
	v_cndmask_b32_e64 v36, v36, v37, s[10:11]
	v_cndmask_b32_e64 v40, v41, v40, s[10:11]
	v_cmp_ge_i32_e64 s[10:11], v40, v36
	s_or_b64 s[14:15], s[10:11], s[14:15]
	s_andn2_b64 exec, exec, s[14:15]
	s_cbranch_execnz .LBB86_84
; %bb.85:                               ;   in Loop: Header=BB86_2 Depth=1
	s_or_b64 exec, exec, s[14:15]
.LBB86_86:                              ;   in Loop: Header=BB86_2 Depth=1
	s_or_b64 exec, exec, s[12:13]
	v_sub_u32_e32 v41, v35, v40
	ds_read_u8 v36, v40
	ds_read_u8 v37, v41
	v_cmp_le_i32_e64 s[12:13], v1, v40
	v_cmp_gt_i32_e64 s[10:11], s27, v41
                                        ; implicit-def: $vgpr38
	s_waitcnt lgkmcnt(0)
	v_cmp_lt_u16_sdwa s[14:15], v37, v36 src0_sel:BYTE_0 src1_sel:BYTE_0
	s_or_b64 s[12:13], s[12:13], s[14:15]
	s_and_b64 s[10:11], s[10:11], s[12:13]
	s_xor_b64 s[12:13], s[10:11], -1
	s_and_saveexec_b64 s[14:15], s[12:13]
	s_xor_b64 s[12:13], exec, s[14:15]
; %bb.87:                               ;   in Loop: Header=BB86_2 Depth=1
	ds_read_u8 v38, v40 offset:1
; %bb.88:                               ;   in Loop: Header=BB86_2 Depth=1
	s_or_saveexec_b64 s[12:13], s[12:13]
	v_mov_b32_e32 v39, v37
	s_xor_b64 exec, exec, s[12:13]
	s_cbranch_execz .LBB86_90
; %bb.89:                               ;   in Loop: Header=BB86_2 Depth=1
	ds_read_u8 v39, v41 offset:1
	s_waitcnt lgkmcnt(1)
	v_mov_b32_e32 v38, v36
.LBB86_90:                              ;   in Loop: Header=BB86_2 Depth=1
	s_or_b64 exec, exec, s[12:13]
	v_add_u32_e32 v43, 1, v40
	v_add_u32_e32 v42, 1, v41
	v_cndmask_b32_e64 v43, v43, v40, s[10:11]
	v_cndmask_b32_e64 v42, v41, v42, s[10:11]
	v_cmp_ge_i32_e64 s[14:15], v43, v1
	s_waitcnt lgkmcnt(0)
	v_cmp_lt_u16_sdwa s[16:17], v39, v38 src0_sel:BYTE_0 src1_sel:BYTE_0
	v_cmp_gt_i32_e64 s[12:13], s27, v42
	s_or_b64 s[14:15], s[14:15], s[16:17]
	s_and_b64 s[12:13], s[12:13], s[14:15]
	s_xor_b64 s[14:15], s[12:13], -1
                                        ; implicit-def: $vgpr40
	s_and_saveexec_b64 s[16:17], s[14:15]
	s_xor_b64 s[14:15], exec, s[16:17]
; %bb.91:                               ;   in Loop: Header=BB86_2 Depth=1
	ds_read_u8 v40, v43 offset:1
; %bb.92:                               ;   in Loop: Header=BB86_2 Depth=1
	s_or_saveexec_b64 s[14:15], s[14:15]
	v_mov_b32_e32 v41, v39
	s_xor_b64 exec, exec, s[14:15]
	s_cbranch_execz .LBB86_94
; %bb.93:                               ;   in Loop: Header=BB86_2 Depth=1
	ds_read_u8 v41, v42 offset:1
	s_waitcnt lgkmcnt(1)
	v_mov_b32_e32 v40, v38
.LBB86_94:                              ;   in Loop: Header=BB86_2 Depth=1
	s_or_b64 exec, exec, s[14:15]
	v_add_u32_e32 v45, 1, v43
	v_add_u32_e32 v44, 1, v42
	v_cndmask_b32_e64 v45, v45, v43, s[12:13]
	v_cndmask_b32_e64 v42, v42, v44, s[12:13]
	v_cmp_ge_i32_e64 s[16:17], v45, v1
	s_waitcnt lgkmcnt(0)
	v_cmp_lt_u16_sdwa s[28:29], v41, v40 src0_sel:BYTE_0 src1_sel:BYTE_0
	v_cmp_gt_i32_e64 s[14:15], s27, v42
	s_or_b64 s[16:17], s[16:17], s[28:29]
	s_and_b64 s[14:15], s[14:15], s[16:17]
	s_xor_b64 s[16:17], s[14:15], -1
                                        ; implicit-def: $vgpr43
                                        ; implicit-def: $vgpr44
	s_and_saveexec_b64 s[28:29], s[16:17]
	s_xor_b64 s[16:17], exec, s[28:29]
; %bb.95:                               ;   in Loop: Header=BB86_2 Depth=1
	ds_read_u8 v43, v45 offset:1
	v_add_u32_e32 v44, 1, v45
                                        ; implicit-def: $vgpr45
; %bb.96:                               ;   in Loop: Header=BB86_2 Depth=1
	s_or_saveexec_b64 s[16:17], s[16:17]
	v_mov_b32_e32 v46, v41
	s_xor_b64 exec, exec, s[16:17]
	s_cbranch_execz .LBB86_1
; %bb.97:                               ;   in Loop: Header=BB86_2 Depth=1
	ds_read_u8 v46, v42 offset:1
	v_add_u32_e32 v42, 1, v42
	v_mov_b32_e32 v44, v45
	s_waitcnt lgkmcnt(1)
	v_mov_b32_e32 v43, v40
	s_branch .LBB86_1
.LBB86_98:
	s_add_u32 s0, s18, s20
	s_addc_u32 s1, s19, 0
	v_mov_b32_e32 v1, s1
	v_add_co_u32_e32 v0, vcc, s0, v0
	v_addc_co_u32_e32 v1, vcc, 0, v1, vcc
	global_store_byte v[0:1], v36, off
	global_store_byte v[0:1], v37, off offset:64
	global_store_byte v[0:1], v38, off offset:128
	;; [unrolled: 1-line block ×3, first 2 shown]
	s_endpgm
	.section	.rodata,"a",@progbits
	.p2align	6, 0x0
	.amdhsa_kernel _Z16sort_keys_kernelIhLj64ELj4EN10test_utils4lessELj10EEvPKT_PS2_T2_
		.amdhsa_group_segment_fixed_size 257
		.amdhsa_private_segment_fixed_size 0
		.amdhsa_kernarg_size 20
		.amdhsa_user_sgpr_count 6
		.amdhsa_user_sgpr_private_segment_buffer 1
		.amdhsa_user_sgpr_dispatch_ptr 0
		.amdhsa_user_sgpr_queue_ptr 0
		.amdhsa_user_sgpr_kernarg_segment_ptr 1
		.amdhsa_user_sgpr_dispatch_id 0
		.amdhsa_user_sgpr_flat_scratch_init 0
		.amdhsa_user_sgpr_private_segment_size 0
		.amdhsa_uses_dynamic_stack 0
		.amdhsa_system_sgpr_private_segment_wavefront_offset 0
		.amdhsa_system_sgpr_workgroup_id_x 1
		.amdhsa_system_sgpr_workgroup_id_y 0
		.amdhsa_system_sgpr_workgroup_id_z 0
		.amdhsa_system_sgpr_workgroup_info 0
		.amdhsa_system_vgpr_workitem_id 0
		.amdhsa_next_free_vgpr 48
		.amdhsa_next_free_sgpr 30
		.amdhsa_reserve_vcc 1
		.amdhsa_reserve_flat_scratch 0
		.amdhsa_float_round_mode_32 0
		.amdhsa_float_round_mode_16_64 0
		.amdhsa_float_denorm_mode_32 3
		.amdhsa_float_denorm_mode_16_64 3
		.amdhsa_dx10_clamp 1
		.amdhsa_ieee_mode 1
		.amdhsa_fp16_overflow 0
		.amdhsa_exception_fp_ieee_invalid_op 0
		.amdhsa_exception_fp_denorm_src 0
		.amdhsa_exception_fp_ieee_div_zero 0
		.amdhsa_exception_fp_ieee_overflow 0
		.amdhsa_exception_fp_ieee_underflow 0
		.amdhsa_exception_fp_ieee_inexact 0
		.amdhsa_exception_int_div_zero 0
	.end_amdhsa_kernel
	.section	.text._Z16sort_keys_kernelIhLj64ELj4EN10test_utils4lessELj10EEvPKT_PS2_T2_,"axG",@progbits,_Z16sort_keys_kernelIhLj64ELj4EN10test_utils4lessELj10EEvPKT_PS2_T2_,comdat
.Lfunc_end86:
	.size	_Z16sort_keys_kernelIhLj64ELj4EN10test_utils4lessELj10EEvPKT_PS2_T2_, .Lfunc_end86-_Z16sort_keys_kernelIhLj64ELj4EN10test_utils4lessELj10EEvPKT_PS2_T2_
                                        ; -- End function
	.set _Z16sort_keys_kernelIhLj64ELj4EN10test_utils4lessELj10EEvPKT_PS2_T2_.num_vgpr, 48
	.set _Z16sort_keys_kernelIhLj64ELj4EN10test_utils4lessELj10EEvPKT_PS2_T2_.num_agpr, 0
	.set _Z16sort_keys_kernelIhLj64ELj4EN10test_utils4lessELj10EEvPKT_PS2_T2_.numbered_sgpr, 30
	.set _Z16sort_keys_kernelIhLj64ELj4EN10test_utils4lessELj10EEvPKT_PS2_T2_.num_named_barrier, 0
	.set _Z16sort_keys_kernelIhLj64ELj4EN10test_utils4lessELj10EEvPKT_PS2_T2_.private_seg_size, 0
	.set _Z16sort_keys_kernelIhLj64ELj4EN10test_utils4lessELj10EEvPKT_PS2_T2_.uses_vcc, 1
	.set _Z16sort_keys_kernelIhLj64ELj4EN10test_utils4lessELj10EEvPKT_PS2_T2_.uses_flat_scratch, 0
	.set _Z16sort_keys_kernelIhLj64ELj4EN10test_utils4lessELj10EEvPKT_PS2_T2_.has_dyn_sized_stack, 0
	.set _Z16sort_keys_kernelIhLj64ELj4EN10test_utils4lessELj10EEvPKT_PS2_T2_.has_recursion, 0
	.set _Z16sort_keys_kernelIhLj64ELj4EN10test_utils4lessELj10EEvPKT_PS2_T2_.has_indirect_call, 0
	.section	.AMDGPU.csdata,"",@progbits
; Kernel info:
; codeLenInByte = 4476
; TotalNumSgprs: 34
; NumVgprs: 48
; ScratchSize: 0
; MemoryBound: 0
; FloatMode: 240
; IeeeMode: 1
; LDSByteSize: 257 bytes/workgroup (compile time only)
; SGPRBlocks: 4
; VGPRBlocks: 11
; NumSGPRsForWavesPerEU: 34
; NumVGPRsForWavesPerEU: 48
; Occupancy: 5
; WaveLimiterHint : 0
; COMPUTE_PGM_RSRC2:SCRATCH_EN: 0
; COMPUTE_PGM_RSRC2:USER_SGPR: 6
; COMPUTE_PGM_RSRC2:TRAP_HANDLER: 0
; COMPUTE_PGM_RSRC2:TGID_X_EN: 1
; COMPUTE_PGM_RSRC2:TGID_Y_EN: 0
; COMPUTE_PGM_RSRC2:TGID_Z_EN: 0
; COMPUTE_PGM_RSRC2:TIDIG_COMP_CNT: 0
	.section	.text._Z17sort_pairs_kernelIhLj64ELj4EN10test_utils4lessELj10EEvPKT_PS2_T2_,"axG",@progbits,_Z17sort_pairs_kernelIhLj64ELj4EN10test_utils4lessELj10EEvPKT_PS2_T2_,comdat
	.protected	_Z17sort_pairs_kernelIhLj64ELj4EN10test_utils4lessELj10EEvPKT_PS2_T2_ ; -- Begin function _Z17sort_pairs_kernelIhLj64ELj4EN10test_utils4lessELj10EEvPKT_PS2_T2_
	.globl	_Z17sort_pairs_kernelIhLj64ELj4EN10test_utils4lessELj10EEvPKT_PS2_T2_
	.p2align	8
	.type	_Z17sort_pairs_kernelIhLj64ELj4EN10test_utils4lessELj10EEvPKT_PS2_T2_,@function
_Z17sort_pairs_kernelIhLj64ELj4EN10test_utils4lessELj10EEvPKT_PS2_T2_: ; @_Z17sort_pairs_kernelIhLj64ELj4EN10test_utils4lessELj10EEvPKT_PS2_T2_
; %bb.0:
	s_load_dwordx4 s[28:31], s[4:5], 0x0
	s_lshl_b32 s33, s6, 8
	v_lshlrev_b32_e32 v2, 2, v0
	v_and_b32_e32 v3, 0xf8, v2
	v_and_b32_e32 v4, 0xf0, v2
	s_waitcnt lgkmcnt(0)
	s_add_u32 s0, s28, s33
	s_addc_u32 s1, s29, 0
	global_load_ubyte v41, v0, s[0:1]
	global_load_ubyte v42, v0, s[0:1] offset:64
	global_load_ubyte v43, v0, s[0:1] offset:128
	;; [unrolled: 1-line block ×3, first 2 shown]
	v_or_b32_e32 v10, 4, v3
	v_add_u32_e32 v11, 8, v3
	v_and_b32_e32 v30, 4, v2
	v_and_b32_e32 v5, 0xe0, v2
	v_or_b32_e32 v12, 8, v4
	v_add_u32_e32 v13, 16, v4
	v_sub_u32_e32 v35, v11, v10
	v_and_b32_e32 v31, 12, v2
	v_and_b32_e32 v6, 0xc0, v2
	v_or_b32_e32 v14, 16, v5
	v_add_u32_e32 v15, 32, v5
	v_sub_u32_e32 v36, v13, v12
	v_sub_u32_e32 v25, v10, v3
	;; [unrolled: 1-line block ×3, first 2 shown]
	v_cmp_ge_i32_e64 s[0:1], v30, v35
	v_and_b32_e32 v32, 28, v2
	v_and_b32_e32 v7, 0x80, v2
	v_or_b32_e32 v16, 32, v6
	v_add_u32_e32 v17, 64, v6
	v_sub_u32_e32 v37, v15, v14
	v_add_u32_e32 v20, v10, v30
	v_sub_u32_e32 v26, v12, v4
	v_sub_u32_e32 v45, v31, v36
	v_min_i32_e32 v25, v30, v25
	v_cndmask_b32_e64 v30, 0, v44, s[0:1]
	v_cmp_ge_i32_e64 s[0:1], v31, v36
	v_and_b32_e32 v33, 60, v2
	v_or_b32_e32 v18, 64, v7
	v_add_u32_e32 v19, 0x80, v7
	v_sub_u32_e32 v38, v17, v16
	v_add_u32_e32 v21, v12, v31
	v_sub_u32_e32 v27, v14, v5
	v_sub_u32_e32 v46, v32, v37
	v_min_i32_e32 v26, v31, v26
	v_cndmask_b32_e64 v31, 0, v45, s[0:1]
	v_cmp_ge_i32_e64 s[0:1], v32, v37
	v_and_b32_e32 v34, 0x7c, v2
	v_sub_u32_e32 v39, v19, v18
	v_add_u32_e32 v22, v14, v32
	v_sub_u32_e32 v28, v16, v6
	v_sub_u32_e32 v47, v33, v38
	v_min_i32_e32 v27, v32, v27
	v_cndmask_b32_e64 v32, 0, v46, s[0:1]
	v_cmp_ge_i32_e64 s[0:1], v33, v38
	v_mov_b32_e32 v1, 0x80
	v_add_u32_e32 v23, v16, v33
	v_sub_u32_e32 v29, v18, v7
	v_sub_u32_e32 v48, v34, v39
	v_min_i32_e32 v28, v33, v28
	v_cndmask_b32_e64 v33, 0, v47, s[0:1]
	v_cmp_ge_i32_e64 s[0:1], v34, v39
	v_sub_u32_e64 v8, v2, v1 clamp
	v_min_i32_e32 v9, 0x80, v2
	v_add_u32_e32 v24, v18, v34
	v_min_i32_e32 v29, v34, v29
	v_cndmask_b32_e64 v34, 0, v48, s[0:1]
	s_mov_b32 s34, 0
	s_mov_b32 s35, 0xc0c0004
	;; [unrolled: 1-line block ×4, first 2 shown]
	s_movk_i32 s38, 0xff00
	s_mov_b32 s39, 0xffff0000
	s_mov_b32 s40, 0x7050604
	s_movk_i32 s41, 0x100
	v_cmp_lt_i32_e32 vcc, v8, v9
	v_cmp_lt_i32_e64 s[0:1], v30, v25
	v_cmp_lt_i32_e64 s[2:3], v31, v26
	;; [unrolled: 1-line block ×5, first 2 shown]
	v_add_u32_e32 v35, 0x80, v2
	s_waitcnt vmcnt(3)
	v_add_u16_e32 v36, 1, v41
	s_waitcnt vmcnt(2)
	v_add_u16_e32 v37, 1, v42
	;; [unrolled: 2-line block ×4, first 2 shown]
	s_branch .LBB87_2
.LBB87_1:                               ;   in Loop: Header=BB87_2 Depth=1
	s_or_b64 exec, exec, s[16:17]
	v_cmp_ge_i32_e64 s[16:17], v52, v1
	s_waitcnt lgkmcnt(0)
	v_cmp_lt_u16_sdwa s[18:19], v55, v53 src0_sel:BYTE_0 src1_sel:BYTE_0
	v_cndmask_b32_e64 v41, v41, v45, s[10:11]
	v_cndmask_b32_e64 v43, v40, v43, s[10:11]
	v_cmp_gt_i32_e64 s[10:11], s41, v50
	s_or_b64 s[16:17], s[16:17], s[18:19]
	s_and_b64 s[10:11], s[10:11], s[16:17]
	v_cndmask_b32_e64 v45, v49, v48, s[12:13]
	v_cndmask_b32_e64 v48, v52, v50, s[10:11]
	; wave barrier
	ds_write_b8 v2, v36
	ds_write_b8 v2, v38 offset:1
	ds_write_b8 v2, v39 offset:2
	;; [unrolled: 1-line block ×3, first 2 shown]
	s_waitcnt lgkmcnt(0)
	; wave barrier
	ds_read_u8 v36, v43
	ds_read_u8 v38, v51
	;; [unrolled: 1-line block ×4, first 2 shown]
	s_add_i32 s34, s34, 1
	v_cndmask_b32_e64 v40, v53, v55, s[10:11]
	v_cndmask_b32_e64 v42, v42, v44, s[12:13]
	s_cmp_eq_u32 s34, 10
	v_cndmask_b32_e64 v43, v46, v47, s[14:15]
	s_cbranch_scc1 .LBB87_98
.LBB87_2:                               ; =>This Loop Header: Depth=1
                                        ;     Child Loop BB87_4 Depth 2
                                        ;     Child Loop BB87_20 Depth 2
	;; [unrolled: 1-line block ×6, first 2 shown]
	v_perm_b32 v40, v43, v40, s35
	v_lshlrev_b32_e32 v40, 16, v40
	v_perm_b32 v43, v42, v41, s35
	v_perm_b32 v44, v41, v42, s35
	v_or_b32_e32 v43, v43, v40
	v_or_b32_e32 v40, v44, v40
	v_cmp_lt_u16_sdwa s[10:11], v42, v41 src0_sel:BYTE_0 src1_sel:BYTE_0
	v_cndmask_b32_e64 v40, v40, v43, s[10:11]
	v_lshrrev_b32_e32 v41, 16, v40
	v_perm_b32 v42, 0, v41, s36
	v_lshlrev_b32_e32 v42, 16, v42
	v_and_or_b32 v42, v40, s37, v42
	v_cmp_lt_u16_sdwa s[12:13], v40, v41 src0_sel:BYTE_3 src1_sel:BYTE_0
	v_cndmask_b32_e64 v42, v40, v42, s[12:13]
	v_min_u16_sdwa v40, v40, v41 dst_sel:DWORD dst_unused:UNUSED_PAD src0_sel:BYTE_3 src1_sel:BYTE_0
	v_and_b32_sdwa v43, v42, s38 dst_sel:DWORD dst_unused:UNUSED_PAD src0_sel:WORD_1 src1_sel:DWORD
	v_lshlrev_b16_e32 v44, 8, v40
	v_or_b32_sdwa v43, v42, v43 dst_sel:WORD_1 dst_unused:UNUSED_PAD src0_sel:BYTE_1 src1_sel:DWORD
	v_lshrrev_b32_e32 v41, 8, v42
	v_or_b32_sdwa v44, v42, v44 dst_sel:DWORD dst_unused:UNUSED_PAD src0_sel:BYTE_0 src1_sel:DWORD
	v_or_b32_sdwa v43, v44, v43 dst_sel:DWORD dst_unused:UNUSED_PAD src0_sel:WORD_0 src1_sel:DWORD
	v_cmp_lt_u16_sdwa s[14:15], v40, v41 src0_sel:DWORD src1_sel:BYTE_0
	v_cndmask_b32_e64 v42, v42, v43, s[14:15]
	v_lshlrev_b16_e32 v43, 8, v42
	v_min_u16_sdwa v40, v40, v41 dst_sel:DWORD dst_unused:UNUSED_PAD src0_sel:DWORD src1_sel:BYTE_0
	v_or_b32_e32 v41, v40, v43
	v_and_b32_e32 v41, 0xffff, v41
	v_and_or_b32 v41, v42, s39, v41
	v_cmp_lt_u16_sdwa s[16:17], v40, v42 src0_sel:DWORD src1_sel:BYTE_0
	v_cndmask_b32_e64 v40, v42, v41, s[16:17]
	v_lshrrev_b32_e32 v41, 16, v40
	v_perm_b32 v42, 0, v41, s36
	v_lshlrev_b32_e32 v42, 16, v42
	v_and_or_b32 v42, v40, s37, v42
	v_cmp_lt_u16_sdwa s[18:19], v40, v41 src0_sel:BYTE_3 src1_sel:BYTE_0
	v_cndmask_b32_e64 v42, v40, v42, s[18:19]
	v_min_u16_sdwa v40, v40, v41 dst_sel:DWORD dst_unused:UNUSED_PAD src0_sel:BYTE_3 src1_sel:BYTE_0
	v_and_b32_sdwa v43, v42, s38 dst_sel:DWORD dst_unused:UNUSED_PAD src0_sel:WORD_1 src1_sel:DWORD
	v_lshlrev_b16_e32 v44, 8, v40
	v_or_b32_sdwa v43, v42, v43 dst_sel:WORD_1 dst_unused:UNUSED_PAD src0_sel:BYTE_1 src1_sel:DWORD
	v_lshrrev_b32_e32 v41, 8, v42
	v_or_b32_sdwa v44, v42, v44 dst_sel:DWORD dst_unused:UNUSED_PAD src0_sel:BYTE_0 src1_sel:DWORD
	v_or_b32_sdwa v43, v44, v43 dst_sel:DWORD dst_unused:UNUSED_PAD src0_sel:WORD_0 src1_sel:DWORD
	v_cmp_lt_u16_sdwa s[20:21], v40, v41 src0_sel:DWORD src1_sel:BYTE_0
	v_cndmask_b32_e64 v40, v42, v43, s[20:21]
	v_mov_b32_e32 v41, v30
	; wave barrier
	ds_write_b32 v2, v40
	s_waitcnt lgkmcnt(0)
	; wave barrier
	s_and_saveexec_b64 s[24:25], s[0:1]
	s_cbranch_execz .LBB87_6
; %bb.3:                                ;   in Loop: Header=BB87_2 Depth=1
	s_mov_b64 s[26:27], 0
	v_mov_b32_e32 v41, v30
	v_mov_b32_e32 v40, v25
.LBB87_4:                               ;   Parent Loop BB87_2 Depth=1
                                        ; =>  This Inner Loop Header: Depth=2
	v_sub_u32_e32 v42, v40, v41
	v_lshrrev_b32_e32 v42, 1, v42
	v_add_u32_e32 v42, v42, v41
	v_add_u32_e32 v43, v3, v42
	v_xad_u32 v44, v42, -1, v20
	ds_read_u8 v43, v43
	ds_read_u8 v44, v44
	v_add_u32_e32 v45, 1, v42
	s_waitcnt lgkmcnt(0)
	v_cmp_lt_u16_e64 s[22:23], v44, v43
	v_cndmask_b32_e64 v40, v40, v42, s[22:23]
	v_cndmask_b32_e64 v41, v45, v41, s[22:23]
	v_cmp_ge_i32_e64 s[22:23], v41, v40
	s_or_b64 s[26:27], s[22:23], s[26:27]
	s_andn2_b64 exec, exec, s[26:27]
	s_cbranch_execnz .LBB87_4
; %bb.5:                                ;   in Loop: Header=BB87_2 Depth=1
	s_or_b64 exec, exec, s[26:27]
.LBB87_6:                               ;   in Loop: Header=BB87_2 Depth=1
	s_or_b64 exec, exec, s[24:25]
	v_add_u32_e32 v40, v41, v3
	v_sub_u32_e32 v41, v20, v41
	ds_read_u8 v42, v40
	ds_read_u8 v43, v41
	v_cmp_le_i32_e64 s[24:25], v10, v40
	v_cmp_gt_i32_e64 s[22:23], v11, v41
                                        ; implicit-def: $vgpr44
	s_waitcnt lgkmcnt(0)
	v_cmp_lt_u16_sdwa s[26:27], v43, v42 src0_sel:BYTE_0 src1_sel:BYTE_0
	s_or_b64 s[24:25], s[24:25], s[26:27]
	s_and_b64 s[22:23], s[22:23], s[24:25]
	s_xor_b64 s[24:25], s[22:23], -1
	s_and_saveexec_b64 s[26:27], s[24:25]
	s_xor_b64 s[24:25], exec, s[26:27]
; %bb.7:                                ;   in Loop: Header=BB87_2 Depth=1
	ds_read_u8 v44, v40 offset:1
; %bb.8:                                ;   in Loop: Header=BB87_2 Depth=1
	s_or_saveexec_b64 s[24:25], s[24:25]
	v_mov_b32_e32 v45, v43
	s_xor_b64 exec, exec, s[24:25]
	s_cbranch_execz .LBB87_10
; %bb.9:                                ;   in Loop: Header=BB87_2 Depth=1
	ds_read_u8 v45, v41 offset:1
	s_waitcnt lgkmcnt(1)
	v_mov_b32_e32 v44, v42
.LBB87_10:                              ;   in Loop: Header=BB87_2 Depth=1
	s_or_b64 exec, exec, s[24:25]
	v_add_u32_e32 v47, 1, v40
	v_add_u32_e32 v46, 1, v41
	v_cndmask_b32_e64 v47, v47, v40, s[22:23]
	v_cndmask_b32_e64 v46, v41, v46, s[22:23]
	v_cmp_ge_i32_e64 s[26:27], v47, v10
	s_waitcnt lgkmcnt(0)
	v_cmp_lt_u16_sdwa s[28:29], v45, v44 src0_sel:BYTE_0 src1_sel:BYTE_0
	v_cmp_lt_i32_e64 s[24:25], v46, v11
	s_or_b64 s[26:27], s[26:27], s[28:29]
	s_and_b64 s[24:25], s[24:25], s[26:27]
	s_xor_b64 s[26:27], s[24:25], -1
                                        ; implicit-def: $vgpr48
	s_and_saveexec_b64 s[28:29], s[26:27]
	s_xor_b64 s[26:27], exec, s[28:29]
; %bb.11:                               ;   in Loop: Header=BB87_2 Depth=1
	ds_read_u8 v48, v47 offset:1
; %bb.12:                               ;   in Loop: Header=BB87_2 Depth=1
	s_or_saveexec_b64 s[26:27], s[26:27]
	v_mov_b32_e32 v50, v45
	s_xor_b64 exec, exec, s[26:27]
	s_cbranch_execz .LBB87_14
; %bb.13:                               ;   in Loop: Header=BB87_2 Depth=1
	ds_read_u8 v50, v46 offset:1
	s_waitcnt lgkmcnt(1)
	v_mov_b32_e32 v48, v44
.LBB87_14:                              ;   in Loop: Header=BB87_2 Depth=1
	s_or_b64 exec, exec, s[26:27]
	v_add_u32_e32 v51, 1, v47
	v_add_u32_e32 v49, 1, v46
	v_cndmask_b32_e64 v53, v51, v47, s[24:25]
	v_cndmask_b32_e64 v52, v46, v49, s[24:25]
	v_cmp_ge_i32_e64 s[28:29], v53, v10
	s_waitcnt lgkmcnt(0)
	v_cmp_lt_u16_sdwa s[42:43], v50, v48 src0_sel:BYTE_0 src1_sel:BYTE_0
	v_cmp_lt_i32_e64 s[26:27], v52, v11
	s_or_b64 s[28:29], s[28:29], s[42:43]
	s_and_b64 s[26:27], s[26:27], s[28:29]
	s_xor_b64 s[28:29], s[26:27], -1
                                        ; implicit-def: $vgpr49
	s_and_saveexec_b64 s[42:43], s[28:29]
	s_xor_b64 s[28:29], exec, s[42:43]
; %bb.15:                               ;   in Loop: Header=BB87_2 Depth=1
	ds_read_u8 v49, v53 offset:1
; %bb.16:                               ;   in Loop: Header=BB87_2 Depth=1
	s_or_saveexec_b64 s[28:29], s[28:29]
	v_mov_b32_e32 v51, v50
	s_xor_b64 exec, exec, s[28:29]
	s_cbranch_execz .LBB87_18
; %bb.17:                               ;   in Loop: Header=BB87_2 Depth=1
	ds_read_u8 v51, v52 offset:1
	s_waitcnt lgkmcnt(1)
	v_mov_b32_e32 v49, v48
.LBB87_18:                              ;   in Loop: Header=BB87_2 Depth=1
	s_or_b64 exec, exec, s[28:29]
	v_perm_b32 v38, v38, v39, s35
	v_perm_b32 v39, v37, v36, s35
	;; [unrolled: 1-line block ×3, first 2 shown]
	v_cndmask_b32_e64 v36, v36, v39, s[10:11]
	v_perm_b32 v37, 0, v38, s36
	v_lshl_or_b32 v36, v38, 16, v36
	v_lshlrev_b32_e32 v37, 16, v37
	v_and_or_b32 v37, v36, s37, v37
	v_cndmask_b32_e64 v36, v36, v37, s[12:13]
	v_perm_b32 v37, v36, v36, s40
	v_cndmask_b32_e64 v36, v36, v37, s[14:15]
	v_perm_b32 v37, 0, v36, s36
	v_and_or_b32 v37, v36, s39, v37
	v_cndmask_b32_e64 v36, v36, v37, s[16:17]
	v_lshrrev_b32_e32 v37, 16, v36
	v_add_u32_e32 v54, 1, v53
	v_perm_b32 v37, 0, v37, s36
	v_cndmask_b32_e64 v48, v48, v50, s[26:27]
	v_add_u32_e32 v50, 1, v52
	v_cndmask_b32_e64 v54, v54, v53, s[26:27]
	v_lshlrev_b32_e32 v37, 16, v37
	v_cndmask_b32_e64 v50, v52, v50, s[26:27]
	v_and_or_b32 v37, v36, s37, v37
	v_cmp_ge_i32_e64 s[12:13], v54, v10
	s_waitcnt lgkmcnt(0)
	v_cmp_lt_u16_sdwa s[14:15], v51, v49 src0_sel:BYTE_0 src1_sel:BYTE_0
	v_cndmask_b32_e64 v36, v36, v37, s[18:19]
	v_cmp_lt_i32_e64 s[10:11], v50, v11
	s_or_b64 s[12:13], s[12:13], s[14:15]
	v_perm_b32 v37, v36, v36, s40
	s_and_b64 s[10:11], s[10:11], s[12:13]
	v_cndmask_b32_e64 v40, v40, v41, s[22:23]
	v_cndmask_b32_e64 v36, v36, v37, s[20:21]
	;; [unrolled: 1-line block ×6, first 2 shown]
	; wave barrier
	ds_write_b32 v2, v36
	s_waitcnt lgkmcnt(0)
	; wave barrier
	ds_read_u8 v36, v40
	ds_read_u8 v37, v37
	;; [unrolled: 1-line block ×4, first 2 shown]
	v_cndmask_b32_e64 v42, v42, v43, s[22:23]
	v_cndmask_b32_e64 v41, v49, v51, s[10:11]
	s_waitcnt lgkmcnt(0)
	; wave barrier
	ds_write_b8 v2, v42
	ds_write_b8 v2, v44 offset:1
	ds_write_b8 v2, v48 offset:2
	;; [unrolled: 1-line block ×3, first 2 shown]
	v_mov_b32_e32 v41, v31
	s_waitcnt lgkmcnt(0)
	; wave barrier
	s_and_saveexec_b64 s[12:13], s[2:3]
	s_cbranch_execz .LBB87_22
; %bb.19:                               ;   in Loop: Header=BB87_2 Depth=1
	s_mov_b64 s[14:15], 0
	v_mov_b32_e32 v41, v31
	v_mov_b32_e32 v40, v26
.LBB87_20:                              ;   Parent Loop BB87_2 Depth=1
                                        ; =>  This Inner Loop Header: Depth=2
	v_sub_u32_e32 v42, v40, v41
	v_lshrrev_b32_e32 v42, 1, v42
	v_add_u32_e32 v42, v42, v41
	v_add_u32_e32 v43, v4, v42
	v_xad_u32 v44, v42, -1, v21
	ds_read_u8 v43, v43
	ds_read_u8 v44, v44
	v_add_u32_e32 v45, 1, v42
	s_waitcnt lgkmcnt(0)
	v_cmp_lt_u16_e64 s[10:11], v44, v43
	v_cndmask_b32_e64 v40, v40, v42, s[10:11]
	v_cndmask_b32_e64 v41, v45, v41, s[10:11]
	v_cmp_ge_i32_e64 s[10:11], v41, v40
	s_or_b64 s[14:15], s[10:11], s[14:15]
	s_andn2_b64 exec, exec, s[14:15]
	s_cbranch_execnz .LBB87_20
; %bb.21:                               ;   in Loop: Header=BB87_2 Depth=1
	s_or_b64 exec, exec, s[14:15]
.LBB87_22:                              ;   in Loop: Header=BB87_2 Depth=1
	s_or_b64 exec, exec, s[12:13]
	v_add_u32_e32 v40, v41, v4
	v_sub_u32_e32 v41, v21, v41
	ds_read_u8 v42, v40
	ds_read_u8 v43, v41
	v_cmp_le_i32_e64 s[12:13], v12, v40
	v_cmp_gt_i32_e64 s[10:11], v13, v41
                                        ; implicit-def: $vgpr44
	s_waitcnt lgkmcnt(0)
	v_cmp_lt_u16_sdwa s[14:15], v43, v42 src0_sel:BYTE_0 src1_sel:BYTE_0
	s_or_b64 s[12:13], s[12:13], s[14:15]
	s_and_b64 s[10:11], s[10:11], s[12:13]
	s_xor_b64 s[12:13], s[10:11], -1
	s_and_saveexec_b64 s[14:15], s[12:13]
	s_xor_b64 s[12:13], exec, s[14:15]
; %bb.23:                               ;   in Loop: Header=BB87_2 Depth=1
	ds_read_u8 v44, v40 offset:1
; %bb.24:                               ;   in Loop: Header=BB87_2 Depth=1
	s_or_saveexec_b64 s[12:13], s[12:13]
	v_mov_b32_e32 v45, v43
	s_xor_b64 exec, exec, s[12:13]
	s_cbranch_execz .LBB87_26
; %bb.25:                               ;   in Loop: Header=BB87_2 Depth=1
	ds_read_u8 v45, v41 offset:1
	s_waitcnt lgkmcnt(1)
	v_mov_b32_e32 v44, v42
.LBB87_26:                              ;   in Loop: Header=BB87_2 Depth=1
	s_or_b64 exec, exec, s[12:13]
	v_add_u32_e32 v47, 1, v40
	v_add_u32_e32 v46, 1, v41
	v_cndmask_b32_e64 v47, v47, v40, s[10:11]
	v_cndmask_b32_e64 v46, v41, v46, s[10:11]
	v_cmp_ge_i32_e64 s[14:15], v47, v12
	s_waitcnt lgkmcnt(0)
	v_cmp_lt_u16_sdwa s[16:17], v45, v44 src0_sel:BYTE_0 src1_sel:BYTE_0
	v_cmp_lt_i32_e64 s[12:13], v46, v13
	s_or_b64 s[14:15], s[14:15], s[16:17]
	s_and_b64 s[12:13], s[12:13], s[14:15]
	s_xor_b64 s[14:15], s[12:13], -1
                                        ; implicit-def: $vgpr48
	s_and_saveexec_b64 s[16:17], s[14:15]
	s_xor_b64 s[14:15], exec, s[16:17]
; %bb.27:                               ;   in Loop: Header=BB87_2 Depth=1
	ds_read_u8 v48, v47 offset:1
; %bb.28:                               ;   in Loop: Header=BB87_2 Depth=1
	s_or_saveexec_b64 s[14:15], s[14:15]
	v_mov_b32_e32 v49, v45
	s_xor_b64 exec, exec, s[14:15]
	s_cbranch_execz .LBB87_30
; %bb.29:                               ;   in Loop: Header=BB87_2 Depth=1
	ds_read_u8 v49, v46 offset:1
	s_waitcnt lgkmcnt(1)
	v_mov_b32_e32 v48, v44
.LBB87_30:                              ;   in Loop: Header=BB87_2 Depth=1
	s_or_b64 exec, exec, s[14:15]
	v_add_u32_e32 v51, 1, v47
	v_add_u32_e32 v50, 1, v46
	v_cndmask_b32_e64 v51, v51, v47, s[12:13]
	v_cndmask_b32_e64 v50, v46, v50, s[12:13]
	v_cmp_ge_i32_e64 s[16:17], v51, v12
	s_waitcnt lgkmcnt(0)
	v_cmp_lt_u16_sdwa s[18:19], v49, v48 src0_sel:BYTE_0 src1_sel:BYTE_0
	v_cmp_lt_i32_e64 s[14:15], v50, v13
	s_or_b64 s[16:17], s[16:17], s[18:19]
	s_and_b64 s[14:15], s[14:15], s[16:17]
	s_xor_b64 s[16:17], s[14:15], -1
                                        ; implicit-def: $vgpr52
	s_and_saveexec_b64 s[18:19], s[16:17]
	s_xor_b64 s[16:17], exec, s[18:19]
; %bb.31:                               ;   in Loop: Header=BB87_2 Depth=1
	ds_read_u8 v52, v51 offset:1
; %bb.32:                               ;   in Loop: Header=BB87_2 Depth=1
	s_or_saveexec_b64 s[16:17], s[16:17]
	v_mov_b32_e32 v53, v49
	s_xor_b64 exec, exec, s[16:17]
	s_cbranch_execz .LBB87_34
; %bb.33:                               ;   in Loop: Header=BB87_2 Depth=1
	ds_read_u8 v53, v50 offset:1
	s_waitcnt lgkmcnt(1)
	v_mov_b32_e32 v52, v48
.LBB87_34:                              ;   in Loop: Header=BB87_2 Depth=1
	s_or_b64 exec, exec, s[16:17]
	v_add_u32_e32 v54, 1, v51
	v_cndmask_b32_e64 v48, v48, v49, s[14:15]
	v_add_u32_e32 v49, 1, v50
	v_cndmask_b32_e64 v54, v54, v51, s[14:15]
	v_cndmask_b32_e64 v49, v50, v49, s[14:15]
	;; [unrolled: 1-line block ×5, first 2 shown]
	v_cmp_ge_i32_e64 s[12:13], v54, v12
	s_waitcnt lgkmcnt(0)
	v_cmp_lt_u16_sdwa s[14:15], v53, v52 src0_sel:BYTE_0 src1_sel:BYTE_0
	v_cndmask_b32_e64 v42, v42, v43, s[10:11]
	v_cndmask_b32_e64 v40, v40, v41, s[10:11]
	v_cmp_lt_i32_e64 s[10:11], v49, v13
	s_or_b64 s[12:13], s[12:13], s[14:15]
	s_and_b64 s[10:11], s[10:11], s[12:13]
	v_cndmask_b32_e64 v43, v54, v49, s[10:11]
	; wave barrier
	ds_write_b8 v2, v36
	ds_write_b8 v2, v38 offset:1
	ds_write_b8 v2, v39 offset:2
	;; [unrolled: 1-line block ×3, first 2 shown]
	s_waitcnt lgkmcnt(0)
	; wave barrier
	ds_read_u8 v36, v40
	ds_read_u8 v37, v43
	ds_read_u8 v38, v45
	ds_read_u8 v39, v50
	v_cndmask_b32_e64 v41, v52, v53, s[10:11]
	s_waitcnt lgkmcnt(0)
	; wave barrier
	ds_write_b8 v2, v42
	ds_write_b8 v2, v44 offset:1
	ds_write_b8 v2, v48 offset:2
	ds_write_b8 v2, v41 offset:3
	v_mov_b32_e32 v41, v32
	s_waitcnt lgkmcnt(0)
	; wave barrier
	s_and_saveexec_b64 s[12:13], s[4:5]
	s_cbranch_execz .LBB87_38
; %bb.35:                               ;   in Loop: Header=BB87_2 Depth=1
	s_mov_b64 s[14:15], 0
	v_mov_b32_e32 v41, v32
	v_mov_b32_e32 v40, v27
.LBB87_36:                              ;   Parent Loop BB87_2 Depth=1
                                        ; =>  This Inner Loop Header: Depth=2
	v_sub_u32_e32 v42, v40, v41
	v_lshrrev_b32_e32 v42, 1, v42
	v_add_u32_e32 v42, v42, v41
	v_add_u32_e32 v43, v5, v42
	v_xad_u32 v44, v42, -1, v22
	ds_read_u8 v43, v43
	ds_read_u8 v44, v44
	v_add_u32_e32 v45, 1, v42
	s_waitcnt lgkmcnt(0)
	v_cmp_lt_u16_e64 s[10:11], v44, v43
	v_cndmask_b32_e64 v40, v40, v42, s[10:11]
	v_cndmask_b32_e64 v41, v45, v41, s[10:11]
	v_cmp_ge_i32_e64 s[10:11], v41, v40
	s_or_b64 s[14:15], s[10:11], s[14:15]
	s_andn2_b64 exec, exec, s[14:15]
	s_cbranch_execnz .LBB87_36
; %bb.37:                               ;   in Loop: Header=BB87_2 Depth=1
	s_or_b64 exec, exec, s[14:15]
.LBB87_38:                              ;   in Loop: Header=BB87_2 Depth=1
	s_or_b64 exec, exec, s[12:13]
	v_add_u32_e32 v40, v41, v5
	v_sub_u32_e32 v41, v22, v41
	ds_read_u8 v42, v40
	ds_read_u8 v43, v41
	v_cmp_le_i32_e64 s[12:13], v14, v40
	v_cmp_gt_i32_e64 s[10:11], v15, v41
                                        ; implicit-def: $vgpr44
	s_waitcnt lgkmcnt(0)
	v_cmp_lt_u16_sdwa s[14:15], v43, v42 src0_sel:BYTE_0 src1_sel:BYTE_0
	s_or_b64 s[12:13], s[12:13], s[14:15]
	s_and_b64 s[10:11], s[10:11], s[12:13]
	s_xor_b64 s[12:13], s[10:11], -1
	s_and_saveexec_b64 s[14:15], s[12:13]
	s_xor_b64 s[12:13], exec, s[14:15]
; %bb.39:                               ;   in Loop: Header=BB87_2 Depth=1
	ds_read_u8 v44, v40 offset:1
; %bb.40:                               ;   in Loop: Header=BB87_2 Depth=1
	s_or_saveexec_b64 s[12:13], s[12:13]
	v_mov_b32_e32 v45, v43
	s_xor_b64 exec, exec, s[12:13]
	s_cbranch_execz .LBB87_42
; %bb.41:                               ;   in Loop: Header=BB87_2 Depth=1
	ds_read_u8 v45, v41 offset:1
	s_waitcnt lgkmcnt(1)
	v_mov_b32_e32 v44, v42
.LBB87_42:                              ;   in Loop: Header=BB87_2 Depth=1
	s_or_b64 exec, exec, s[12:13]
	v_add_u32_e32 v47, 1, v40
	v_add_u32_e32 v46, 1, v41
	v_cndmask_b32_e64 v47, v47, v40, s[10:11]
	v_cndmask_b32_e64 v46, v41, v46, s[10:11]
	v_cmp_ge_i32_e64 s[14:15], v47, v14
	s_waitcnt lgkmcnt(0)
	v_cmp_lt_u16_sdwa s[16:17], v45, v44 src0_sel:BYTE_0 src1_sel:BYTE_0
	v_cmp_lt_i32_e64 s[12:13], v46, v15
	s_or_b64 s[14:15], s[14:15], s[16:17]
	s_and_b64 s[12:13], s[12:13], s[14:15]
	s_xor_b64 s[14:15], s[12:13], -1
                                        ; implicit-def: $vgpr48
	s_and_saveexec_b64 s[16:17], s[14:15]
	s_xor_b64 s[14:15], exec, s[16:17]
; %bb.43:                               ;   in Loop: Header=BB87_2 Depth=1
	ds_read_u8 v48, v47 offset:1
; %bb.44:                               ;   in Loop: Header=BB87_2 Depth=1
	s_or_saveexec_b64 s[14:15], s[14:15]
	v_mov_b32_e32 v49, v45
	s_xor_b64 exec, exec, s[14:15]
	s_cbranch_execz .LBB87_46
; %bb.45:                               ;   in Loop: Header=BB87_2 Depth=1
	ds_read_u8 v49, v46 offset:1
	s_waitcnt lgkmcnt(1)
	v_mov_b32_e32 v48, v44
.LBB87_46:                              ;   in Loop: Header=BB87_2 Depth=1
	s_or_b64 exec, exec, s[14:15]
	v_add_u32_e32 v51, 1, v47
	v_add_u32_e32 v50, 1, v46
	v_cndmask_b32_e64 v51, v51, v47, s[12:13]
	v_cndmask_b32_e64 v50, v46, v50, s[12:13]
	v_cmp_ge_i32_e64 s[16:17], v51, v14
	s_waitcnt lgkmcnt(0)
	v_cmp_lt_u16_sdwa s[18:19], v49, v48 src0_sel:BYTE_0 src1_sel:BYTE_0
	v_cmp_lt_i32_e64 s[14:15], v50, v15
	s_or_b64 s[16:17], s[16:17], s[18:19]
	s_and_b64 s[14:15], s[14:15], s[16:17]
	s_xor_b64 s[16:17], s[14:15], -1
                                        ; implicit-def: $vgpr52
	s_and_saveexec_b64 s[18:19], s[16:17]
	s_xor_b64 s[16:17], exec, s[18:19]
; %bb.47:                               ;   in Loop: Header=BB87_2 Depth=1
	ds_read_u8 v52, v51 offset:1
; %bb.48:                               ;   in Loop: Header=BB87_2 Depth=1
	s_or_saveexec_b64 s[16:17], s[16:17]
	v_mov_b32_e32 v53, v49
	s_xor_b64 exec, exec, s[16:17]
	s_cbranch_execz .LBB87_50
; %bb.49:                               ;   in Loop: Header=BB87_2 Depth=1
	ds_read_u8 v53, v50 offset:1
	s_waitcnt lgkmcnt(1)
	v_mov_b32_e32 v52, v48
.LBB87_50:                              ;   in Loop: Header=BB87_2 Depth=1
	s_or_b64 exec, exec, s[16:17]
	v_add_u32_e32 v54, 1, v51
	v_cndmask_b32_e64 v48, v48, v49, s[14:15]
	v_add_u32_e32 v49, 1, v50
	v_cndmask_b32_e64 v54, v54, v51, s[14:15]
	v_cndmask_b32_e64 v49, v50, v49, s[14:15]
	;; [unrolled: 1-line block ×5, first 2 shown]
	v_cmp_ge_i32_e64 s[12:13], v54, v14
	s_waitcnt lgkmcnt(0)
	v_cmp_lt_u16_sdwa s[14:15], v53, v52 src0_sel:BYTE_0 src1_sel:BYTE_0
	v_cndmask_b32_e64 v42, v42, v43, s[10:11]
	v_cndmask_b32_e64 v40, v40, v41, s[10:11]
	v_cmp_lt_i32_e64 s[10:11], v49, v15
	s_or_b64 s[12:13], s[12:13], s[14:15]
	s_and_b64 s[10:11], s[10:11], s[12:13]
	v_cndmask_b32_e64 v43, v54, v49, s[10:11]
	; wave barrier
	ds_write_b8 v2, v36
	ds_write_b8 v2, v38 offset:1
	ds_write_b8 v2, v39 offset:2
	;; [unrolled: 1-line block ×3, first 2 shown]
	s_waitcnt lgkmcnt(0)
	; wave barrier
	ds_read_u8 v36, v40
	ds_read_u8 v37, v43
	;; [unrolled: 1-line block ×4, first 2 shown]
	v_cndmask_b32_e64 v41, v52, v53, s[10:11]
	s_waitcnt lgkmcnt(0)
	; wave barrier
	ds_write_b8 v2, v42
	ds_write_b8 v2, v44 offset:1
	ds_write_b8 v2, v48 offset:2
	;; [unrolled: 1-line block ×3, first 2 shown]
	v_mov_b32_e32 v41, v33
	s_waitcnt lgkmcnt(0)
	; wave barrier
	s_and_saveexec_b64 s[12:13], s[6:7]
	s_cbranch_execz .LBB87_54
; %bb.51:                               ;   in Loop: Header=BB87_2 Depth=1
	s_mov_b64 s[14:15], 0
	v_mov_b32_e32 v41, v33
	v_mov_b32_e32 v40, v28
.LBB87_52:                              ;   Parent Loop BB87_2 Depth=1
                                        ; =>  This Inner Loop Header: Depth=2
	v_sub_u32_e32 v42, v40, v41
	v_lshrrev_b32_e32 v42, 1, v42
	v_add_u32_e32 v42, v42, v41
	v_add_u32_e32 v43, v6, v42
	v_xad_u32 v44, v42, -1, v23
	ds_read_u8 v43, v43
	ds_read_u8 v44, v44
	v_add_u32_e32 v45, 1, v42
	s_waitcnt lgkmcnt(0)
	v_cmp_lt_u16_e64 s[10:11], v44, v43
	v_cndmask_b32_e64 v40, v40, v42, s[10:11]
	v_cndmask_b32_e64 v41, v45, v41, s[10:11]
	v_cmp_ge_i32_e64 s[10:11], v41, v40
	s_or_b64 s[14:15], s[10:11], s[14:15]
	s_andn2_b64 exec, exec, s[14:15]
	s_cbranch_execnz .LBB87_52
; %bb.53:                               ;   in Loop: Header=BB87_2 Depth=1
	s_or_b64 exec, exec, s[14:15]
.LBB87_54:                              ;   in Loop: Header=BB87_2 Depth=1
	s_or_b64 exec, exec, s[12:13]
	v_add_u32_e32 v40, v41, v6
	v_sub_u32_e32 v41, v23, v41
	ds_read_u8 v42, v40
	ds_read_u8 v43, v41
	v_cmp_le_i32_e64 s[12:13], v16, v40
	v_cmp_gt_i32_e64 s[10:11], v17, v41
                                        ; implicit-def: $vgpr44
	s_waitcnt lgkmcnt(0)
	v_cmp_lt_u16_sdwa s[14:15], v43, v42 src0_sel:BYTE_0 src1_sel:BYTE_0
	s_or_b64 s[12:13], s[12:13], s[14:15]
	s_and_b64 s[10:11], s[10:11], s[12:13]
	s_xor_b64 s[12:13], s[10:11], -1
	s_and_saveexec_b64 s[14:15], s[12:13]
	s_xor_b64 s[12:13], exec, s[14:15]
; %bb.55:                               ;   in Loop: Header=BB87_2 Depth=1
	ds_read_u8 v44, v40 offset:1
; %bb.56:                               ;   in Loop: Header=BB87_2 Depth=1
	s_or_saveexec_b64 s[12:13], s[12:13]
	v_mov_b32_e32 v45, v43
	s_xor_b64 exec, exec, s[12:13]
	s_cbranch_execz .LBB87_58
; %bb.57:                               ;   in Loop: Header=BB87_2 Depth=1
	ds_read_u8 v45, v41 offset:1
	s_waitcnt lgkmcnt(1)
	v_mov_b32_e32 v44, v42
.LBB87_58:                              ;   in Loop: Header=BB87_2 Depth=1
	s_or_b64 exec, exec, s[12:13]
	v_add_u32_e32 v47, 1, v40
	v_add_u32_e32 v46, 1, v41
	v_cndmask_b32_e64 v47, v47, v40, s[10:11]
	v_cndmask_b32_e64 v46, v41, v46, s[10:11]
	v_cmp_ge_i32_e64 s[14:15], v47, v16
	s_waitcnt lgkmcnt(0)
	v_cmp_lt_u16_sdwa s[16:17], v45, v44 src0_sel:BYTE_0 src1_sel:BYTE_0
	v_cmp_lt_i32_e64 s[12:13], v46, v17
	s_or_b64 s[14:15], s[14:15], s[16:17]
	s_and_b64 s[12:13], s[12:13], s[14:15]
	s_xor_b64 s[14:15], s[12:13], -1
                                        ; implicit-def: $vgpr48
	s_and_saveexec_b64 s[16:17], s[14:15]
	s_xor_b64 s[14:15], exec, s[16:17]
; %bb.59:                               ;   in Loop: Header=BB87_2 Depth=1
	ds_read_u8 v48, v47 offset:1
; %bb.60:                               ;   in Loop: Header=BB87_2 Depth=1
	s_or_saveexec_b64 s[14:15], s[14:15]
	v_mov_b32_e32 v49, v45
	s_xor_b64 exec, exec, s[14:15]
	s_cbranch_execz .LBB87_62
; %bb.61:                               ;   in Loop: Header=BB87_2 Depth=1
	ds_read_u8 v49, v46 offset:1
	s_waitcnt lgkmcnt(1)
	v_mov_b32_e32 v48, v44
.LBB87_62:                              ;   in Loop: Header=BB87_2 Depth=1
	s_or_b64 exec, exec, s[14:15]
	v_add_u32_e32 v51, 1, v47
	v_add_u32_e32 v50, 1, v46
	v_cndmask_b32_e64 v51, v51, v47, s[12:13]
	v_cndmask_b32_e64 v50, v46, v50, s[12:13]
	v_cmp_ge_i32_e64 s[16:17], v51, v16
	s_waitcnt lgkmcnt(0)
	v_cmp_lt_u16_sdwa s[18:19], v49, v48 src0_sel:BYTE_0 src1_sel:BYTE_0
	v_cmp_lt_i32_e64 s[14:15], v50, v17
	s_or_b64 s[16:17], s[16:17], s[18:19]
	s_and_b64 s[14:15], s[14:15], s[16:17]
	s_xor_b64 s[16:17], s[14:15], -1
                                        ; implicit-def: $vgpr52
	s_and_saveexec_b64 s[18:19], s[16:17]
	s_xor_b64 s[16:17], exec, s[18:19]
; %bb.63:                               ;   in Loop: Header=BB87_2 Depth=1
	ds_read_u8 v52, v51 offset:1
; %bb.64:                               ;   in Loop: Header=BB87_2 Depth=1
	s_or_saveexec_b64 s[16:17], s[16:17]
	v_mov_b32_e32 v53, v49
	s_xor_b64 exec, exec, s[16:17]
	s_cbranch_execz .LBB87_66
; %bb.65:                               ;   in Loop: Header=BB87_2 Depth=1
	ds_read_u8 v53, v50 offset:1
	s_waitcnt lgkmcnt(1)
	v_mov_b32_e32 v52, v48
.LBB87_66:                              ;   in Loop: Header=BB87_2 Depth=1
	s_or_b64 exec, exec, s[16:17]
	v_add_u32_e32 v54, 1, v51
	v_cndmask_b32_e64 v48, v48, v49, s[14:15]
	v_add_u32_e32 v49, 1, v50
	v_cndmask_b32_e64 v54, v54, v51, s[14:15]
	v_cndmask_b32_e64 v49, v50, v49, s[14:15]
	;; [unrolled: 1-line block ×5, first 2 shown]
	v_cmp_ge_i32_e64 s[12:13], v54, v16
	s_waitcnt lgkmcnt(0)
	v_cmp_lt_u16_sdwa s[14:15], v53, v52 src0_sel:BYTE_0 src1_sel:BYTE_0
	v_cndmask_b32_e64 v42, v42, v43, s[10:11]
	v_cndmask_b32_e64 v40, v40, v41, s[10:11]
	v_cmp_lt_i32_e64 s[10:11], v49, v17
	s_or_b64 s[12:13], s[12:13], s[14:15]
	s_and_b64 s[10:11], s[10:11], s[12:13]
	v_cndmask_b32_e64 v43, v54, v49, s[10:11]
	; wave barrier
	ds_write_b8 v2, v36
	ds_write_b8 v2, v38 offset:1
	ds_write_b8 v2, v39 offset:2
	;; [unrolled: 1-line block ×3, first 2 shown]
	s_waitcnt lgkmcnt(0)
	; wave barrier
	ds_read_u8 v36, v40
	ds_read_u8 v37, v43
	;; [unrolled: 1-line block ×4, first 2 shown]
	v_cndmask_b32_e64 v41, v52, v53, s[10:11]
	s_waitcnt lgkmcnt(0)
	; wave barrier
	ds_write_b8 v2, v42
	ds_write_b8 v2, v44 offset:1
	ds_write_b8 v2, v48 offset:2
	;; [unrolled: 1-line block ×3, first 2 shown]
	v_mov_b32_e32 v41, v34
	s_waitcnt lgkmcnt(0)
	; wave barrier
	s_and_saveexec_b64 s[12:13], s[8:9]
	s_cbranch_execz .LBB87_70
; %bb.67:                               ;   in Loop: Header=BB87_2 Depth=1
	s_mov_b64 s[14:15], 0
	v_mov_b32_e32 v41, v34
	v_mov_b32_e32 v40, v29
.LBB87_68:                              ;   Parent Loop BB87_2 Depth=1
                                        ; =>  This Inner Loop Header: Depth=2
	v_sub_u32_e32 v42, v40, v41
	v_lshrrev_b32_e32 v42, 1, v42
	v_add_u32_e32 v42, v42, v41
	v_add_u32_e32 v43, v7, v42
	v_xad_u32 v44, v42, -1, v24
	ds_read_u8 v43, v43
	ds_read_u8 v44, v44
	v_add_u32_e32 v45, 1, v42
	s_waitcnt lgkmcnt(0)
	v_cmp_lt_u16_e64 s[10:11], v44, v43
	v_cndmask_b32_e64 v40, v40, v42, s[10:11]
	v_cndmask_b32_e64 v41, v45, v41, s[10:11]
	v_cmp_ge_i32_e64 s[10:11], v41, v40
	s_or_b64 s[14:15], s[10:11], s[14:15]
	s_andn2_b64 exec, exec, s[14:15]
	s_cbranch_execnz .LBB87_68
; %bb.69:                               ;   in Loop: Header=BB87_2 Depth=1
	s_or_b64 exec, exec, s[14:15]
.LBB87_70:                              ;   in Loop: Header=BB87_2 Depth=1
	s_or_b64 exec, exec, s[12:13]
	v_add_u32_e32 v40, v41, v7
	v_sub_u32_e32 v41, v24, v41
	ds_read_u8 v42, v40
	ds_read_u8 v43, v41
	v_cmp_le_i32_e64 s[12:13], v18, v40
	v_cmp_gt_i32_e64 s[10:11], v19, v41
                                        ; implicit-def: $vgpr44
	s_waitcnt lgkmcnt(0)
	v_cmp_lt_u16_sdwa s[14:15], v43, v42 src0_sel:BYTE_0 src1_sel:BYTE_0
	s_or_b64 s[12:13], s[12:13], s[14:15]
	s_and_b64 s[10:11], s[10:11], s[12:13]
	s_xor_b64 s[12:13], s[10:11], -1
	s_and_saveexec_b64 s[14:15], s[12:13]
	s_xor_b64 s[12:13], exec, s[14:15]
; %bb.71:                               ;   in Loop: Header=BB87_2 Depth=1
	ds_read_u8 v44, v40 offset:1
; %bb.72:                               ;   in Loop: Header=BB87_2 Depth=1
	s_or_saveexec_b64 s[12:13], s[12:13]
	v_mov_b32_e32 v45, v43
	s_xor_b64 exec, exec, s[12:13]
	s_cbranch_execz .LBB87_74
; %bb.73:                               ;   in Loop: Header=BB87_2 Depth=1
	ds_read_u8 v45, v41 offset:1
	s_waitcnt lgkmcnt(1)
	v_mov_b32_e32 v44, v42
.LBB87_74:                              ;   in Loop: Header=BB87_2 Depth=1
	s_or_b64 exec, exec, s[12:13]
	v_add_u32_e32 v47, 1, v40
	v_add_u32_e32 v46, 1, v41
	v_cndmask_b32_e64 v47, v47, v40, s[10:11]
	v_cndmask_b32_e64 v46, v41, v46, s[10:11]
	v_cmp_ge_i32_e64 s[14:15], v47, v18
	s_waitcnt lgkmcnt(0)
	v_cmp_lt_u16_sdwa s[16:17], v45, v44 src0_sel:BYTE_0 src1_sel:BYTE_0
	v_cmp_lt_i32_e64 s[12:13], v46, v19
	s_or_b64 s[14:15], s[14:15], s[16:17]
	s_and_b64 s[12:13], s[12:13], s[14:15]
	s_xor_b64 s[14:15], s[12:13], -1
                                        ; implicit-def: $vgpr48
	s_and_saveexec_b64 s[16:17], s[14:15]
	s_xor_b64 s[14:15], exec, s[16:17]
; %bb.75:                               ;   in Loop: Header=BB87_2 Depth=1
	ds_read_u8 v48, v47 offset:1
; %bb.76:                               ;   in Loop: Header=BB87_2 Depth=1
	s_or_saveexec_b64 s[14:15], s[14:15]
	v_mov_b32_e32 v49, v45
	s_xor_b64 exec, exec, s[14:15]
	s_cbranch_execz .LBB87_78
; %bb.77:                               ;   in Loop: Header=BB87_2 Depth=1
	ds_read_u8 v49, v46 offset:1
	s_waitcnt lgkmcnt(1)
	v_mov_b32_e32 v48, v44
.LBB87_78:                              ;   in Loop: Header=BB87_2 Depth=1
	s_or_b64 exec, exec, s[14:15]
	v_add_u32_e32 v51, 1, v47
	v_add_u32_e32 v50, 1, v46
	v_cndmask_b32_e64 v51, v51, v47, s[12:13]
	v_cndmask_b32_e64 v50, v46, v50, s[12:13]
	v_cmp_ge_i32_e64 s[16:17], v51, v18
	s_waitcnt lgkmcnt(0)
	v_cmp_lt_u16_sdwa s[18:19], v49, v48 src0_sel:BYTE_0 src1_sel:BYTE_0
	v_cmp_lt_i32_e64 s[14:15], v50, v19
	s_or_b64 s[16:17], s[16:17], s[18:19]
	s_and_b64 s[14:15], s[14:15], s[16:17]
	s_xor_b64 s[16:17], s[14:15], -1
                                        ; implicit-def: $vgpr52
	s_and_saveexec_b64 s[18:19], s[16:17]
	s_xor_b64 s[16:17], exec, s[18:19]
; %bb.79:                               ;   in Loop: Header=BB87_2 Depth=1
	ds_read_u8 v52, v51 offset:1
; %bb.80:                               ;   in Loop: Header=BB87_2 Depth=1
	s_or_saveexec_b64 s[16:17], s[16:17]
	v_mov_b32_e32 v53, v49
	s_xor_b64 exec, exec, s[16:17]
	s_cbranch_execz .LBB87_82
; %bb.81:                               ;   in Loop: Header=BB87_2 Depth=1
	ds_read_u8 v53, v50 offset:1
	s_waitcnt lgkmcnt(1)
	v_mov_b32_e32 v52, v48
.LBB87_82:                              ;   in Loop: Header=BB87_2 Depth=1
	s_or_b64 exec, exec, s[16:17]
	v_add_u32_e32 v54, 1, v51
	v_cndmask_b32_e64 v48, v48, v49, s[14:15]
	v_add_u32_e32 v49, 1, v50
	v_cndmask_b32_e64 v54, v54, v51, s[14:15]
	v_cndmask_b32_e64 v49, v50, v49, s[14:15]
	;; [unrolled: 1-line block ×5, first 2 shown]
	v_cmp_ge_i32_e64 s[12:13], v54, v18
	s_waitcnt lgkmcnt(0)
	v_cmp_lt_u16_sdwa s[14:15], v53, v52 src0_sel:BYTE_0 src1_sel:BYTE_0
	v_cndmask_b32_e64 v42, v42, v43, s[10:11]
	v_cndmask_b32_e64 v40, v40, v41, s[10:11]
	v_cmp_lt_i32_e64 s[10:11], v49, v19
	s_or_b64 s[12:13], s[12:13], s[14:15]
	s_and_b64 s[10:11], s[10:11], s[12:13]
	v_cndmask_b32_e64 v43, v54, v49, s[10:11]
	; wave barrier
	ds_write_b8 v2, v36
	ds_write_b8 v2, v38 offset:1
	ds_write_b8 v2, v39 offset:2
	;; [unrolled: 1-line block ×3, first 2 shown]
	s_waitcnt lgkmcnt(0)
	; wave barrier
	ds_read_u8 v36, v40
	ds_read_u8 v37, v43
	;; [unrolled: 1-line block ×4, first 2 shown]
	v_mov_b32_e32 v40, v8
	v_cndmask_b32_e64 v41, v52, v53, s[10:11]
	s_waitcnt lgkmcnt(0)
	; wave barrier
	ds_write_b8 v2, v42
	ds_write_b8 v2, v44 offset:1
	ds_write_b8 v2, v48 offset:2
	;; [unrolled: 1-line block ×3, first 2 shown]
	s_waitcnt lgkmcnt(0)
	; wave barrier
	s_and_saveexec_b64 s[12:13], vcc
	s_cbranch_execz .LBB87_86
; %bb.83:                               ;   in Loop: Header=BB87_2 Depth=1
	s_mov_b64 s[14:15], 0
	v_mov_b32_e32 v40, v8
	v_mov_b32_e32 v41, v9
.LBB87_84:                              ;   Parent Loop BB87_2 Depth=1
                                        ; =>  This Inner Loop Header: Depth=2
	v_sub_u32_e32 v42, v41, v40
	v_lshrrev_b32_e32 v42, 1, v42
	v_add_u32_e32 v42, v42, v40
	v_xad_u32 v43, v42, -1, v35
	ds_read_u8 v44, v42
	ds_read_u8 v43, v43
	v_add_u32_e32 v45, 1, v42
	s_waitcnt lgkmcnt(0)
	v_cmp_lt_u16_e64 s[10:11], v43, v44
	v_cndmask_b32_e64 v41, v41, v42, s[10:11]
	v_cndmask_b32_e64 v40, v45, v40, s[10:11]
	v_cmp_ge_i32_e64 s[10:11], v40, v41
	s_or_b64 s[14:15], s[10:11], s[14:15]
	s_andn2_b64 exec, exec, s[14:15]
	s_cbranch_execnz .LBB87_84
; %bb.85:                               ;   in Loop: Header=BB87_2 Depth=1
	s_or_b64 exec, exec, s[14:15]
.LBB87_86:                              ;   in Loop: Header=BB87_2 Depth=1
	s_or_b64 exec, exec, s[12:13]
	v_sub_u32_e32 v43, v35, v40
	ds_read_u8 v41, v40
	ds_read_u8 v45, v43
	v_cmp_le_i32_e64 s[12:13], v1, v40
	v_cmp_gt_i32_e64 s[10:11], s41, v43
                                        ; implicit-def: $vgpr42
	s_waitcnt lgkmcnt(0)
	v_cmp_lt_u16_sdwa s[14:15], v45, v41 src0_sel:BYTE_0 src1_sel:BYTE_0
	s_or_b64 s[12:13], s[12:13], s[14:15]
	s_and_b64 s[10:11], s[10:11], s[12:13]
	s_xor_b64 s[12:13], s[10:11], -1
	s_and_saveexec_b64 s[14:15], s[12:13]
	s_xor_b64 s[12:13], exec, s[14:15]
; %bb.87:                               ;   in Loop: Header=BB87_2 Depth=1
	ds_read_u8 v42, v40 offset:1
; %bb.88:                               ;   in Loop: Header=BB87_2 Depth=1
	s_or_saveexec_b64 s[12:13], s[12:13]
	v_mov_b32_e32 v44, v45
	s_xor_b64 exec, exec, s[12:13]
	s_cbranch_execz .LBB87_90
; %bb.89:                               ;   in Loop: Header=BB87_2 Depth=1
	ds_read_u8 v44, v43 offset:1
	s_waitcnt lgkmcnt(1)
	v_mov_b32_e32 v42, v41
.LBB87_90:                              ;   in Loop: Header=BB87_2 Depth=1
	s_or_b64 exec, exec, s[12:13]
	v_add_u32_e32 v47, 1, v40
	v_add_u32_e32 v46, 1, v43
	v_cndmask_b32_e64 v49, v47, v40, s[10:11]
	v_cndmask_b32_e64 v48, v43, v46, s[10:11]
	v_cmp_ge_i32_e64 s[14:15], v49, v1
	s_waitcnt lgkmcnt(0)
	v_cmp_lt_u16_sdwa s[16:17], v44, v42 src0_sel:BYTE_0 src1_sel:BYTE_0
	v_cmp_gt_i32_e64 s[12:13], s41, v48
	s_or_b64 s[14:15], s[14:15], s[16:17]
	s_and_b64 s[12:13], s[12:13], s[14:15]
	s_xor_b64 s[14:15], s[12:13], -1
                                        ; implicit-def: $vgpr46
	s_and_saveexec_b64 s[16:17], s[14:15]
	s_xor_b64 s[14:15], exec, s[16:17]
; %bb.91:                               ;   in Loop: Header=BB87_2 Depth=1
	ds_read_u8 v46, v49 offset:1
; %bb.92:                               ;   in Loop: Header=BB87_2 Depth=1
	s_or_saveexec_b64 s[14:15], s[14:15]
	v_mov_b32_e32 v47, v44
	s_xor_b64 exec, exec, s[14:15]
	s_cbranch_execz .LBB87_94
; %bb.93:                               ;   in Loop: Header=BB87_2 Depth=1
	ds_read_u8 v47, v48 offset:1
	s_waitcnt lgkmcnt(1)
	v_mov_b32_e32 v46, v42
.LBB87_94:                              ;   in Loop: Header=BB87_2 Depth=1
	s_or_b64 exec, exec, s[14:15]
	v_add_u32_e32 v51, 1, v49
	v_add_u32_e32 v50, 1, v48
	v_cndmask_b32_e64 v54, v51, v49, s[12:13]
	v_cndmask_b32_e64 v50, v48, v50, s[12:13]
	v_cmp_ge_i32_e64 s[16:17], v54, v1
	s_waitcnt lgkmcnt(0)
	v_cmp_lt_u16_sdwa s[18:19], v47, v46 src0_sel:BYTE_0 src1_sel:BYTE_0
	v_cmp_gt_i32_e64 s[14:15], s41, v50
	s_or_b64 s[16:17], s[16:17], s[18:19]
	s_and_b64 s[14:15], s[14:15], s[16:17]
	s_xor_b64 s[16:17], s[14:15], -1
                                        ; implicit-def: $vgpr53
                                        ; implicit-def: $vgpr52
	s_and_saveexec_b64 s[18:19], s[16:17]
	s_xor_b64 s[16:17], exec, s[18:19]
; %bb.95:                               ;   in Loop: Header=BB87_2 Depth=1
	ds_read_u8 v53, v54 offset:1
	v_add_u32_e32 v52, 1, v54
; %bb.96:                               ;   in Loop: Header=BB87_2 Depth=1
	s_or_saveexec_b64 s[16:17], s[16:17]
	v_mov_b32_e32 v51, v54
	v_mov_b32_e32 v55, v47
	s_xor_b64 exec, exec, s[16:17]
	s_cbranch_execz .LBB87_1
; %bb.97:                               ;   in Loop: Header=BB87_2 Depth=1
	ds_read_u8 v55, v50 offset:1
	s_waitcnt lgkmcnt(1)
	v_add_u32_e32 v53, 1, v50
	v_mov_b32_e32 v51, v50
	v_mov_b32_e32 v52, v54
	;; [unrolled: 1-line block ×4, first 2 shown]
	s_branch .LBB87_1
.LBB87_98:
	s_add_u32 s0, s30, s33
	s_addc_u32 s1, s31, 0
	v_mov_b32_e32 v1, s1
	v_add_co_u32_e32 v0, vcc, s0, v0
	s_waitcnt lgkmcnt(3)
	v_add_u16_e32 v2, v41, v36
	v_addc_co_u32_e32 v1, vcc, 0, v1, vcc
	s_waitcnt lgkmcnt(0)
	v_add_u16_e32 v3, v42, v37
	v_add_u16_e32 v4, v43, v38
	;; [unrolled: 1-line block ×3, first 2 shown]
	global_store_byte v[0:1], v2, off
	global_store_byte v[0:1], v3, off offset:64
	global_store_byte v[0:1], v4, off offset:128
	;; [unrolled: 1-line block ×3, first 2 shown]
	s_endpgm
	.section	.rodata,"a",@progbits
	.p2align	6, 0x0
	.amdhsa_kernel _Z17sort_pairs_kernelIhLj64ELj4EN10test_utils4lessELj10EEvPKT_PS2_T2_
		.amdhsa_group_segment_fixed_size 257
		.amdhsa_private_segment_fixed_size 0
		.amdhsa_kernarg_size 20
		.amdhsa_user_sgpr_count 6
		.amdhsa_user_sgpr_private_segment_buffer 1
		.amdhsa_user_sgpr_dispatch_ptr 0
		.amdhsa_user_sgpr_queue_ptr 0
		.amdhsa_user_sgpr_kernarg_segment_ptr 1
		.amdhsa_user_sgpr_dispatch_id 0
		.amdhsa_user_sgpr_flat_scratch_init 0
		.amdhsa_user_sgpr_private_segment_size 0
		.amdhsa_uses_dynamic_stack 0
		.amdhsa_system_sgpr_private_segment_wavefront_offset 0
		.amdhsa_system_sgpr_workgroup_id_x 1
		.amdhsa_system_sgpr_workgroup_id_y 0
		.amdhsa_system_sgpr_workgroup_id_z 0
		.amdhsa_system_sgpr_workgroup_info 0
		.amdhsa_system_vgpr_workitem_id 0
		.amdhsa_next_free_vgpr 56
		.amdhsa_next_free_sgpr 44
		.amdhsa_reserve_vcc 1
		.amdhsa_reserve_flat_scratch 0
		.amdhsa_float_round_mode_32 0
		.amdhsa_float_round_mode_16_64 0
		.amdhsa_float_denorm_mode_32 3
		.amdhsa_float_denorm_mode_16_64 3
		.amdhsa_dx10_clamp 1
		.amdhsa_ieee_mode 1
		.amdhsa_fp16_overflow 0
		.amdhsa_exception_fp_ieee_invalid_op 0
		.amdhsa_exception_fp_denorm_src 0
		.amdhsa_exception_fp_ieee_div_zero 0
		.amdhsa_exception_fp_ieee_overflow 0
		.amdhsa_exception_fp_ieee_underflow 0
		.amdhsa_exception_fp_ieee_inexact 0
		.amdhsa_exception_int_div_zero 0
	.end_amdhsa_kernel
	.section	.text._Z17sort_pairs_kernelIhLj64ELj4EN10test_utils4lessELj10EEvPKT_PS2_T2_,"axG",@progbits,_Z17sort_pairs_kernelIhLj64ELj4EN10test_utils4lessELj10EEvPKT_PS2_T2_,comdat
.Lfunc_end87:
	.size	_Z17sort_pairs_kernelIhLj64ELj4EN10test_utils4lessELj10EEvPKT_PS2_T2_, .Lfunc_end87-_Z17sort_pairs_kernelIhLj64ELj4EN10test_utils4lessELj10EEvPKT_PS2_T2_
                                        ; -- End function
	.set _Z17sort_pairs_kernelIhLj64ELj4EN10test_utils4lessELj10EEvPKT_PS2_T2_.num_vgpr, 56
	.set _Z17sort_pairs_kernelIhLj64ELj4EN10test_utils4lessELj10EEvPKT_PS2_T2_.num_agpr, 0
	.set _Z17sort_pairs_kernelIhLj64ELj4EN10test_utils4lessELj10EEvPKT_PS2_T2_.numbered_sgpr, 44
	.set _Z17sort_pairs_kernelIhLj64ELj4EN10test_utils4lessELj10EEvPKT_PS2_T2_.num_named_barrier, 0
	.set _Z17sort_pairs_kernelIhLj64ELj4EN10test_utils4lessELj10EEvPKT_PS2_T2_.private_seg_size, 0
	.set _Z17sort_pairs_kernelIhLj64ELj4EN10test_utils4lessELj10EEvPKT_PS2_T2_.uses_vcc, 1
	.set _Z17sort_pairs_kernelIhLj64ELj4EN10test_utils4lessELj10EEvPKT_PS2_T2_.uses_flat_scratch, 0
	.set _Z17sort_pairs_kernelIhLj64ELj4EN10test_utils4lessELj10EEvPKT_PS2_T2_.has_dyn_sized_stack, 0
	.set _Z17sort_pairs_kernelIhLj64ELj4EN10test_utils4lessELj10EEvPKT_PS2_T2_.has_recursion, 0
	.set _Z17sort_pairs_kernelIhLj64ELj4EN10test_utils4lessELj10EEvPKT_PS2_T2_.has_indirect_call, 0
	.section	.AMDGPU.csdata,"",@progbits
; Kernel info:
; codeLenInByte = 5228
; TotalNumSgprs: 48
; NumVgprs: 56
; ScratchSize: 0
; MemoryBound: 0
; FloatMode: 240
; IeeeMode: 1
; LDSByteSize: 257 bytes/workgroup (compile time only)
; SGPRBlocks: 5
; VGPRBlocks: 13
; NumSGPRsForWavesPerEU: 48
; NumVGPRsForWavesPerEU: 56
; Occupancy: 4
; WaveLimiterHint : 0
; COMPUTE_PGM_RSRC2:SCRATCH_EN: 0
; COMPUTE_PGM_RSRC2:USER_SGPR: 6
; COMPUTE_PGM_RSRC2:TRAP_HANDLER: 0
; COMPUTE_PGM_RSRC2:TGID_X_EN: 1
; COMPUTE_PGM_RSRC2:TGID_Y_EN: 0
; COMPUTE_PGM_RSRC2:TGID_Z_EN: 0
; COMPUTE_PGM_RSRC2:TIDIG_COMP_CNT: 0
	.section	.text._Z16sort_keys_kernelIhLj64ELj8EN10test_utils4lessELj10EEvPKT_PS2_T2_,"axG",@progbits,_Z16sort_keys_kernelIhLj64ELj8EN10test_utils4lessELj10EEvPKT_PS2_T2_,comdat
	.protected	_Z16sort_keys_kernelIhLj64ELj8EN10test_utils4lessELj10EEvPKT_PS2_T2_ ; -- Begin function _Z16sort_keys_kernelIhLj64ELj8EN10test_utils4lessELj10EEvPKT_PS2_T2_
	.globl	_Z16sort_keys_kernelIhLj64ELj8EN10test_utils4lessELj10EEvPKT_PS2_T2_
	.p2align	8
	.type	_Z16sort_keys_kernelIhLj64ELj8EN10test_utils4lessELj10EEvPKT_PS2_T2_,@function
_Z16sort_keys_kernelIhLj64ELj8EN10test_utils4lessELj10EEvPKT_PS2_T2_: ; @_Z16sort_keys_kernelIhLj64ELj8EN10test_utils4lessELj10EEvPKT_PS2_T2_
; %bb.0:
	s_load_dwordx4 s[24:27], s[4:5], 0x0
	s_lshl_b32 s28, s6, 9
	v_lshlrev_b32_e32 v2, 3, v0
	v_and_b32_e32 v3, 0x1f0, v2
	v_and_b32_e32 v4, 0x1e0, v2
	s_waitcnt lgkmcnt(0)
	s_add_u32 s0, s24, s28
	s_addc_u32 s1, s25, 0
	global_load_ubyte v35, v0, s[0:1] offset:64
	global_load_ubyte v36, v0, s[0:1] offset:128
	;; [unrolled: 1-line block ×5, first 2 shown]
	global_load_ubyte v40, v0, s[0:1]
	global_load_ubyte v41, v0, s[0:1] offset:256
	global_load_ubyte v42, v0, s[0:1] offset:384
	v_or_b32_e32 v10, 8, v3
	v_add_u32_e32 v11, 16, v3
	v_and_b32_e32 v30, 8, v2
	v_and_b32_e32 v5, 0x1c0, v2
	v_or_b32_e32 v12, 16, v4
	v_add_u32_e32 v13, 32, v4
	v_sub_u32_e32 v43, v11, v10
	v_and_b32_e32 v31, 24, v2
	v_and_b32_e32 v6, 0x180, v2
	v_or_b32_e32 v14, 32, v5
	v_add_u32_e32 v15, 64, v5
	v_sub_u32_e32 v44, v13, v12
	v_sub_u32_e32 v25, v10, v3
	;; [unrolled: 1-line block ×3, first 2 shown]
	v_cmp_ge_i32_e32 vcc, v30, v43
	v_and_b32_e32 v32, 56, v2
	v_and_b32_e32 v7, 0x100, v2
	v_or_b32_e32 v16, 64, v6
	v_add_u32_e32 v17, 0x80, v6
	v_sub_u32_e32 v45, v15, v14
	v_add_u32_e32 v20, v10, v30
	v_sub_u32_e32 v26, v12, v4
	v_sub_u32_e32 v49, v31, v44
	v_min_i32_e32 v25, v30, v25
	v_cndmask_b32_e32 v30, 0, v48, vcc
	v_cmp_ge_i32_e32 vcc, v31, v44
	v_and_b32_e32 v33, 0x78, v2
	v_or_b32_e32 v18, 0x80, v7
	v_add_u32_e32 v19, 0x100, v7
	v_sub_u32_e32 v46, v17, v16
	v_add_u32_e32 v21, v12, v31
	v_sub_u32_e32 v27, v14, v5
	v_sub_u32_e32 v50, v32, v45
	v_min_i32_e32 v26, v31, v26
	v_cndmask_b32_e32 v31, 0, v49, vcc
	v_cmp_ge_i32_e32 vcc, v32, v45
	v_and_b32_e32 v34, 0xf8, v2
	v_sub_u32_e32 v47, v19, v18
	v_add_u32_e32 v22, v14, v32
	v_sub_u32_e32 v28, v16, v6
	v_sub_u32_e32 v51, v33, v46
	v_min_i32_e32 v27, v32, v27
	v_cndmask_b32_e32 v32, 0, v50, vcc
	v_cmp_ge_i32_e32 vcc, v33, v46
	s_mov_b32 s12, 0xc0c0004
	v_mov_b32_e32 v1, 0x100
	v_add_u32_e32 v23, v16, v33
	v_sub_u32_e32 v29, v18, v7
	v_sub_u32_e32 v52, v34, v47
	v_min_i32_e32 v28, v33, v28
	v_cndmask_b32_e32 v33, 0, v51, vcc
	v_cmp_ge_i32_e32 vcc, v34, v47
	v_sub_u32_e64 v8, v2, v1 clamp
	v_min_i32_e32 v9, 0x100, v2
	v_add_u32_e32 v24, v18, v34
	v_min_i32_e32 v29, v34, v29
	v_cndmask_b32_e32 v34, 0, v52, vcc
	s_mov_b32 s29, 0
	s_mov_b32 s30, 0x7060405
	s_movk_i32 s31, 0xff
	v_cmp_lt_i32_e64 s[0:1], v8, v9
	v_cmp_lt_i32_e64 s[2:3], v30, v25
	;; [unrolled: 1-line block ×6, first 2 shown]
	s_mov_b32 s33, 0xc0c0001
	s_mov_b32 s34, 0xffff
	;; [unrolled: 1-line block ×3, first 2 shown]
	s_movk_i32 s36, 0xff00
	s_mov_b32 s37, 0xffff0000
	s_movk_i32 s38, 0x200
	s_waitcnt vmcnt(3)
	v_perm_b32 v36, v36, v39, s12
	s_waitcnt vmcnt(2)
	v_perm_b32 v35, v40, v35, s12
	;; [unrolled: 2-line block ×4, first 2 shown]
	v_lshl_or_b32 v44, v36, 16, v35
	v_lshl_or_b32 v36, v37, 16, v38
	v_add_u32_e32 v35, 0x100, v2
	s_branch .LBB88_2
.LBB88_1:                               ;   in Loop: Header=BB88_2 Depth=1
	s_or_b64 exec, exec, s[24:25]
	v_cndmask_b32_e64 v38, v38, v39, s[12:13]
	v_cndmask_b32_e64 v39, v40, v41, s[14:15]
	v_cmp_ge_i32_e64 s[12:13], v52, v1
	s_waitcnt lgkmcnt(0)
	v_cmp_lt_u16_sdwa s[14:15], v54, v51 src0_sel:BYTE_0 src1_sel:BYTE_0
	v_cndmask_b32_e32 v37, v36, v37, vcc
	v_cndmask_b32_e64 v40, v42, v43, s[16:17]
	v_cmp_gt_i32_e32 vcc, s38, v50
	s_or_b64 s[12:13], s[12:13], s[14:15]
	v_cndmask_b32_e64 v41, v44, v45, s[18:19]
	s_and_b64 vcc, vcc, s[12:13]
	v_lshlrev_b16_e32 v36, 8, v38
	v_lshlrev_b16_e32 v44, 8, v40
	v_cndmask_b32_e64 v42, v46, v47, s[20:21]
	v_cndmask_b32_e32 v45, v51, v54, vcc
	v_or_b32_sdwa v36, v37, v36 dst_sel:DWORD dst_unused:UNUSED_PAD src0_sel:BYTE_0 src1_sel:DWORD
	v_or_b32_sdwa v44, v39, v44 dst_sel:WORD_1 dst_unused:UNUSED_PAD src0_sel:BYTE_0 src1_sel:DWORD
	v_cndmask_b32_e64 v43, v48, v49, s[22:23]
	v_or_b32_sdwa v44, v36, v44 dst_sel:DWORD dst_unused:UNUSED_PAD src0_sel:WORD_0 src1_sel:DWORD
	v_lshlrev_b16_e32 v36, 8, v42
	v_lshlrev_b16_e32 v46, 8, v45
	s_add_i32 s29, s29, 1
	v_or_b32_sdwa v36, v41, v36 dst_sel:DWORD dst_unused:UNUSED_PAD src0_sel:BYTE_0 src1_sel:DWORD
	v_or_b32_sdwa v46, v43, v46 dst_sel:WORD_1 dst_unused:UNUSED_PAD src0_sel:BYTE_0 src1_sel:DWORD
	s_cmp_eq_u32 s29, 10
	v_or_b32_sdwa v36, v36, v46 dst_sel:DWORD dst_unused:UNUSED_PAD src0_sel:WORD_0 src1_sel:DWORD
	s_cbranch_scc1 .LBB88_194
.LBB88_2:                               ; =>This Loop Header: Depth=1
                                        ;     Child Loop BB88_4 Depth 2
                                        ;     Child Loop BB88_36 Depth 2
	;; [unrolled: 1-line block ×6, first 2 shown]
	v_lshrrev_b32_e32 v38, 8, v44
	v_perm_b32 v37, v44, v44, s30
	v_cmp_lt_u16_sdwa vcc, v38, v44 src0_sel:BYTE_0 src1_sel:BYTE_0
	v_cndmask_b32_e32 v37, v44, v37, vcc
	v_lshrrev_b32_e32 v39, 16, v37
	v_perm_b32 v40, 0, v39, s33
	v_lshlrev_b32_e32 v40, 16, v40
	v_and_or_b32 v40, v37, s34, v40
	v_cmp_lt_u16_sdwa vcc, v37, v39 src0_sel:BYTE_3 src1_sel:BYTE_0
	v_cndmask_b32_e32 v40, v37, v40, vcc
	v_max_u16_sdwa v43, v37, v39 dst_sel:DWORD dst_unused:UNUSED_PAD src0_sel:BYTE_3 src1_sel:BYTE_0
	v_min_u16_sdwa v37, v37, v39 dst_sel:DWORD dst_unused:UNUSED_PAD src0_sel:BYTE_3 src1_sel:BYTE_0
	v_lshrrev_b32_e32 v39, 8, v36
	v_perm_b32 v42, v36, v36, s30
	v_cmp_lt_u16_sdwa vcc, v39, v36 src0_sel:BYTE_0 src1_sel:BYTE_0
	v_cndmask_b32_e32 v42, v36, v42, vcc
	v_min_u16_sdwa v41, v38, v44 dst_sel:DWORD dst_unused:UNUSED_PAD src0_sel:BYTE_0 src1_sel:BYTE_0
	v_max_u16_sdwa v38, v38, v44 dst_sel:DWORD dst_unused:UNUSED_PAD src0_sel:BYTE_0 src1_sel:BYTE_0
	v_max_u16_sdwa v44, v39, v36 dst_sel:DWORD dst_unused:UNUSED_PAD src0_sel:BYTE_0 src1_sel:BYTE_0
	v_min_u16_sdwa v36, v39, v36 dst_sel:DWORD dst_unused:UNUSED_PAD src0_sel:BYTE_0 src1_sel:BYTE_0
	v_and_b32_sdwa v39, v42, s31 dst_sel:DWORD dst_unused:UNUSED_PAD src0_sel:WORD_1 src1_sel:DWORD
	v_perm_b32 v45, v42, v42, s35
	v_cmp_lt_u16_sdwa vcc, v42, v39 src0_sel:BYTE_3 src1_sel:DWORD
	v_and_b32_sdwa v46, v40, s36 dst_sel:DWORD dst_unused:UNUSED_PAD src0_sel:WORD_1 src1_sel:DWORD
	v_cndmask_b32_e32 v45, v42, v45, vcc
	v_max_u16_sdwa v47, v42, v39 dst_sel:DWORD dst_unused:UNUSED_PAD src0_sel:BYTE_3 src1_sel:DWORD
	v_min_u16_sdwa v39, v42, v39 dst_sel:DWORD dst_unused:UNUSED_PAD src0_sel:BYTE_3 src1_sel:DWORD
	v_lshlrev_b16_e32 v42, 8, v37
	v_or_b32_sdwa v46, v38, v46 dst_sel:WORD_1 dst_unused:UNUSED_PAD src0_sel:DWORD src1_sel:DWORD
	v_or_b32_sdwa v42, v40, v42 dst_sel:DWORD dst_unused:UNUSED_PAD src0_sel:BYTE_0 src1_sel:DWORD
	v_or_b32_sdwa v42, v42, v46 dst_sel:DWORD dst_unused:UNUSED_PAD src0_sel:WORD_0 src1_sel:DWORD
	v_cmp_lt_u16_e32 vcc, v37, v38
	v_cndmask_b32_e32 v40, v40, v42, vcc
	v_and_b32_e32 v46, 0xffffff00, v45
	v_and_b32_sdwa v42, v40, s31 dst_sel:DWORD dst_unused:UNUSED_PAD src0_sel:WORD_1 src1_sel:DWORD
	v_or_b32_e32 v46, v43, v46
	v_lshlrev_b16_e32 v49, 8, v36
	v_and_b32_e32 v46, 0xffff, v46
	v_or_b32_sdwa v42, v42, v49 dst_sel:WORD_1 dst_unused:UNUSED_PAD src0_sel:DWORD src1_sel:DWORD
	v_and_or_b32 v46, v45, s37, v46
	v_and_or_b32 v42, v40, s34, v42
	v_cmp_lt_u16_e32 vcc, v36, v43
	v_cndmask_b32_e32 v40, v40, v42, vcc
	v_cndmask_b32_e32 v42, v45, v46, vcc
	v_and_b32_sdwa v45, v42, s36 dst_sel:DWORD dst_unused:UNUSED_PAD src0_sel:WORD_1 src1_sel:DWORD
	v_max_u16_e32 v46, v36, v43
	v_min_u16_e32 v36, v36, v43
	v_lshlrev_b16_e32 v43, 8, v39
	v_or_b32_sdwa v45, v44, v45 dst_sel:WORD_1 dst_unused:UNUSED_PAD src0_sel:DWORD src1_sel:DWORD
	v_or_b32_sdwa v43, v42, v43 dst_sel:DWORD dst_unused:UNUSED_PAD src0_sel:BYTE_0 src1_sel:DWORD
	v_max_u16_e32 v48, v37, v38
	v_min_u16_e32 v38, v37, v38
	v_or_b32_sdwa v43, v43, v45 dst_sel:DWORD dst_unused:UNUSED_PAD src0_sel:WORD_0 src1_sel:DWORD
	v_lshlrev_b16_e32 v45, 8, v41
	v_or_b32_e32 v45, v38, v45
	v_and_b32_e32 v45, 0xffff, v45
	v_cmp_lt_u16_e32 vcc, v39, v44
	v_and_or_b32 v45, v40, s37, v45
	v_cndmask_b32_e32 v42, v42, v43, vcc
	v_cmp_lt_u16_e32 vcc, v37, v41
	v_cndmask_b32_e32 v37, v40, v45, vcc
	v_cndmask_b32_e32 v40, v41, v38, vcc
	;; [unrolled: 1-line block ×3, first 2 shown]
	v_lshlrev_b16_e32 v41, 8, v48
	v_or_b32_sdwa v41, v36, v41 dst_sel:WORD_1 dst_unused:UNUSED_PAD src0_sel:DWORD src1_sel:DWORD
	v_and_or_b32 v41, v37, s34, v41
	v_cmp_lt_u16_e32 vcc, v36, v48
	v_max_u16_e32 v43, v39, v44
	v_min_u16_e32 v39, v39, v44
	v_cndmask_b32_e32 v37, v37, v41, vcc
	v_lshlrev_b16_e32 v41, 8, v46
	v_or_b32_e32 v41, v39, v41
	v_and_b32_e32 v41, 0xffff, v41
	v_and_or_b32 v41, v42, s37, v41
	v_cmp_lt_u16_e32 vcc, v39, v46
	v_cndmask_b32_e32 v41, v42, v41, vcc
	v_max_u16_e32 v42, v39, v46
	v_min_u16_e32 v39, v39, v46
	v_lshlrev_b16_e32 v46, 8, v43
	v_or_b32_sdwa v46, v47, v46 dst_sel:WORD_1 dst_unused:UNUSED_PAD src0_sel:DWORD src1_sel:DWORD
	v_max_u16_e32 v45, v36, v48
	v_min_u16_e32 v36, v36, v48
	v_and_or_b32 v46, v41, s34, v46
	v_cmp_gt_u16_e32 vcc, v44, v47
	v_and_b32_sdwa v48, v37, s36 dst_sel:DWORD dst_unused:UNUSED_PAD src0_sel:WORD_1 src1_sel:DWORD
	v_cndmask_b32_e32 v41, v41, v46, vcc
	v_lshlrev_b16_e32 v46, 8, v36
	v_or_b32_sdwa v48, v38, v48 dst_sel:WORD_1 dst_unused:UNUSED_PAD src0_sel:DWORD src1_sel:DWORD
	v_or_b32_sdwa v46, v37, v46 dst_sel:DWORD dst_unused:UNUSED_PAD src0_sel:BYTE_0 src1_sel:DWORD
	v_cndmask_b32_e32 v44, v47, v43, vcc
	v_cndmask_b32_e32 v43, v43, v47, vcc
	v_or_b32_sdwa v46, v46, v48 dst_sel:DWORD dst_unused:UNUSED_PAD src0_sel:WORD_0 src1_sel:DWORD
	v_cmp_lt_u16_e32 vcc, v36, v38
	v_cndmask_b32_e32 v37, v37, v46, vcc
	v_and_b32_e32 v47, 0xffffff00, v41
	v_and_b32_sdwa v46, v37, s31 dst_sel:DWORD dst_unused:UNUSED_PAD src0_sel:WORD_1 src1_sel:DWORD
	v_or_b32_e32 v47, v45, v47
	v_max_u16_e32 v48, v36, v38
	v_min_u16_e32 v36, v36, v38
	v_lshlrev_b16_e32 v38, 8, v39
	v_and_b32_e32 v47, 0xffff, v47
	v_or_b32_sdwa v38, v46, v38 dst_sel:WORD_1 dst_unused:UNUSED_PAD src0_sel:DWORD src1_sel:DWORD
	v_and_or_b32 v47, v41, s37, v47
	v_and_or_b32 v38, v37, s34, v38
	v_cmp_lt_u16_e32 vcc, v39, v45
	v_cndmask_b32_e32 v37, v37, v38, vcc
	v_cndmask_b32_e32 v38, v41, v47, vcc
	v_and_b32_sdwa v41, v38, s36 dst_sel:DWORD dst_unused:UNUSED_PAD src0_sel:WORD_1 src1_sel:DWORD
	v_max_u16_e32 v46, v39, v45
	v_min_u16_e32 v39, v39, v45
	v_lshlrev_b16_e32 v45, 8, v43
	v_or_b32_sdwa v41, v42, v41 dst_sel:WORD_1 dst_unused:UNUSED_PAD src0_sel:DWORD src1_sel:DWORD
	v_or_b32_sdwa v45, v38, v45 dst_sel:DWORD dst_unused:UNUSED_PAD src0_sel:BYTE_0 src1_sel:DWORD
	v_or_b32_sdwa v41, v45, v41 dst_sel:DWORD dst_unused:UNUSED_PAD src0_sel:WORD_0 src1_sel:DWORD
	v_lshlrev_b16_e32 v45, 8, v40
	v_or_b32_e32 v45, v36, v45
	v_and_b32_e32 v45, 0xffff, v45
	v_cmp_lt_u16_e32 vcc, v43, v42
	v_and_or_b32 v45, v37, s37, v45
	v_cndmask_b32_e32 v38, v38, v41, vcc
	v_max_u16_e32 v41, v43, v42
	v_min_u16_e32 v42, v43, v42
	v_cmp_lt_u16_e32 vcc, v36, v40
	v_min_u16_e32 v43, v36, v40
	v_max_u16_e32 v36, v36, v40
	v_lshlrev_b16_e32 v40, 8, v48
	v_cndmask_b32_e32 v37, v37, v45, vcc
	v_or_b32_sdwa v40, v39, v40 dst_sel:WORD_1 dst_unused:UNUSED_PAD src0_sel:DWORD src1_sel:DWORD
	v_and_or_b32 v40, v37, s34, v40
	v_cmp_lt_u16_e32 vcc, v39, v48
	v_cndmask_b32_e32 v37, v37, v40, vcc
	v_lshlrev_b16_e32 v40, 8, v46
	v_or_b32_e32 v40, v42, v40
	v_and_b32_e32 v40, 0xffff, v40
	v_and_or_b32 v40, v38, s37, v40
	v_cmp_lt_u16_e32 vcc, v42, v46
	v_cndmask_b32_e32 v38, v38, v40, vcc
	v_max_u16_e32 v40, v42, v46
	v_min_u16_e32 v42, v42, v46
	v_lshlrev_b16_e32 v46, 8, v41
	v_or_b32_sdwa v46, v44, v46 dst_sel:WORD_1 dst_unused:UNUSED_PAD src0_sel:DWORD src1_sel:DWORD
	v_max_u16_e32 v45, v39, v48
	v_min_u16_e32 v39, v39, v48
	v_and_or_b32 v46, v38, s34, v46
	v_cmp_lt_u16_e32 vcc, v44, v41
	v_and_b32_sdwa v47, v37, s36 dst_sel:DWORD dst_unused:UNUSED_PAD src0_sel:WORD_1 src1_sel:DWORD
	v_cndmask_b32_e32 v38, v38, v46, vcc
	v_max_u16_e32 v46, v44, v41
	v_min_u16_e32 v41, v44, v41
	v_lshlrev_b16_e32 v44, 8, v39
	v_or_b32_sdwa v47, v36, v47 dst_sel:WORD_1 dst_unused:UNUSED_PAD src0_sel:DWORD src1_sel:DWORD
	v_or_b32_sdwa v44, v37, v44 dst_sel:DWORD dst_unused:UNUSED_PAD src0_sel:BYTE_0 src1_sel:DWORD
	v_or_b32_sdwa v44, v44, v47 dst_sel:DWORD dst_unused:UNUSED_PAD src0_sel:WORD_0 src1_sel:DWORD
	v_cmp_lt_u16_e32 vcc, v39, v36
	v_and_b32_e32 v47, 0xffffff00, v38
	v_cndmask_b32_e32 v37, v37, v44, vcc
	v_or_b32_e32 v47, v45, v47
	v_and_b32_sdwa v44, v37, s31 dst_sel:DWORD dst_unused:UNUSED_PAD src0_sel:WORD_1 src1_sel:DWORD
	v_and_b32_e32 v47, 0xffff, v47
	v_lshlrev_b16_e32 v49, 8, v42
	v_and_or_b32 v47, v38, s37, v47
	v_or_b32_sdwa v44, v44, v49 dst_sel:WORD_1 dst_unused:UNUSED_PAD src0_sel:DWORD src1_sel:DWORD
	v_cmp_lt_u16_e32 vcc, v42, v45
	v_and_or_b32 v44, v37, s34, v44
	v_cndmask_b32_e32 v38, v38, v47, vcc
	v_cndmask_b32_e32 v37, v37, v44, vcc
	v_and_b32_sdwa v44, v38, s36 dst_sel:DWORD dst_unused:UNUSED_PAD src0_sel:WORD_1 src1_sel:DWORD
	v_max_u16_e32 v47, v42, v45
	v_min_u16_e32 v42, v42, v45
	v_lshlrev_b16_e32 v45, 8, v41
	v_or_b32_sdwa v44, v40, v44 dst_sel:WORD_1 dst_unused:UNUSED_PAD src0_sel:DWORD src1_sel:DWORD
	v_or_b32_sdwa v45, v38, v45 dst_sel:DWORD dst_unused:UNUSED_PAD src0_sel:BYTE_0 src1_sel:DWORD
	v_max_u16_e32 v48, v39, v36
	v_min_u16_e32 v36, v39, v36
	v_or_b32_sdwa v44, v45, v44 dst_sel:DWORD dst_unused:UNUSED_PAD src0_sel:WORD_0 src1_sel:DWORD
	v_lshlrev_b16_e32 v45, 8, v43
	v_or_b32_e32 v45, v36, v45
	v_and_b32_e32 v45, 0xffff, v45
	v_cmp_lt_u16_e32 vcc, v41, v40
	v_and_or_b32 v45, v37, s37, v45
	v_cndmask_b32_e32 v38, v38, v44, vcc
	v_cmp_lt_u16_e32 vcc, v39, v43
	v_lshlrev_b16_e32 v39, 8, v48
	v_cndmask_b32_e32 v37, v37, v45, vcc
	v_or_b32_sdwa v39, v42, v39 dst_sel:WORD_1 dst_unused:UNUSED_PAD src0_sel:DWORD src1_sel:DWORD
	v_cndmask_b32_e32 v36, v36, v43, vcc
	v_and_or_b32 v39, v37, s34, v39
	v_cmp_lt_u16_e32 vcc, v42, v48
	v_max_u16_e32 v44, v41, v40
	v_min_u16_e32 v41, v41, v40
	v_cndmask_b32_e32 v37, v37, v39, vcc
	v_lshlrev_b16_e32 v39, 8, v47
	v_or_b32_e32 v39, v41, v39
	v_and_b32_e32 v39, 0xffff, v39
	v_and_or_b32 v39, v38, s37, v39
	v_cmp_lt_u16_e32 vcc, v41, v47
	v_max_u16_e32 v43, v42, v48
	v_min_u16_e32 v42, v42, v48
	v_cndmask_b32_e32 v38, v38, v39, vcc
	v_lshlrev_b16_e32 v45, 8, v44
	v_cmp_gt_u16_e32 vcc, v40, v46
	v_max_u16_e32 v39, v41, v47
	v_min_u16_e32 v41, v41, v47
	v_or_b32_sdwa v45, v46, v45 dst_sel:WORD_1 dst_unused:UNUSED_PAD src0_sel:DWORD src1_sel:DWORD
	v_and_b32_sdwa v47, v37, s36 dst_sel:DWORD dst_unused:UNUSED_PAD src0_sel:WORD_1 src1_sel:DWORD
	v_cndmask_b32_e32 v40, v44, v46, vcc
	v_lshlrev_b16_e32 v44, 8, v42
	v_and_or_b32 v45, v38, s34, v45
	v_or_b32_sdwa v47, v36, v47 dst_sel:WORD_1 dst_unused:UNUSED_PAD src0_sel:DWORD src1_sel:DWORD
	v_or_b32_sdwa v44, v37, v44 dst_sel:DWORD dst_unused:UNUSED_PAD src0_sel:BYTE_0 src1_sel:DWORD
	v_cndmask_b32_e32 v38, v38, v45, vcc
	v_or_b32_sdwa v44, v44, v47 dst_sel:DWORD dst_unused:UNUSED_PAD src0_sel:WORD_0 src1_sel:DWORD
	v_cmp_lt_u16_e32 vcc, v42, v36
	v_cndmask_b32_e32 v36, v37, v44, vcc
	v_and_b32_e32 v42, 0xffffff00, v38
	v_and_b32_sdwa v37, v36, s31 dst_sel:DWORD dst_unused:UNUSED_PAD src0_sel:WORD_1 src1_sel:DWORD
	v_or_b32_e32 v42, v43, v42
	v_lshlrev_b16_e32 v44, 8, v41
	v_and_b32_e32 v42, 0xffff, v42
	v_or_b32_sdwa v37, v37, v44 dst_sel:WORD_1 dst_unused:UNUSED_PAD src0_sel:DWORD src1_sel:DWORD
	v_and_or_b32 v42, v38, s37, v42
	v_and_or_b32 v37, v36, s34, v37
	v_cmp_lt_u16_e32 vcc, v41, v43
	v_cndmask_b32_e32 v36, v36, v37, vcc
	v_cndmask_b32_e32 v37, v38, v42, vcc
	v_and_b32_sdwa v38, v37, s36 dst_sel:DWORD dst_unused:UNUSED_PAD src0_sel:WORD_1 src1_sel:DWORD
	v_lshlrev_b16_e32 v41, 8, v40
	v_or_b32_sdwa v38, v39, v38 dst_sel:WORD_1 dst_unused:UNUSED_PAD src0_sel:DWORD src1_sel:DWORD
	v_or_b32_sdwa v41, v37, v41 dst_sel:DWORD dst_unused:UNUSED_PAD src0_sel:BYTE_0 src1_sel:DWORD
	v_or_b32_sdwa v38, v41, v38 dst_sel:DWORD dst_unused:UNUSED_PAD src0_sel:WORD_0 src1_sel:DWORD
	v_cmp_lt_u16_e32 vcc, v40, v39
	v_cndmask_b32_e32 v37, v37, v38, vcc
	; wave barrier
	ds_write_b64 v2, v[36:37]
	v_mov_b32_e32 v36, v30
	s_waitcnt lgkmcnt(0)
	; wave barrier
	s_and_saveexec_b64 s[12:13], s[2:3]
	s_cbranch_execz .LBB88_6
; %bb.3:                                ;   in Loop: Header=BB88_2 Depth=1
	s_mov_b64 s[14:15], 0
	v_mov_b32_e32 v36, v30
	v_mov_b32_e32 v37, v25
.LBB88_4:                               ;   Parent Loop BB88_2 Depth=1
                                        ; =>  This Inner Loop Header: Depth=2
	v_sub_u32_e32 v38, v37, v36
	v_lshrrev_b32_e32 v38, 1, v38
	v_add_u32_e32 v38, v38, v36
	v_add_u32_e32 v39, v3, v38
	v_xad_u32 v40, v38, -1, v20
	ds_read_u8 v39, v39
	ds_read_u8 v40, v40
	v_add_u32_e32 v41, 1, v38
	s_waitcnt lgkmcnt(0)
	v_cmp_lt_u16_e32 vcc, v40, v39
	v_cndmask_b32_e32 v37, v37, v38, vcc
	v_cndmask_b32_e32 v36, v41, v36, vcc
	v_cmp_ge_i32_e32 vcc, v36, v37
	s_or_b64 s[14:15], vcc, s[14:15]
	s_andn2_b64 exec, exec, s[14:15]
	s_cbranch_execnz .LBB88_4
; %bb.5:                                ;   in Loop: Header=BB88_2 Depth=1
	s_or_b64 exec, exec, s[14:15]
.LBB88_6:                               ;   in Loop: Header=BB88_2 Depth=1
	s_or_b64 exec, exec, s[12:13]
	v_add_u32_e32 v40, v36, v3
	v_sub_u32_e32 v41, v20, v36
	ds_read_u8 v36, v40
	ds_read_u8 v37, v41
	v_cmp_le_i32_e64 s[12:13], v10, v40
	v_cmp_gt_i32_e32 vcc, v11, v41
                                        ; implicit-def: $vgpr38
	s_waitcnt lgkmcnt(0)
	v_cmp_lt_u16_sdwa s[14:15], v37, v36 src0_sel:BYTE_0 src1_sel:BYTE_0
	s_or_b64 s[12:13], s[12:13], s[14:15]
	s_and_b64 s[12:13], vcc, s[12:13]
	s_xor_b64 s[14:15], s[12:13], -1
	s_and_saveexec_b64 s[16:17], s[14:15]
	s_xor_b64 s[14:15], exec, s[16:17]
; %bb.7:                                ;   in Loop: Header=BB88_2 Depth=1
	ds_read_u8 v38, v40 offset:1
; %bb.8:                                ;   in Loop: Header=BB88_2 Depth=1
	s_or_saveexec_b64 s[14:15], s[14:15]
	v_mov_b32_e32 v39, v37
	s_xor_b64 exec, exec, s[14:15]
	s_cbranch_execz .LBB88_10
; %bb.9:                                ;   in Loop: Header=BB88_2 Depth=1
	ds_read_u8 v39, v41 offset:1
	s_waitcnt lgkmcnt(1)
	v_mov_b32_e32 v38, v36
.LBB88_10:                              ;   in Loop: Header=BB88_2 Depth=1
	s_or_b64 exec, exec, s[14:15]
	v_add_u32_e32 v43, 1, v40
	v_add_u32_e32 v42, 1, v41
	v_cndmask_b32_e64 v43, v43, v40, s[12:13]
	v_cndmask_b32_e64 v42, v41, v42, s[12:13]
	v_cmp_ge_i32_e64 s[14:15], v43, v10
	s_waitcnt lgkmcnt(0)
	v_cmp_lt_u16_sdwa s[16:17], v39, v38 src0_sel:BYTE_0 src1_sel:BYTE_0
	v_cmp_lt_i32_e32 vcc, v42, v11
	s_or_b64 s[14:15], s[14:15], s[16:17]
	s_and_b64 s[14:15], vcc, s[14:15]
	s_xor_b64 s[16:17], s[14:15], -1
                                        ; implicit-def: $vgpr40
	s_and_saveexec_b64 s[18:19], s[16:17]
	s_xor_b64 s[16:17], exec, s[18:19]
; %bb.11:                               ;   in Loop: Header=BB88_2 Depth=1
	ds_read_u8 v40, v43 offset:1
; %bb.12:                               ;   in Loop: Header=BB88_2 Depth=1
	s_or_saveexec_b64 s[16:17], s[16:17]
	v_mov_b32_e32 v41, v39
	s_xor_b64 exec, exec, s[16:17]
	s_cbranch_execz .LBB88_14
; %bb.13:                               ;   in Loop: Header=BB88_2 Depth=1
	ds_read_u8 v41, v42 offset:1
	s_waitcnt lgkmcnt(1)
	v_mov_b32_e32 v40, v38
.LBB88_14:                              ;   in Loop: Header=BB88_2 Depth=1
	s_or_b64 exec, exec, s[16:17]
	v_add_u32_e32 v45, 1, v43
	v_add_u32_e32 v44, 1, v42
	v_cndmask_b32_e64 v45, v45, v43, s[14:15]
	v_cndmask_b32_e64 v44, v42, v44, s[14:15]
	v_cmp_ge_i32_e64 s[16:17], v45, v10
	s_waitcnt lgkmcnt(0)
	v_cmp_lt_u16_sdwa s[18:19], v41, v40 src0_sel:BYTE_0 src1_sel:BYTE_0
	v_cmp_lt_i32_e32 vcc, v44, v11
	s_or_b64 s[16:17], s[16:17], s[18:19]
	s_and_b64 s[16:17], vcc, s[16:17]
	s_xor_b64 s[18:19], s[16:17], -1
                                        ; implicit-def: $vgpr42
	s_and_saveexec_b64 s[20:21], s[18:19]
	s_xor_b64 s[18:19], exec, s[20:21]
; %bb.15:                               ;   in Loop: Header=BB88_2 Depth=1
	ds_read_u8 v42, v45 offset:1
; %bb.16:                               ;   in Loop: Header=BB88_2 Depth=1
	s_or_saveexec_b64 s[18:19], s[18:19]
	v_mov_b32_e32 v43, v41
	s_xor_b64 exec, exec, s[18:19]
	s_cbranch_execz .LBB88_18
; %bb.17:                               ;   in Loop: Header=BB88_2 Depth=1
	ds_read_u8 v43, v44 offset:1
	s_waitcnt lgkmcnt(1)
	v_mov_b32_e32 v42, v40
.LBB88_18:                              ;   in Loop: Header=BB88_2 Depth=1
	s_or_b64 exec, exec, s[18:19]
	v_add_u32_e32 v47, 1, v45
	v_add_u32_e32 v46, 1, v44
	v_cndmask_b32_e64 v47, v47, v45, s[16:17]
	v_cndmask_b32_e64 v46, v44, v46, s[16:17]
	v_cmp_ge_i32_e64 s[18:19], v47, v10
	s_waitcnt lgkmcnt(0)
	v_cmp_lt_u16_sdwa s[20:21], v43, v42 src0_sel:BYTE_0 src1_sel:BYTE_0
	v_cmp_lt_i32_e32 vcc, v46, v11
	s_or_b64 s[18:19], s[18:19], s[20:21]
	s_and_b64 s[18:19], vcc, s[18:19]
	s_xor_b64 s[20:21], s[18:19], -1
                                        ; implicit-def: $vgpr44
	s_and_saveexec_b64 s[22:23], s[20:21]
	s_xor_b64 s[20:21], exec, s[22:23]
; %bb.19:                               ;   in Loop: Header=BB88_2 Depth=1
	ds_read_u8 v44, v47 offset:1
; %bb.20:                               ;   in Loop: Header=BB88_2 Depth=1
	s_or_saveexec_b64 s[20:21], s[20:21]
	v_mov_b32_e32 v45, v43
	s_xor_b64 exec, exec, s[20:21]
	s_cbranch_execz .LBB88_22
; %bb.21:                               ;   in Loop: Header=BB88_2 Depth=1
	ds_read_u8 v45, v46 offset:1
	s_waitcnt lgkmcnt(1)
	v_mov_b32_e32 v44, v42
.LBB88_22:                              ;   in Loop: Header=BB88_2 Depth=1
	s_or_b64 exec, exec, s[20:21]
	v_add_u32_e32 v49, 1, v47
	v_add_u32_e32 v48, 1, v46
	v_cndmask_b32_e64 v49, v49, v47, s[18:19]
	v_cndmask_b32_e64 v48, v46, v48, s[18:19]
	v_cmp_ge_i32_e64 s[20:21], v49, v10
	s_waitcnt lgkmcnt(0)
	v_cmp_lt_u16_sdwa s[22:23], v45, v44 src0_sel:BYTE_0 src1_sel:BYTE_0
	v_cmp_lt_i32_e32 vcc, v48, v11
	s_or_b64 s[20:21], s[20:21], s[22:23]
	s_and_b64 s[20:21], vcc, s[20:21]
	s_xor_b64 s[22:23], s[20:21], -1
                                        ; implicit-def: $vgpr46
	s_and_saveexec_b64 s[24:25], s[22:23]
	s_xor_b64 s[22:23], exec, s[24:25]
; %bb.23:                               ;   in Loop: Header=BB88_2 Depth=1
	ds_read_u8 v46, v49 offset:1
; %bb.24:                               ;   in Loop: Header=BB88_2 Depth=1
	s_or_saveexec_b64 s[22:23], s[22:23]
	v_mov_b32_e32 v47, v45
	s_xor_b64 exec, exec, s[22:23]
	s_cbranch_execz .LBB88_26
; %bb.25:                               ;   in Loop: Header=BB88_2 Depth=1
	ds_read_u8 v47, v48 offset:1
	s_waitcnt lgkmcnt(1)
	v_mov_b32_e32 v46, v44
.LBB88_26:                              ;   in Loop: Header=BB88_2 Depth=1
	s_or_b64 exec, exec, s[22:23]
	v_add_u32_e32 v51, 1, v49
	v_add_u32_e32 v50, 1, v48
	v_cndmask_b32_e64 v52, v51, v49, s[20:21]
	v_cndmask_b32_e64 v50, v48, v50, s[20:21]
	v_cmp_ge_i32_e64 s[22:23], v52, v10
	s_waitcnt lgkmcnt(0)
	v_cmp_lt_u16_sdwa s[24:25], v47, v46 src0_sel:BYTE_0 src1_sel:BYTE_0
	v_cmp_lt_i32_e32 vcc, v50, v11
	s_or_b64 s[22:23], s[22:23], s[24:25]
	s_and_b64 vcc, vcc, s[22:23]
	s_xor_b64 s[22:23], vcc, -1
                                        ; implicit-def: $vgpr48
	s_and_saveexec_b64 s[24:25], s[22:23]
	s_xor_b64 s[22:23], exec, s[24:25]
; %bb.27:                               ;   in Loop: Header=BB88_2 Depth=1
	ds_read_u8 v48, v52 offset:1
; %bb.28:                               ;   in Loop: Header=BB88_2 Depth=1
	s_or_saveexec_b64 s[22:23], s[22:23]
	v_mov_b32_e32 v49, v47
	s_xor_b64 exec, exec, s[22:23]
	s_cbranch_execz .LBB88_30
; %bb.29:                               ;   in Loop: Header=BB88_2 Depth=1
	ds_read_u8 v49, v50 offset:1
	s_waitcnt lgkmcnt(1)
	v_mov_b32_e32 v48, v46
.LBB88_30:                              ;   in Loop: Header=BB88_2 Depth=1
	s_or_b64 exec, exec, s[22:23]
	v_add_u32_e32 v53, 1, v52
	v_add_u32_e32 v51, 1, v50
	v_cndmask_b32_e32 v52, v53, v52, vcc
	v_cndmask_b32_e32 v51, v50, v51, vcc
	v_cmp_ge_i32_e64 s[24:25], v52, v10
	s_waitcnt lgkmcnt(0)
	v_cmp_lt_u16_sdwa s[40:41], v49, v48 src0_sel:BYTE_0 src1_sel:BYTE_0
	v_cmp_lt_i32_e64 s[22:23], v51, v11
	s_or_b64 s[24:25], s[24:25], s[40:41]
	s_and_b64 s[22:23], s[22:23], s[24:25]
	s_xor_b64 s[24:25], s[22:23], -1
                                        ; implicit-def: $vgpr50
	s_and_saveexec_b64 s[40:41], s[24:25]
	s_xor_b64 s[24:25], exec, s[40:41]
; %bb.31:                               ;   in Loop: Header=BB88_2 Depth=1
	ds_read_u8 v50, v52 offset:1
; %bb.32:                               ;   in Loop: Header=BB88_2 Depth=1
	s_or_saveexec_b64 s[24:25], s[24:25]
	v_mov_b32_e32 v53, v49
	s_xor_b64 exec, exec, s[24:25]
	s_cbranch_execz .LBB88_34
; %bb.33:                               ;   in Loop: Header=BB88_2 Depth=1
	ds_read_u8 v53, v51 offset:1
	s_waitcnt lgkmcnt(1)
	v_mov_b32_e32 v50, v48
.LBB88_34:                              ;   in Loop: Header=BB88_2 Depth=1
	s_or_b64 exec, exec, s[24:25]
	v_cndmask_b32_e64 v48, v48, v49, s[22:23]
	v_add_u32_e32 v49, 1, v51
	v_add_u32_e32 v54, 1, v52
	v_cndmask_b32_e64 v49, v51, v49, s[22:23]
	v_cndmask_b32_e64 v51, v54, v52, s[22:23]
	v_cndmask_b32_sdwa v46, v46, v47, vcc dst_sel:BYTE_1 dst_unused:UNUSED_PAD src0_sel:DWORD src1_sel:DWORD
	s_mov_b64 vcc, s[18:19]
	v_cndmask_b32_e64 v38, v38, v39, s[14:15]
	v_cndmask_b32_e64 v36, v36, v37, s[12:13]
	v_cmp_ge_i32_e64 s[12:13], v51, v10
	s_waitcnt lgkmcnt(0)
	v_cmp_lt_u16_sdwa s[14:15], v53, v50 src0_sel:BYTE_0 src1_sel:BYTE_0
	v_cndmask_b32_sdwa v42, v42, v43, vcc dst_sel:BYTE_1 dst_unused:UNUSED_PAD src0_sel:DWORD src1_sel:DWORD
	v_cmp_lt_i32_e32 vcc, v49, v11
	s_or_b64 s[12:13], s[12:13], s[14:15]
	s_and_b64 vcc, vcc, s[12:13]
	v_cndmask_b32_e64 v40, v40, v41, s[16:17]
	v_cndmask_b32_e32 v37, v50, v53, vcc
	v_lshlrev_b16_e32 v38, 8, v38
	v_cndmask_b32_e64 v44, v44, v45, s[20:21]
	v_or_b32_sdwa v36, v36, v38 dst_sel:DWORD dst_unused:UNUSED_PAD src0_sel:BYTE_0 src1_sel:DWORD
	v_or_b32_sdwa v38, v40, v42 dst_sel:WORD_1 dst_unused:UNUSED_PAD src0_sel:BYTE_0 src1_sel:DWORD
	v_lshlrev_b16_e32 v37, 8, v37
	v_or_b32_sdwa v36, v36, v38 dst_sel:DWORD dst_unused:UNUSED_PAD src0_sel:WORD_0 src1_sel:DWORD
	v_or_b32_sdwa v38, v44, v46 dst_sel:DWORD dst_unused:UNUSED_PAD src0_sel:BYTE_0 src1_sel:DWORD
	v_or_b32_sdwa v37, v48, v37 dst_sel:WORD_1 dst_unused:UNUSED_PAD src0_sel:BYTE_0 src1_sel:DWORD
	v_or_b32_sdwa v37, v38, v37 dst_sel:DWORD dst_unused:UNUSED_PAD src0_sel:WORD_0 src1_sel:DWORD
	; wave barrier
	ds_write_b64 v2, v[36:37]
	v_mov_b32_e32 v36, v31
	s_waitcnt lgkmcnt(0)
	; wave barrier
	s_and_saveexec_b64 s[12:13], s[4:5]
	s_cbranch_execz .LBB88_38
; %bb.35:                               ;   in Loop: Header=BB88_2 Depth=1
	s_mov_b64 s[14:15], 0
	v_mov_b32_e32 v36, v31
	v_mov_b32_e32 v37, v26
.LBB88_36:                              ;   Parent Loop BB88_2 Depth=1
                                        ; =>  This Inner Loop Header: Depth=2
	v_sub_u32_e32 v38, v37, v36
	v_lshrrev_b32_e32 v38, 1, v38
	v_add_u32_e32 v38, v38, v36
	v_add_u32_e32 v39, v4, v38
	v_xad_u32 v40, v38, -1, v21
	ds_read_u8 v39, v39
	ds_read_u8 v40, v40
	v_add_u32_e32 v41, 1, v38
	s_waitcnt lgkmcnt(0)
	v_cmp_lt_u16_e32 vcc, v40, v39
	v_cndmask_b32_e32 v37, v37, v38, vcc
	v_cndmask_b32_e32 v36, v41, v36, vcc
	v_cmp_ge_i32_e32 vcc, v36, v37
	s_or_b64 s[14:15], vcc, s[14:15]
	s_andn2_b64 exec, exec, s[14:15]
	s_cbranch_execnz .LBB88_36
; %bb.37:                               ;   in Loop: Header=BB88_2 Depth=1
	s_or_b64 exec, exec, s[14:15]
.LBB88_38:                              ;   in Loop: Header=BB88_2 Depth=1
	s_or_b64 exec, exec, s[12:13]
	v_add_u32_e32 v40, v36, v4
	v_sub_u32_e32 v41, v21, v36
	ds_read_u8 v36, v40
	ds_read_u8 v37, v41
	v_cmp_le_i32_e64 s[12:13], v12, v40
	v_cmp_gt_i32_e32 vcc, v13, v41
                                        ; implicit-def: $vgpr38
	s_waitcnt lgkmcnt(0)
	v_cmp_lt_u16_sdwa s[14:15], v37, v36 src0_sel:BYTE_0 src1_sel:BYTE_0
	s_or_b64 s[12:13], s[12:13], s[14:15]
	s_and_b64 s[12:13], vcc, s[12:13]
	s_xor_b64 s[14:15], s[12:13], -1
	s_and_saveexec_b64 s[16:17], s[14:15]
	s_xor_b64 s[14:15], exec, s[16:17]
; %bb.39:                               ;   in Loop: Header=BB88_2 Depth=1
	ds_read_u8 v38, v40 offset:1
; %bb.40:                               ;   in Loop: Header=BB88_2 Depth=1
	s_or_saveexec_b64 s[14:15], s[14:15]
	v_mov_b32_e32 v39, v37
	s_xor_b64 exec, exec, s[14:15]
	s_cbranch_execz .LBB88_42
; %bb.41:                               ;   in Loop: Header=BB88_2 Depth=1
	ds_read_u8 v39, v41 offset:1
	s_waitcnt lgkmcnt(1)
	v_mov_b32_e32 v38, v36
.LBB88_42:                              ;   in Loop: Header=BB88_2 Depth=1
	s_or_b64 exec, exec, s[14:15]
	v_add_u32_e32 v43, 1, v40
	v_add_u32_e32 v42, 1, v41
	v_cndmask_b32_e64 v43, v43, v40, s[12:13]
	v_cndmask_b32_e64 v42, v41, v42, s[12:13]
	v_cmp_ge_i32_e64 s[14:15], v43, v12
	s_waitcnt lgkmcnt(0)
	v_cmp_lt_u16_sdwa s[16:17], v39, v38 src0_sel:BYTE_0 src1_sel:BYTE_0
	v_cmp_lt_i32_e32 vcc, v42, v13
	s_or_b64 s[14:15], s[14:15], s[16:17]
	s_and_b64 s[14:15], vcc, s[14:15]
	s_xor_b64 s[16:17], s[14:15], -1
                                        ; implicit-def: $vgpr40
	s_and_saveexec_b64 s[18:19], s[16:17]
	s_xor_b64 s[16:17], exec, s[18:19]
; %bb.43:                               ;   in Loop: Header=BB88_2 Depth=1
	ds_read_u8 v40, v43 offset:1
; %bb.44:                               ;   in Loop: Header=BB88_2 Depth=1
	s_or_saveexec_b64 s[16:17], s[16:17]
	v_mov_b32_e32 v41, v39
	s_xor_b64 exec, exec, s[16:17]
	s_cbranch_execz .LBB88_46
; %bb.45:                               ;   in Loop: Header=BB88_2 Depth=1
	ds_read_u8 v41, v42 offset:1
	s_waitcnt lgkmcnt(1)
	v_mov_b32_e32 v40, v38
.LBB88_46:                              ;   in Loop: Header=BB88_2 Depth=1
	s_or_b64 exec, exec, s[16:17]
	v_add_u32_e32 v45, 1, v43
	v_add_u32_e32 v44, 1, v42
	v_cndmask_b32_e64 v45, v45, v43, s[14:15]
	v_cndmask_b32_e64 v44, v42, v44, s[14:15]
	v_cmp_ge_i32_e64 s[16:17], v45, v12
	s_waitcnt lgkmcnt(0)
	v_cmp_lt_u16_sdwa s[18:19], v41, v40 src0_sel:BYTE_0 src1_sel:BYTE_0
	v_cmp_lt_i32_e32 vcc, v44, v13
	s_or_b64 s[16:17], s[16:17], s[18:19]
	s_and_b64 s[16:17], vcc, s[16:17]
	s_xor_b64 s[18:19], s[16:17], -1
                                        ; implicit-def: $vgpr42
	s_and_saveexec_b64 s[20:21], s[18:19]
	s_xor_b64 s[18:19], exec, s[20:21]
; %bb.47:                               ;   in Loop: Header=BB88_2 Depth=1
	ds_read_u8 v42, v45 offset:1
; %bb.48:                               ;   in Loop: Header=BB88_2 Depth=1
	s_or_saveexec_b64 s[18:19], s[18:19]
	v_mov_b32_e32 v43, v41
	s_xor_b64 exec, exec, s[18:19]
	s_cbranch_execz .LBB88_50
; %bb.49:                               ;   in Loop: Header=BB88_2 Depth=1
	ds_read_u8 v43, v44 offset:1
	s_waitcnt lgkmcnt(1)
	v_mov_b32_e32 v42, v40
.LBB88_50:                              ;   in Loop: Header=BB88_2 Depth=1
	s_or_b64 exec, exec, s[18:19]
	v_add_u32_e32 v47, 1, v45
	v_add_u32_e32 v46, 1, v44
	v_cndmask_b32_e64 v47, v47, v45, s[16:17]
	v_cndmask_b32_e64 v46, v44, v46, s[16:17]
	v_cmp_ge_i32_e64 s[18:19], v47, v12
	s_waitcnt lgkmcnt(0)
	v_cmp_lt_u16_sdwa s[20:21], v43, v42 src0_sel:BYTE_0 src1_sel:BYTE_0
	v_cmp_lt_i32_e32 vcc, v46, v13
	s_or_b64 s[18:19], s[18:19], s[20:21]
	s_and_b64 s[18:19], vcc, s[18:19]
	s_xor_b64 s[20:21], s[18:19], -1
                                        ; implicit-def: $vgpr44
	s_and_saveexec_b64 s[22:23], s[20:21]
	s_xor_b64 s[20:21], exec, s[22:23]
; %bb.51:                               ;   in Loop: Header=BB88_2 Depth=1
	ds_read_u8 v44, v47 offset:1
; %bb.52:                               ;   in Loop: Header=BB88_2 Depth=1
	s_or_saveexec_b64 s[20:21], s[20:21]
	v_mov_b32_e32 v45, v43
	s_xor_b64 exec, exec, s[20:21]
	s_cbranch_execz .LBB88_54
; %bb.53:                               ;   in Loop: Header=BB88_2 Depth=1
	ds_read_u8 v45, v46 offset:1
	s_waitcnt lgkmcnt(1)
	v_mov_b32_e32 v44, v42
.LBB88_54:                              ;   in Loop: Header=BB88_2 Depth=1
	s_or_b64 exec, exec, s[20:21]
	v_add_u32_e32 v49, 1, v47
	v_add_u32_e32 v48, 1, v46
	v_cndmask_b32_e64 v49, v49, v47, s[18:19]
	v_cndmask_b32_e64 v48, v46, v48, s[18:19]
	v_cmp_ge_i32_e64 s[20:21], v49, v12
	s_waitcnt lgkmcnt(0)
	v_cmp_lt_u16_sdwa s[22:23], v45, v44 src0_sel:BYTE_0 src1_sel:BYTE_0
	v_cmp_lt_i32_e32 vcc, v48, v13
	s_or_b64 s[20:21], s[20:21], s[22:23]
	s_and_b64 s[20:21], vcc, s[20:21]
	s_xor_b64 s[22:23], s[20:21], -1
                                        ; implicit-def: $vgpr46
	s_and_saveexec_b64 s[24:25], s[22:23]
	s_xor_b64 s[22:23], exec, s[24:25]
; %bb.55:                               ;   in Loop: Header=BB88_2 Depth=1
	ds_read_u8 v46, v49 offset:1
; %bb.56:                               ;   in Loop: Header=BB88_2 Depth=1
	s_or_saveexec_b64 s[22:23], s[22:23]
	v_mov_b32_e32 v47, v45
	s_xor_b64 exec, exec, s[22:23]
	s_cbranch_execz .LBB88_58
; %bb.57:                               ;   in Loop: Header=BB88_2 Depth=1
	ds_read_u8 v47, v48 offset:1
	s_waitcnt lgkmcnt(1)
	v_mov_b32_e32 v46, v44
.LBB88_58:                              ;   in Loop: Header=BB88_2 Depth=1
	s_or_b64 exec, exec, s[22:23]
	v_add_u32_e32 v51, 1, v49
	v_add_u32_e32 v50, 1, v48
	v_cndmask_b32_e64 v52, v51, v49, s[20:21]
	v_cndmask_b32_e64 v50, v48, v50, s[20:21]
	v_cmp_ge_i32_e64 s[22:23], v52, v12
	s_waitcnt lgkmcnt(0)
	v_cmp_lt_u16_sdwa s[24:25], v47, v46 src0_sel:BYTE_0 src1_sel:BYTE_0
	v_cmp_lt_i32_e32 vcc, v50, v13
	s_or_b64 s[22:23], s[22:23], s[24:25]
	s_and_b64 vcc, vcc, s[22:23]
	s_xor_b64 s[22:23], vcc, -1
                                        ; implicit-def: $vgpr48
	s_and_saveexec_b64 s[24:25], s[22:23]
	s_xor_b64 s[22:23], exec, s[24:25]
; %bb.59:                               ;   in Loop: Header=BB88_2 Depth=1
	ds_read_u8 v48, v52 offset:1
; %bb.60:                               ;   in Loop: Header=BB88_2 Depth=1
	s_or_saveexec_b64 s[22:23], s[22:23]
	v_mov_b32_e32 v49, v47
	s_xor_b64 exec, exec, s[22:23]
	s_cbranch_execz .LBB88_62
; %bb.61:                               ;   in Loop: Header=BB88_2 Depth=1
	ds_read_u8 v49, v50 offset:1
	s_waitcnt lgkmcnt(1)
	v_mov_b32_e32 v48, v46
.LBB88_62:                              ;   in Loop: Header=BB88_2 Depth=1
	s_or_b64 exec, exec, s[22:23]
	v_add_u32_e32 v53, 1, v52
	v_add_u32_e32 v51, 1, v50
	v_cndmask_b32_e32 v52, v53, v52, vcc
	v_cndmask_b32_e32 v51, v50, v51, vcc
	v_cmp_ge_i32_e64 s[24:25], v52, v12
	s_waitcnt lgkmcnt(0)
	v_cmp_lt_u16_sdwa s[40:41], v49, v48 src0_sel:BYTE_0 src1_sel:BYTE_0
	v_cmp_lt_i32_e64 s[22:23], v51, v13
	s_or_b64 s[24:25], s[24:25], s[40:41]
	s_and_b64 s[22:23], s[22:23], s[24:25]
	s_xor_b64 s[24:25], s[22:23], -1
                                        ; implicit-def: $vgpr50
	s_and_saveexec_b64 s[40:41], s[24:25]
	s_xor_b64 s[24:25], exec, s[40:41]
; %bb.63:                               ;   in Loop: Header=BB88_2 Depth=1
	ds_read_u8 v50, v52 offset:1
; %bb.64:                               ;   in Loop: Header=BB88_2 Depth=1
	s_or_saveexec_b64 s[24:25], s[24:25]
	v_mov_b32_e32 v53, v49
	s_xor_b64 exec, exec, s[24:25]
	s_cbranch_execz .LBB88_66
; %bb.65:                               ;   in Loop: Header=BB88_2 Depth=1
	ds_read_u8 v53, v51 offset:1
	s_waitcnt lgkmcnt(1)
	v_mov_b32_e32 v50, v48
.LBB88_66:                              ;   in Loop: Header=BB88_2 Depth=1
	s_or_b64 exec, exec, s[24:25]
	v_cndmask_b32_e64 v48, v48, v49, s[22:23]
	v_add_u32_e32 v49, 1, v51
	v_add_u32_e32 v54, 1, v52
	v_cndmask_b32_e64 v49, v51, v49, s[22:23]
	v_cndmask_b32_e64 v51, v54, v52, s[22:23]
	v_cndmask_b32_sdwa v46, v46, v47, vcc dst_sel:BYTE_1 dst_unused:UNUSED_PAD src0_sel:DWORD src1_sel:DWORD
	s_mov_b64 vcc, s[18:19]
	v_cndmask_b32_e64 v38, v38, v39, s[14:15]
	v_cndmask_b32_e64 v36, v36, v37, s[12:13]
	v_cmp_ge_i32_e64 s[12:13], v51, v12
	s_waitcnt lgkmcnt(0)
	v_cmp_lt_u16_sdwa s[14:15], v53, v50 src0_sel:BYTE_0 src1_sel:BYTE_0
	v_cndmask_b32_sdwa v42, v42, v43, vcc dst_sel:BYTE_1 dst_unused:UNUSED_PAD src0_sel:DWORD src1_sel:DWORD
	v_cmp_lt_i32_e32 vcc, v49, v13
	s_or_b64 s[12:13], s[12:13], s[14:15]
	s_and_b64 vcc, vcc, s[12:13]
	v_cndmask_b32_e64 v40, v40, v41, s[16:17]
	v_cndmask_b32_e32 v37, v50, v53, vcc
	v_lshlrev_b16_e32 v38, 8, v38
	v_cndmask_b32_e64 v44, v44, v45, s[20:21]
	v_or_b32_sdwa v36, v36, v38 dst_sel:DWORD dst_unused:UNUSED_PAD src0_sel:BYTE_0 src1_sel:DWORD
	v_or_b32_sdwa v38, v40, v42 dst_sel:WORD_1 dst_unused:UNUSED_PAD src0_sel:BYTE_0 src1_sel:DWORD
	v_lshlrev_b16_e32 v37, 8, v37
	v_or_b32_sdwa v36, v36, v38 dst_sel:DWORD dst_unused:UNUSED_PAD src0_sel:WORD_0 src1_sel:DWORD
	v_or_b32_sdwa v38, v44, v46 dst_sel:DWORD dst_unused:UNUSED_PAD src0_sel:BYTE_0 src1_sel:DWORD
	v_or_b32_sdwa v37, v48, v37 dst_sel:WORD_1 dst_unused:UNUSED_PAD src0_sel:BYTE_0 src1_sel:DWORD
	v_or_b32_sdwa v37, v38, v37 dst_sel:DWORD dst_unused:UNUSED_PAD src0_sel:WORD_0 src1_sel:DWORD
	; wave barrier
	ds_write_b64 v2, v[36:37]
	v_mov_b32_e32 v36, v32
	s_waitcnt lgkmcnt(0)
	; wave barrier
	s_and_saveexec_b64 s[12:13], s[6:7]
	s_cbranch_execz .LBB88_70
; %bb.67:                               ;   in Loop: Header=BB88_2 Depth=1
	s_mov_b64 s[14:15], 0
	v_mov_b32_e32 v36, v32
	v_mov_b32_e32 v37, v27
.LBB88_68:                              ;   Parent Loop BB88_2 Depth=1
                                        ; =>  This Inner Loop Header: Depth=2
	v_sub_u32_e32 v38, v37, v36
	v_lshrrev_b32_e32 v38, 1, v38
	v_add_u32_e32 v38, v38, v36
	v_add_u32_e32 v39, v5, v38
	v_xad_u32 v40, v38, -1, v22
	ds_read_u8 v39, v39
	ds_read_u8 v40, v40
	v_add_u32_e32 v41, 1, v38
	s_waitcnt lgkmcnt(0)
	v_cmp_lt_u16_e32 vcc, v40, v39
	v_cndmask_b32_e32 v37, v37, v38, vcc
	v_cndmask_b32_e32 v36, v41, v36, vcc
	v_cmp_ge_i32_e32 vcc, v36, v37
	s_or_b64 s[14:15], vcc, s[14:15]
	s_andn2_b64 exec, exec, s[14:15]
	s_cbranch_execnz .LBB88_68
; %bb.69:                               ;   in Loop: Header=BB88_2 Depth=1
	s_or_b64 exec, exec, s[14:15]
.LBB88_70:                              ;   in Loop: Header=BB88_2 Depth=1
	s_or_b64 exec, exec, s[12:13]
	v_add_u32_e32 v40, v36, v5
	v_sub_u32_e32 v41, v22, v36
	ds_read_u8 v36, v40
	ds_read_u8 v37, v41
	v_cmp_le_i32_e64 s[12:13], v14, v40
	v_cmp_gt_i32_e32 vcc, v15, v41
                                        ; implicit-def: $vgpr38
	s_waitcnt lgkmcnt(0)
	v_cmp_lt_u16_sdwa s[14:15], v37, v36 src0_sel:BYTE_0 src1_sel:BYTE_0
	s_or_b64 s[12:13], s[12:13], s[14:15]
	s_and_b64 s[12:13], vcc, s[12:13]
	s_xor_b64 s[14:15], s[12:13], -1
	s_and_saveexec_b64 s[16:17], s[14:15]
	s_xor_b64 s[14:15], exec, s[16:17]
; %bb.71:                               ;   in Loop: Header=BB88_2 Depth=1
	ds_read_u8 v38, v40 offset:1
; %bb.72:                               ;   in Loop: Header=BB88_2 Depth=1
	s_or_saveexec_b64 s[14:15], s[14:15]
	v_mov_b32_e32 v39, v37
	s_xor_b64 exec, exec, s[14:15]
	s_cbranch_execz .LBB88_74
; %bb.73:                               ;   in Loop: Header=BB88_2 Depth=1
	ds_read_u8 v39, v41 offset:1
	s_waitcnt lgkmcnt(1)
	v_mov_b32_e32 v38, v36
.LBB88_74:                              ;   in Loop: Header=BB88_2 Depth=1
	s_or_b64 exec, exec, s[14:15]
	v_add_u32_e32 v43, 1, v40
	v_add_u32_e32 v42, 1, v41
	v_cndmask_b32_e64 v43, v43, v40, s[12:13]
	v_cndmask_b32_e64 v42, v41, v42, s[12:13]
	v_cmp_ge_i32_e64 s[14:15], v43, v14
	s_waitcnt lgkmcnt(0)
	v_cmp_lt_u16_sdwa s[16:17], v39, v38 src0_sel:BYTE_0 src1_sel:BYTE_0
	v_cmp_lt_i32_e32 vcc, v42, v15
	s_or_b64 s[14:15], s[14:15], s[16:17]
	s_and_b64 s[14:15], vcc, s[14:15]
	s_xor_b64 s[16:17], s[14:15], -1
                                        ; implicit-def: $vgpr40
	s_and_saveexec_b64 s[18:19], s[16:17]
	s_xor_b64 s[16:17], exec, s[18:19]
; %bb.75:                               ;   in Loop: Header=BB88_2 Depth=1
	ds_read_u8 v40, v43 offset:1
; %bb.76:                               ;   in Loop: Header=BB88_2 Depth=1
	s_or_saveexec_b64 s[16:17], s[16:17]
	v_mov_b32_e32 v41, v39
	s_xor_b64 exec, exec, s[16:17]
	s_cbranch_execz .LBB88_78
; %bb.77:                               ;   in Loop: Header=BB88_2 Depth=1
	ds_read_u8 v41, v42 offset:1
	s_waitcnt lgkmcnt(1)
	v_mov_b32_e32 v40, v38
.LBB88_78:                              ;   in Loop: Header=BB88_2 Depth=1
	s_or_b64 exec, exec, s[16:17]
	v_add_u32_e32 v45, 1, v43
	v_add_u32_e32 v44, 1, v42
	v_cndmask_b32_e64 v45, v45, v43, s[14:15]
	v_cndmask_b32_e64 v44, v42, v44, s[14:15]
	v_cmp_ge_i32_e64 s[16:17], v45, v14
	s_waitcnt lgkmcnt(0)
	v_cmp_lt_u16_sdwa s[18:19], v41, v40 src0_sel:BYTE_0 src1_sel:BYTE_0
	v_cmp_lt_i32_e32 vcc, v44, v15
	s_or_b64 s[16:17], s[16:17], s[18:19]
	s_and_b64 s[16:17], vcc, s[16:17]
	s_xor_b64 s[18:19], s[16:17], -1
                                        ; implicit-def: $vgpr42
	s_and_saveexec_b64 s[20:21], s[18:19]
	s_xor_b64 s[18:19], exec, s[20:21]
; %bb.79:                               ;   in Loop: Header=BB88_2 Depth=1
	ds_read_u8 v42, v45 offset:1
; %bb.80:                               ;   in Loop: Header=BB88_2 Depth=1
	s_or_saveexec_b64 s[18:19], s[18:19]
	v_mov_b32_e32 v43, v41
	s_xor_b64 exec, exec, s[18:19]
	s_cbranch_execz .LBB88_82
; %bb.81:                               ;   in Loop: Header=BB88_2 Depth=1
	ds_read_u8 v43, v44 offset:1
	s_waitcnt lgkmcnt(1)
	v_mov_b32_e32 v42, v40
.LBB88_82:                              ;   in Loop: Header=BB88_2 Depth=1
	s_or_b64 exec, exec, s[18:19]
	v_add_u32_e32 v47, 1, v45
	v_add_u32_e32 v46, 1, v44
	v_cndmask_b32_e64 v47, v47, v45, s[16:17]
	v_cndmask_b32_e64 v46, v44, v46, s[16:17]
	v_cmp_ge_i32_e64 s[18:19], v47, v14
	s_waitcnt lgkmcnt(0)
	v_cmp_lt_u16_sdwa s[20:21], v43, v42 src0_sel:BYTE_0 src1_sel:BYTE_0
	v_cmp_lt_i32_e32 vcc, v46, v15
	s_or_b64 s[18:19], s[18:19], s[20:21]
	s_and_b64 s[18:19], vcc, s[18:19]
	s_xor_b64 s[20:21], s[18:19], -1
                                        ; implicit-def: $vgpr44
	s_and_saveexec_b64 s[22:23], s[20:21]
	s_xor_b64 s[20:21], exec, s[22:23]
; %bb.83:                               ;   in Loop: Header=BB88_2 Depth=1
	ds_read_u8 v44, v47 offset:1
; %bb.84:                               ;   in Loop: Header=BB88_2 Depth=1
	s_or_saveexec_b64 s[20:21], s[20:21]
	v_mov_b32_e32 v45, v43
	s_xor_b64 exec, exec, s[20:21]
	s_cbranch_execz .LBB88_86
; %bb.85:                               ;   in Loop: Header=BB88_2 Depth=1
	ds_read_u8 v45, v46 offset:1
	s_waitcnt lgkmcnt(1)
	v_mov_b32_e32 v44, v42
.LBB88_86:                              ;   in Loop: Header=BB88_2 Depth=1
	s_or_b64 exec, exec, s[20:21]
	v_add_u32_e32 v49, 1, v47
	v_add_u32_e32 v48, 1, v46
	v_cndmask_b32_e64 v49, v49, v47, s[18:19]
	v_cndmask_b32_e64 v48, v46, v48, s[18:19]
	v_cmp_ge_i32_e64 s[20:21], v49, v14
	s_waitcnt lgkmcnt(0)
	v_cmp_lt_u16_sdwa s[22:23], v45, v44 src0_sel:BYTE_0 src1_sel:BYTE_0
	v_cmp_lt_i32_e32 vcc, v48, v15
	s_or_b64 s[20:21], s[20:21], s[22:23]
	s_and_b64 s[20:21], vcc, s[20:21]
	s_xor_b64 s[22:23], s[20:21], -1
                                        ; implicit-def: $vgpr46
	s_and_saveexec_b64 s[24:25], s[22:23]
	s_xor_b64 s[22:23], exec, s[24:25]
; %bb.87:                               ;   in Loop: Header=BB88_2 Depth=1
	ds_read_u8 v46, v49 offset:1
; %bb.88:                               ;   in Loop: Header=BB88_2 Depth=1
	s_or_saveexec_b64 s[22:23], s[22:23]
	v_mov_b32_e32 v47, v45
	s_xor_b64 exec, exec, s[22:23]
	s_cbranch_execz .LBB88_90
; %bb.89:                               ;   in Loop: Header=BB88_2 Depth=1
	ds_read_u8 v47, v48 offset:1
	s_waitcnt lgkmcnt(1)
	v_mov_b32_e32 v46, v44
.LBB88_90:                              ;   in Loop: Header=BB88_2 Depth=1
	s_or_b64 exec, exec, s[22:23]
	v_add_u32_e32 v51, 1, v49
	v_add_u32_e32 v50, 1, v48
	v_cndmask_b32_e64 v52, v51, v49, s[20:21]
	v_cndmask_b32_e64 v50, v48, v50, s[20:21]
	v_cmp_ge_i32_e64 s[22:23], v52, v14
	s_waitcnt lgkmcnt(0)
	v_cmp_lt_u16_sdwa s[24:25], v47, v46 src0_sel:BYTE_0 src1_sel:BYTE_0
	v_cmp_lt_i32_e32 vcc, v50, v15
	s_or_b64 s[22:23], s[22:23], s[24:25]
	s_and_b64 vcc, vcc, s[22:23]
	s_xor_b64 s[22:23], vcc, -1
                                        ; implicit-def: $vgpr48
	s_and_saveexec_b64 s[24:25], s[22:23]
	s_xor_b64 s[22:23], exec, s[24:25]
; %bb.91:                               ;   in Loop: Header=BB88_2 Depth=1
	ds_read_u8 v48, v52 offset:1
; %bb.92:                               ;   in Loop: Header=BB88_2 Depth=1
	s_or_saveexec_b64 s[22:23], s[22:23]
	v_mov_b32_e32 v49, v47
	s_xor_b64 exec, exec, s[22:23]
	s_cbranch_execz .LBB88_94
; %bb.93:                               ;   in Loop: Header=BB88_2 Depth=1
	ds_read_u8 v49, v50 offset:1
	s_waitcnt lgkmcnt(1)
	v_mov_b32_e32 v48, v46
.LBB88_94:                              ;   in Loop: Header=BB88_2 Depth=1
	s_or_b64 exec, exec, s[22:23]
	v_add_u32_e32 v53, 1, v52
	v_add_u32_e32 v51, 1, v50
	v_cndmask_b32_e32 v52, v53, v52, vcc
	v_cndmask_b32_e32 v51, v50, v51, vcc
	v_cmp_ge_i32_e64 s[24:25], v52, v14
	s_waitcnt lgkmcnt(0)
	v_cmp_lt_u16_sdwa s[40:41], v49, v48 src0_sel:BYTE_0 src1_sel:BYTE_0
	v_cmp_lt_i32_e64 s[22:23], v51, v15
	s_or_b64 s[24:25], s[24:25], s[40:41]
	s_and_b64 s[22:23], s[22:23], s[24:25]
	s_xor_b64 s[24:25], s[22:23], -1
                                        ; implicit-def: $vgpr50
	s_and_saveexec_b64 s[40:41], s[24:25]
	s_xor_b64 s[24:25], exec, s[40:41]
; %bb.95:                               ;   in Loop: Header=BB88_2 Depth=1
	ds_read_u8 v50, v52 offset:1
; %bb.96:                               ;   in Loop: Header=BB88_2 Depth=1
	s_or_saveexec_b64 s[24:25], s[24:25]
	v_mov_b32_e32 v53, v49
	s_xor_b64 exec, exec, s[24:25]
	s_cbranch_execz .LBB88_98
; %bb.97:                               ;   in Loop: Header=BB88_2 Depth=1
	ds_read_u8 v53, v51 offset:1
	s_waitcnt lgkmcnt(1)
	v_mov_b32_e32 v50, v48
.LBB88_98:                              ;   in Loop: Header=BB88_2 Depth=1
	s_or_b64 exec, exec, s[24:25]
	v_cndmask_b32_e64 v48, v48, v49, s[22:23]
	v_add_u32_e32 v49, 1, v51
	v_add_u32_e32 v54, 1, v52
	v_cndmask_b32_e64 v49, v51, v49, s[22:23]
	v_cndmask_b32_e64 v51, v54, v52, s[22:23]
	v_cndmask_b32_sdwa v46, v46, v47, vcc dst_sel:BYTE_1 dst_unused:UNUSED_PAD src0_sel:DWORD src1_sel:DWORD
	s_mov_b64 vcc, s[18:19]
	v_cndmask_b32_e64 v38, v38, v39, s[14:15]
	v_cndmask_b32_e64 v36, v36, v37, s[12:13]
	v_cmp_ge_i32_e64 s[12:13], v51, v14
	s_waitcnt lgkmcnt(0)
	v_cmp_lt_u16_sdwa s[14:15], v53, v50 src0_sel:BYTE_0 src1_sel:BYTE_0
	v_cndmask_b32_sdwa v42, v42, v43, vcc dst_sel:BYTE_1 dst_unused:UNUSED_PAD src0_sel:DWORD src1_sel:DWORD
	v_cmp_lt_i32_e32 vcc, v49, v15
	s_or_b64 s[12:13], s[12:13], s[14:15]
	s_and_b64 vcc, vcc, s[12:13]
	v_cndmask_b32_e64 v40, v40, v41, s[16:17]
	v_cndmask_b32_e32 v37, v50, v53, vcc
	v_lshlrev_b16_e32 v38, 8, v38
	v_cndmask_b32_e64 v44, v44, v45, s[20:21]
	v_or_b32_sdwa v36, v36, v38 dst_sel:DWORD dst_unused:UNUSED_PAD src0_sel:BYTE_0 src1_sel:DWORD
	v_or_b32_sdwa v38, v40, v42 dst_sel:WORD_1 dst_unused:UNUSED_PAD src0_sel:BYTE_0 src1_sel:DWORD
	v_lshlrev_b16_e32 v37, 8, v37
	v_or_b32_sdwa v36, v36, v38 dst_sel:DWORD dst_unused:UNUSED_PAD src0_sel:WORD_0 src1_sel:DWORD
	v_or_b32_sdwa v38, v44, v46 dst_sel:DWORD dst_unused:UNUSED_PAD src0_sel:BYTE_0 src1_sel:DWORD
	v_or_b32_sdwa v37, v48, v37 dst_sel:WORD_1 dst_unused:UNUSED_PAD src0_sel:BYTE_0 src1_sel:DWORD
	v_or_b32_sdwa v37, v38, v37 dst_sel:DWORD dst_unused:UNUSED_PAD src0_sel:WORD_0 src1_sel:DWORD
	; wave barrier
	ds_write_b64 v2, v[36:37]
	v_mov_b32_e32 v36, v33
	s_waitcnt lgkmcnt(0)
	; wave barrier
	s_and_saveexec_b64 s[12:13], s[8:9]
	s_cbranch_execz .LBB88_102
; %bb.99:                               ;   in Loop: Header=BB88_2 Depth=1
	s_mov_b64 s[14:15], 0
	v_mov_b32_e32 v36, v33
	v_mov_b32_e32 v37, v28
.LBB88_100:                             ;   Parent Loop BB88_2 Depth=1
                                        ; =>  This Inner Loop Header: Depth=2
	v_sub_u32_e32 v38, v37, v36
	v_lshrrev_b32_e32 v38, 1, v38
	v_add_u32_e32 v38, v38, v36
	v_add_u32_e32 v39, v6, v38
	v_xad_u32 v40, v38, -1, v23
	ds_read_u8 v39, v39
	ds_read_u8 v40, v40
	v_add_u32_e32 v41, 1, v38
	s_waitcnt lgkmcnt(0)
	v_cmp_lt_u16_e32 vcc, v40, v39
	v_cndmask_b32_e32 v37, v37, v38, vcc
	v_cndmask_b32_e32 v36, v41, v36, vcc
	v_cmp_ge_i32_e32 vcc, v36, v37
	s_or_b64 s[14:15], vcc, s[14:15]
	s_andn2_b64 exec, exec, s[14:15]
	s_cbranch_execnz .LBB88_100
; %bb.101:                              ;   in Loop: Header=BB88_2 Depth=1
	s_or_b64 exec, exec, s[14:15]
.LBB88_102:                             ;   in Loop: Header=BB88_2 Depth=1
	s_or_b64 exec, exec, s[12:13]
	v_add_u32_e32 v40, v36, v6
	v_sub_u32_e32 v41, v23, v36
	ds_read_u8 v36, v40
	ds_read_u8 v37, v41
	v_cmp_le_i32_e64 s[12:13], v16, v40
	v_cmp_gt_i32_e32 vcc, v17, v41
                                        ; implicit-def: $vgpr38
	s_waitcnt lgkmcnt(0)
	v_cmp_lt_u16_sdwa s[14:15], v37, v36 src0_sel:BYTE_0 src1_sel:BYTE_0
	s_or_b64 s[12:13], s[12:13], s[14:15]
	s_and_b64 s[12:13], vcc, s[12:13]
	s_xor_b64 s[14:15], s[12:13], -1
	s_and_saveexec_b64 s[16:17], s[14:15]
	s_xor_b64 s[14:15], exec, s[16:17]
; %bb.103:                              ;   in Loop: Header=BB88_2 Depth=1
	ds_read_u8 v38, v40 offset:1
; %bb.104:                              ;   in Loop: Header=BB88_2 Depth=1
	s_or_saveexec_b64 s[14:15], s[14:15]
	v_mov_b32_e32 v39, v37
	s_xor_b64 exec, exec, s[14:15]
	s_cbranch_execz .LBB88_106
; %bb.105:                              ;   in Loop: Header=BB88_2 Depth=1
	ds_read_u8 v39, v41 offset:1
	s_waitcnt lgkmcnt(1)
	v_mov_b32_e32 v38, v36
.LBB88_106:                             ;   in Loop: Header=BB88_2 Depth=1
	s_or_b64 exec, exec, s[14:15]
	v_add_u32_e32 v43, 1, v40
	v_add_u32_e32 v42, 1, v41
	v_cndmask_b32_e64 v43, v43, v40, s[12:13]
	v_cndmask_b32_e64 v42, v41, v42, s[12:13]
	v_cmp_ge_i32_e64 s[14:15], v43, v16
	s_waitcnt lgkmcnt(0)
	v_cmp_lt_u16_sdwa s[16:17], v39, v38 src0_sel:BYTE_0 src1_sel:BYTE_0
	v_cmp_lt_i32_e32 vcc, v42, v17
	s_or_b64 s[14:15], s[14:15], s[16:17]
	s_and_b64 s[14:15], vcc, s[14:15]
	s_xor_b64 s[16:17], s[14:15], -1
                                        ; implicit-def: $vgpr40
	s_and_saveexec_b64 s[18:19], s[16:17]
	s_xor_b64 s[16:17], exec, s[18:19]
; %bb.107:                              ;   in Loop: Header=BB88_2 Depth=1
	ds_read_u8 v40, v43 offset:1
; %bb.108:                              ;   in Loop: Header=BB88_2 Depth=1
	s_or_saveexec_b64 s[16:17], s[16:17]
	v_mov_b32_e32 v41, v39
	s_xor_b64 exec, exec, s[16:17]
	s_cbranch_execz .LBB88_110
; %bb.109:                              ;   in Loop: Header=BB88_2 Depth=1
	ds_read_u8 v41, v42 offset:1
	s_waitcnt lgkmcnt(1)
	v_mov_b32_e32 v40, v38
.LBB88_110:                             ;   in Loop: Header=BB88_2 Depth=1
	s_or_b64 exec, exec, s[16:17]
	v_add_u32_e32 v45, 1, v43
	v_add_u32_e32 v44, 1, v42
	v_cndmask_b32_e64 v45, v45, v43, s[14:15]
	v_cndmask_b32_e64 v44, v42, v44, s[14:15]
	v_cmp_ge_i32_e64 s[16:17], v45, v16
	s_waitcnt lgkmcnt(0)
	v_cmp_lt_u16_sdwa s[18:19], v41, v40 src0_sel:BYTE_0 src1_sel:BYTE_0
	v_cmp_lt_i32_e32 vcc, v44, v17
	s_or_b64 s[16:17], s[16:17], s[18:19]
	s_and_b64 s[16:17], vcc, s[16:17]
	s_xor_b64 s[18:19], s[16:17], -1
                                        ; implicit-def: $vgpr42
	s_and_saveexec_b64 s[20:21], s[18:19]
	s_xor_b64 s[18:19], exec, s[20:21]
; %bb.111:                              ;   in Loop: Header=BB88_2 Depth=1
	ds_read_u8 v42, v45 offset:1
; %bb.112:                              ;   in Loop: Header=BB88_2 Depth=1
	s_or_saveexec_b64 s[18:19], s[18:19]
	v_mov_b32_e32 v43, v41
	s_xor_b64 exec, exec, s[18:19]
	s_cbranch_execz .LBB88_114
; %bb.113:                              ;   in Loop: Header=BB88_2 Depth=1
	ds_read_u8 v43, v44 offset:1
	s_waitcnt lgkmcnt(1)
	v_mov_b32_e32 v42, v40
.LBB88_114:                             ;   in Loop: Header=BB88_2 Depth=1
	s_or_b64 exec, exec, s[18:19]
	v_add_u32_e32 v47, 1, v45
	v_add_u32_e32 v46, 1, v44
	v_cndmask_b32_e64 v47, v47, v45, s[16:17]
	v_cndmask_b32_e64 v46, v44, v46, s[16:17]
	v_cmp_ge_i32_e64 s[18:19], v47, v16
	s_waitcnt lgkmcnt(0)
	v_cmp_lt_u16_sdwa s[20:21], v43, v42 src0_sel:BYTE_0 src1_sel:BYTE_0
	v_cmp_lt_i32_e32 vcc, v46, v17
	s_or_b64 s[18:19], s[18:19], s[20:21]
	s_and_b64 s[18:19], vcc, s[18:19]
	s_xor_b64 s[20:21], s[18:19], -1
                                        ; implicit-def: $vgpr44
	s_and_saveexec_b64 s[22:23], s[20:21]
	s_xor_b64 s[20:21], exec, s[22:23]
; %bb.115:                              ;   in Loop: Header=BB88_2 Depth=1
	ds_read_u8 v44, v47 offset:1
; %bb.116:                              ;   in Loop: Header=BB88_2 Depth=1
	s_or_saveexec_b64 s[20:21], s[20:21]
	v_mov_b32_e32 v45, v43
	s_xor_b64 exec, exec, s[20:21]
	s_cbranch_execz .LBB88_118
; %bb.117:                              ;   in Loop: Header=BB88_2 Depth=1
	ds_read_u8 v45, v46 offset:1
	s_waitcnt lgkmcnt(1)
	v_mov_b32_e32 v44, v42
.LBB88_118:                             ;   in Loop: Header=BB88_2 Depth=1
	s_or_b64 exec, exec, s[20:21]
	v_add_u32_e32 v49, 1, v47
	v_add_u32_e32 v48, 1, v46
	v_cndmask_b32_e64 v49, v49, v47, s[18:19]
	v_cndmask_b32_e64 v48, v46, v48, s[18:19]
	v_cmp_ge_i32_e64 s[20:21], v49, v16
	s_waitcnt lgkmcnt(0)
	v_cmp_lt_u16_sdwa s[22:23], v45, v44 src0_sel:BYTE_0 src1_sel:BYTE_0
	v_cmp_lt_i32_e32 vcc, v48, v17
	s_or_b64 s[20:21], s[20:21], s[22:23]
	s_and_b64 s[20:21], vcc, s[20:21]
	s_xor_b64 s[22:23], s[20:21], -1
                                        ; implicit-def: $vgpr46
	s_and_saveexec_b64 s[24:25], s[22:23]
	s_xor_b64 s[22:23], exec, s[24:25]
; %bb.119:                              ;   in Loop: Header=BB88_2 Depth=1
	ds_read_u8 v46, v49 offset:1
; %bb.120:                              ;   in Loop: Header=BB88_2 Depth=1
	s_or_saveexec_b64 s[22:23], s[22:23]
	v_mov_b32_e32 v47, v45
	s_xor_b64 exec, exec, s[22:23]
	s_cbranch_execz .LBB88_122
; %bb.121:                              ;   in Loop: Header=BB88_2 Depth=1
	ds_read_u8 v47, v48 offset:1
	s_waitcnt lgkmcnt(1)
	v_mov_b32_e32 v46, v44
.LBB88_122:                             ;   in Loop: Header=BB88_2 Depth=1
	s_or_b64 exec, exec, s[22:23]
	v_add_u32_e32 v51, 1, v49
	v_add_u32_e32 v50, 1, v48
	v_cndmask_b32_e64 v52, v51, v49, s[20:21]
	v_cndmask_b32_e64 v50, v48, v50, s[20:21]
	v_cmp_ge_i32_e64 s[22:23], v52, v16
	s_waitcnt lgkmcnt(0)
	v_cmp_lt_u16_sdwa s[24:25], v47, v46 src0_sel:BYTE_0 src1_sel:BYTE_0
	v_cmp_lt_i32_e32 vcc, v50, v17
	s_or_b64 s[22:23], s[22:23], s[24:25]
	s_and_b64 vcc, vcc, s[22:23]
	s_xor_b64 s[22:23], vcc, -1
                                        ; implicit-def: $vgpr48
	s_and_saveexec_b64 s[24:25], s[22:23]
	s_xor_b64 s[22:23], exec, s[24:25]
; %bb.123:                              ;   in Loop: Header=BB88_2 Depth=1
	ds_read_u8 v48, v52 offset:1
; %bb.124:                              ;   in Loop: Header=BB88_2 Depth=1
	s_or_saveexec_b64 s[22:23], s[22:23]
	v_mov_b32_e32 v49, v47
	s_xor_b64 exec, exec, s[22:23]
	s_cbranch_execz .LBB88_126
; %bb.125:                              ;   in Loop: Header=BB88_2 Depth=1
	ds_read_u8 v49, v50 offset:1
	s_waitcnt lgkmcnt(1)
	v_mov_b32_e32 v48, v46
.LBB88_126:                             ;   in Loop: Header=BB88_2 Depth=1
	s_or_b64 exec, exec, s[22:23]
	v_add_u32_e32 v53, 1, v52
	v_add_u32_e32 v51, 1, v50
	v_cndmask_b32_e32 v52, v53, v52, vcc
	v_cndmask_b32_e32 v51, v50, v51, vcc
	v_cmp_ge_i32_e64 s[24:25], v52, v16
	s_waitcnt lgkmcnt(0)
	v_cmp_lt_u16_sdwa s[40:41], v49, v48 src0_sel:BYTE_0 src1_sel:BYTE_0
	v_cmp_lt_i32_e64 s[22:23], v51, v17
	s_or_b64 s[24:25], s[24:25], s[40:41]
	s_and_b64 s[22:23], s[22:23], s[24:25]
	s_xor_b64 s[24:25], s[22:23], -1
                                        ; implicit-def: $vgpr50
	s_and_saveexec_b64 s[40:41], s[24:25]
	s_xor_b64 s[24:25], exec, s[40:41]
; %bb.127:                              ;   in Loop: Header=BB88_2 Depth=1
	ds_read_u8 v50, v52 offset:1
; %bb.128:                              ;   in Loop: Header=BB88_2 Depth=1
	s_or_saveexec_b64 s[24:25], s[24:25]
	v_mov_b32_e32 v53, v49
	s_xor_b64 exec, exec, s[24:25]
	s_cbranch_execz .LBB88_130
; %bb.129:                              ;   in Loop: Header=BB88_2 Depth=1
	ds_read_u8 v53, v51 offset:1
	s_waitcnt lgkmcnt(1)
	v_mov_b32_e32 v50, v48
.LBB88_130:                             ;   in Loop: Header=BB88_2 Depth=1
	s_or_b64 exec, exec, s[24:25]
	v_cndmask_b32_e64 v48, v48, v49, s[22:23]
	v_add_u32_e32 v49, 1, v51
	v_add_u32_e32 v54, 1, v52
	v_cndmask_b32_e64 v49, v51, v49, s[22:23]
	v_cndmask_b32_e64 v51, v54, v52, s[22:23]
	v_cndmask_b32_sdwa v46, v46, v47, vcc dst_sel:BYTE_1 dst_unused:UNUSED_PAD src0_sel:DWORD src1_sel:DWORD
	s_mov_b64 vcc, s[18:19]
	v_cndmask_b32_e64 v38, v38, v39, s[14:15]
	v_cndmask_b32_e64 v36, v36, v37, s[12:13]
	v_cmp_ge_i32_e64 s[12:13], v51, v16
	s_waitcnt lgkmcnt(0)
	v_cmp_lt_u16_sdwa s[14:15], v53, v50 src0_sel:BYTE_0 src1_sel:BYTE_0
	v_cndmask_b32_sdwa v42, v42, v43, vcc dst_sel:BYTE_1 dst_unused:UNUSED_PAD src0_sel:DWORD src1_sel:DWORD
	v_cmp_lt_i32_e32 vcc, v49, v17
	s_or_b64 s[12:13], s[12:13], s[14:15]
	s_and_b64 vcc, vcc, s[12:13]
	v_cndmask_b32_e64 v40, v40, v41, s[16:17]
	v_cndmask_b32_e32 v37, v50, v53, vcc
	v_lshlrev_b16_e32 v38, 8, v38
	v_cndmask_b32_e64 v44, v44, v45, s[20:21]
	v_or_b32_sdwa v36, v36, v38 dst_sel:DWORD dst_unused:UNUSED_PAD src0_sel:BYTE_0 src1_sel:DWORD
	v_or_b32_sdwa v38, v40, v42 dst_sel:WORD_1 dst_unused:UNUSED_PAD src0_sel:BYTE_0 src1_sel:DWORD
	v_lshlrev_b16_e32 v37, 8, v37
	v_or_b32_sdwa v36, v36, v38 dst_sel:DWORD dst_unused:UNUSED_PAD src0_sel:WORD_0 src1_sel:DWORD
	v_or_b32_sdwa v38, v44, v46 dst_sel:DWORD dst_unused:UNUSED_PAD src0_sel:BYTE_0 src1_sel:DWORD
	v_or_b32_sdwa v37, v48, v37 dst_sel:WORD_1 dst_unused:UNUSED_PAD src0_sel:BYTE_0 src1_sel:DWORD
	v_or_b32_sdwa v37, v38, v37 dst_sel:DWORD dst_unused:UNUSED_PAD src0_sel:WORD_0 src1_sel:DWORD
	; wave barrier
	ds_write_b64 v2, v[36:37]
	v_mov_b32_e32 v36, v34
	s_waitcnt lgkmcnt(0)
	; wave barrier
	s_and_saveexec_b64 s[12:13], s[10:11]
	s_cbranch_execz .LBB88_134
; %bb.131:                              ;   in Loop: Header=BB88_2 Depth=1
	s_mov_b64 s[14:15], 0
	v_mov_b32_e32 v36, v34
	v_mov_b32_e32 v37, v29
.LBB88_132:                             ;   Parent Loop BB88_2 Depth=1
                                        ; =>  This Inner Loop Header: Depth=2
	v_sub_u32_e32 v38, v37, v36
	v_lshrrev_b32_e32 v38, 1, v38
	v_add_u32_e32 v38, v38, v36
	v_add_u32_e32 v39, v7, v38
	v_xad_u32 v40, v38, -1, v24
	ds_read_u8 v39, v39
	ds_read_u8 v40, v40
	v_add_u32_e32 v41, 1, v38
	s_waitcnt lgkmcnt(0)
	v_cmp_lt_u16_e32 vcc, v40, v39
	v_cndmask_b32_e32 v37, v37, v38, vcc
	v_cndmask_b32_e32 v36, v41, v36, vcc
	v_cmp_ge_i32_e32 vcc, v36, v37
	s_or_b64 s[14:15], vcc, s[14:15]
	s_andn2_b64 exec, exec, s[14:15]
	s_cbranch_execnz .LBB88_132
; %bb.133:                              ;   in Loop: Header=BB88_2 Depth=1
	s_or_b64 exec, exec, s[14:15]
.LBB88_134:                             ;   in Loop: Header=BB88_2 Depth=1
	s_or_b64 exec, exec, s[12:13]
	v_add_u32_e32 v40, v36, v7
	v_sub_u32_e32 v41, v24, v36
	ds_read_u8 v36, v40
	ds_read_u8 v37, v41
	v_cmp_le_i32_e64 s[12:13], v18, v40
	v_cmp_gt_i32_e32 vcc, v19, v41
                                        ; implicit-def: $vgpr38
	s_waitcnt lgkmcnt(0)
	v_cmp_lt_u16_sdwa s[14:15], v37, v36 src0_sel:BYTE_0 src1_sel:BYTE_0
	s_or_b64 s[12:13], s[12:13], s[14:15]
	s_and_b64 s[12:13], vcc, s[12:13]
	s_xor_b64 s[14:15], s[12:13], -1
	s_and_saveexec_b64 s[16:17], s[14:15]
	s_xor_b64 s[14:15], exec, s[16:17]
; %bb.135:                              ;   in Loop: Header=BB88_2 Depth=1
	ds_read_u8 v38, v40 offset:1
; %bb.136:                              ;   in Loop: Header=BB88_2 Depth=1
	s_or_saveexec_b64 s[14:15], s[14:15]
	v_mov_b32_e32 v39, v37
	s_xor_b64 exec, exec, s[14:15]
	s_cbranch_execz .LBB88_138
; %bb.137:                              ;   in Loop: Header=BB88_2 Depth=1
	ds_read_u8 v39, v41 offset:1
	s_waitcnt lgkmcnt(1)
	v_mov_b32_e32 v38, v36
.LBB88_138:                             ;   in Loop: Header=BB88_2 Depth=1
	s_or_b64 exec, exec, s[14:15]
	v_add_u32_e32 v43, 1, v40
	v_add_u32_e32 v42, 1, v41
	v_cndmask_b32_e64 v43, v43, v40, s[12:13]
	v_cndmask_b32_e64 v42, v41, v42, s[12:13]
	v_cmp_ge_i32_e64 s[14:15], v43, v18
	s_waitcnt lgkmcnt(0)
	v_cmp_lt_u16_sdwa s[16:17], v39, v38 src0_sel:BYTE_0 src1_sel:BYTE_0
	v_cmp_lt_i32_e32 vcc, v42, v19
	s_or_b64 s[14:15], s[14:15], s[16:17]
	s_and_b64 s[14:15], vcc, s[14:15]
	s_xor_b64 s[16:17], s[14:15], -1
                                        ; implicit-def: $vgpr40
	s_and_saveexec_b64 s[18:19], s[16:17]
	s_xor_b64 s[16:17], exec, s[18:19]
; %bb.139:                              ;   in Loop: Header=BB88_2 Depth=1
	ds_read_u8 v40, v43 offset:1
; %bb.140:                              ;   in Loop: Header=BB88_2 Depth=1
	s_or_saveexec_b64 s[16:17], s[16:17]
	v_mov_b32_e32 v41, v39
	s_xor_b64 exec, exec, s[16:17]
	s_cbranch_execz .LBB88_142
; %bb.141:                              ;   in Loop: Header=BB88_2 Depth=1
	ds_read_u8 v41, v42 offset:1
	s_waitcnt lgkmcnt(1)
	v_mov_b32_e32 v40, v38
.LBB88_142:                             ;   in Loop: Header=BB88_2 Depth=1
	s_or_b64 exec, exec, s[16:17]
	v_add_u32_e32 v45, 1, v43
	v_add_u32_e32 v44, 1, v42
	v_cndmask_b32_e64 v45, v45, v43, s[14:15]
	v_cndmask_b32_e64 v44, v42, v44, s[14:15]
	v_cmp_ge_i32_e64 s[16:17], v45, v18
	s_waitcnt lgkmcnt(0)
	v_cmp_lt_u16_sdwa s[18:19], v41, v40 src0_sel:BYTE_0 src1_sel:BYTE_0
	v_cmp_lt_i32_e32 vcc, v44, v19
	s_or_b64 s[16:17], s[16:17], s[18:19]
	s_and_b64 s[16:17], vcc, s[16:17]
	s_xor_b64 s[18:19], s[16:17], -1
                                        ; implicit-def: $vgpr42
	s_and_saveexec_b64 s[20:21], s[18:19]
	s_xor_b64 s[18:19], exec, s[20:21]
; %bb.143:                              ;   in Loop: Header=BB88_2 Depth=1
	ds_read_u8 v42, v45 offset:1
; %bb.144:                              ;   in Loop: Header=BB88_2 Depth=1
	s_or_saveexec_b64 s[18:19], s[18:19]
	v_mov_b32_e32 v43, v41
	s_xor_b64 exec, exec, s[18:19]
	s_cbranch_execz .LBB88_146
; %bb.145:                              ;   in Loop: Header=BB88_2 Depth=1
	ds_read_u8 v43, v44 offset:1
	s_waitcnt lgkmcnt(1)
	v_mov_b32_e32 v42, v40
.LBB88_146:                             ;   in Loop: Header=BB88_2 Depth=1
	s_or_b64 exec, exec, s[18:19]
	v_add_u32_e32 v47, 1, v45
	v_add_u32_e32 v46, 1, v44
	v_cndmask_b32_e64 v47, v47, v45, s[16:17]
	v_cndmask_b32_e64 v46, v44, v46, s[16:17]
	v_cmp_ge_i32_e64 s[18:19], v47, v18
	s_waitcnt lgkmcnt(0)
	v_cmp_lt_u16_sdwa s[20:21], v43, v42 src0_sel:BYTE_0 src1_sel:BYTE_0
	v_cmp_lt_i32_e32 vcc, v46, v19
	s_or_b64 s[18:19], s[18:19], s[20:21]
	s_and_b64 s[18:19], vcc, s[18:19]
	s_xor_b64 s[20:21], s[18:19], -1
                                        ; implicit-def: $vgpr44
	s_and_saveexec_b64 s[22:23], s[20:21]
	s_xor_b64 s[20:21], exec, s[22:23]
; %bb.147:                              ;   in Loop: Header=BB88_2 Depth=1
	ds_read_u8 v44, v47 offset:1
; %bb.148:                              ;   in Loop: Header=BB88_2 Depth=1
	s_or_saveexec_b64 s[20:21], s[20:21]
	v_mov_b32_e32 v45, v43
	s_xor_b64 exec, exec, s[20:21]
	s_cbranch_execz .LBB88_150
; %bb.149:                              ;   in Loop: Header=BB88_2 Depth=1
	ds_read_u8 v45, v46 offset:1
	s_waitcnt lgkmcnt(1)
	v_mov_b32_e32 v44, v42
.LBB88_150:                             ;   in Loop: Header=BB88_2 Depth=1
	s_or_b64 exec, exec, s[20:21]
	v_add_u32_e32 v49, 1, v47
	v_add_u32_e32 v48, 1, v46
	v_cndmask_b32_e64 v49, v49, v47, s[18:19]
	v_cndmask_b32_e64 v48, v46, v48, s[18:19]
	v_cmp_ge_i32_e64 s[20:21], v49, v18
	s_waitcnt lgkmcnt(0)
	v_cmp_lt_u16_sdwa s[22:23], v45, v44 src0_sel:BYTE_0 src1_sel:BYTE_0
	v_cmp_lt_i32_e32 vcc, v48, v19
	s_or_b64 s[20:21], s[20:21], s[22:23]
	s_and_b64 s[20:21], vcc, s[20:21]
	s_xor_b64 s[22:23], s[20:21], -1
                                        ; implicit-def: $vgpr46
	s_and_saveexec_b64 s[24:25], s[22:23]
	s_xor_b64 s[22:23], exec, s[24:25]
; %bb.151:                              ;   in Loop: Header=BB88_2 Depth=1
	ds_read_u8 v46, v49 offset:1
; %bb.152:                              ;   in Loop: Header=BB88_2 Depth=1
	s_or_saveexec_b64 s[22:23], s[22:23]
	v_mov_b32_e32 v47, v45
	s_xor_b64 exec, exec, s[22:23]
	s_cbranch_execz .LBB88_154
; %bb.153:                              ;   in Loop: Header=BB88_2 Depth=1
	ds_read_u8 v47, v48 offset:1
	s_waitcnt lgkmcnt(1)
	v_mov_b32_e32 v46, v44
.LBB88_154:                             ;   in Loop: Header=BB88_2 Depth=1
	s_or_b64 exec, exec, s[22:23]
	v_add_u32_e32 v51, 1, v49
	v_add_u32_e32 v50, 1, v48
	v_cndmask_b32_e64 v52, v51, v49, s[20:21]
	v_cndmask_b32_e64 v50, v48, v50, s[20:21]
	v_cmp_ge_i32_e64 s[22:23], v52, v18
	s_waitcnt lgkmcnt(0)
	v_cmp_lt_u16_sdwa s[24:25], v47, v46 src0_sel:BYTE_0 src1_sel:BYTE_0
	v_cmp_lt_i32_e32 vcc, v50, v19
	s_or_b64 s[22:23], s[22:23], s[24:25]
	s_and_b64 vcc, vcc, s[22:23]
	s_xor_b64 s[22:23], vcc, -1
                                        ; implicit-def: $vgpr48
	s_and_saveexec_b64 s[24:25], s[22:23]
	s_xor_b64 s[22:23], exec, s[24:25]
; %bb.155:                              ;   in Loop: Header=BB88_2 Depth=1
	ds_read_u8 v48, v52 offset:1
; %bb.156:                              ;   in Loop: Header=BB88_2 Depth=1
	s_or_saveexec_b64 s[22:23], s[22:23]
	v_mov_b32_e32 v49, v47
	s_xor_b64 exec, exec, s[22:23]
	s_cbranch_execz .LBB88_158
; %bb.157:                              ;   in Loop: Header=BB88_2 Depth=1
	ds_read_u8 v49, v50 offset:1
	s_waitcnt lgkmcnt(1)
	v_mov_b32_e32 v48, v46
.LBB88_158:                             ;   in Loop: Header=BB88_2 Depth=1
	s_or_b64 exec, exec, s[22:23]
	v_add_u32_e32 v53, 1, v52
	v_add_u32_e32 v51, 1, v50
	v_cndmask_b32_e32 v52, v53, v52, vcc
	v_cndmask_b32_e32 v51, v50, v51, vcc
	v_cmp_ge_i32_e64 s[24:25], v52, v18
	s_waitcnt lgkmcnt(0)
	v_cmp_lt_u16_sdwa s[40:41], v49, v48 src0_sel:BYTE_0 src1_sel:BYTE_0
	v_cmp_lt_i32_e64 s[22:23], v51, v19
	s_or_b64 s[24:25], s[24:25], s[40:41]
	s_and_b64 s[22:23], s[22:23], s[24:25]
	s_xor_b64 s[24:25], s[22:23], -1
                                        ; implicit-def: $vgpr50
	s_and_saveexec_b64 s[40:41], s[24:25]
	s_xor_b64 s[24:25], exec, s[40:41]
; %bb.159:                              ;   in Loop: Header=BB88_2 Depth=1
	ds_read_u8 v50, v52 offset:1
; %bb.160:                              ;   in Loop: Header=BB88_2 Depth=1
	s_or_saveexec_b64 s[24:25], s[24:25]
	v_mov_b32_e32 v53, v49
	s_xor_b64 exec, exec, s[24:25]
	s_cbranch_execz .LBB88_162
; %bb.161:                              ;   in Loop: Header=BB88_2 Depth=1
	ds_read_u8 v53, v51 offset:1
	s_waitcnt lgkmcnt(1)
	v_mov_b32_e32 v50, v48
.LBB88_162:                             ;   in Loop: Header=BB88_2 Depth=1
	s_or_b64 exec, exec, s[24:25]
	v_cndmask_b32_e64 v48, v48, v49, s[22:23]
	v_add_u32_e32 v49, 1, v51
	v_add_u32_e32 v54, 1, v52
	v_cndmask_b32_e64 v49, v51, v49, s[22:23]
	v_cndmask_b32_e64 v51, v54, v52, s[22:23]
	v_cndmask_b32_sdwa v46, v46, v47, vcc dst_sel:BYTE_1 dst_unused:UNUSED_PAD src0_sel:DWORD src1_sel:DWORD
	s_mov_b64 vcc, s[18:19]
	v_cndmask_b32_e64 v38, v38, v39, s[14:15]
	v_cndmask_b32_e64 v36, v36, v37, s[12:13]
	v_cmp_ge_i32_e64 s[12:13], v51, v18
	s_waitcnt lgkmcnt(0)
	v_cmp_lt_u16_sdwa s[14:15], v53, v50 src0_sel:BYTE_0 src1_sel:BYTE_0
	v_cndmask_b32_sdwa v42, v42, v43, vcc dst_sel:BYTE_1 dst_unused:UNUSED_PAD src0_sel:DWORD src1_sel:DWORD
	v_cmp_lt_i32_e32 vcc, v49, v19
	s_or_b64 s[12:13], s[12:13], s[14:15]
	s_and_b64 vcc, vcc, s[12:13]
	v_cndmask_b32_e64 v40, v40, v41, s[16:17]
	v_cndmask_b32_e32 v37, v50, v53, vcc
	v_lshlrev_b16_e32 v38, 8, v38
	v_cndmask_b32_e64 v44, v44, v45, s[20:21]
	v_or_b32_sdwa v36, v36, v38 dst_sel:DWORD dst_unused:UNUSED_PAD src0_sel:BYTE_0 src1_sel:DWORD
	v_or_b32_sdwa v38, v40, v42 dst_sel:WORD_1 dst_unused:UNUSED_PAD src0_sel:BYTE_0 src1_sel:DWORD
	v_lshlrev_b16_e32 v37, 8, v37
	v_or_b32_sdwa v36, v36, v38 dst_sel:DWORD dst_unused:UNUSED_PAD src0_sel:WORD_0 src1_sel:DWORD
	v_or_b32_sdwa v38, v44, v46 dst_sel:DWORD dst_unused:UNUSED_PAD src0_sel:BYTE_0 src1_sel:DWORD
	v_or_b32_sdwa v37, v48, v37 dst_sel:WORD_1 dst_unused:UNUSED_PAD src0_sel:BYTE_0 src1_sel:DWORD
	v_or_b32_sdwa v37, v38, v37 dst_sel:DWORD dst_unused:UNUSED_PAD src0_sel:WORD_0 src1_sel:DWORD
	v_mov_b32_e32 v40, v8
	; wave barrier
	ds_write_b64 v2, v[36:37]
	s_waitcnt lgkmcnt(0)
	; wave barrier
	s_and_saveexec_b64 s[12:13], s[0:1]
	s_cbranch_execz .LBB88_166
; %bb.163:                              ;   in Loop: Header=BB88_2 Depth=1
	s_mov_b64 s[14:15], 0
	v_mov_b32_e32 v40, v8
	v_mov_b32_e32 v36, v9
.LBB88_164:                             ;   Parent Loop BB88_2 Depth=1
                                        ; =>  This Inner Loop Header: Depth=2
	v_sub_u32_e32 v37, v36, v40
	v_lshrrev_b32_e32 v37, 1, v37
	v_add_u32_e32 v37, v37, v40
	v_xad_u32 v38, v37, -1, v35
	ds_read_u8 v39, v37
	ds_read_u8 v38, v38
	v_add_u32_e32 v41, 1, v37
	s_waitcnt lgkmcnt(0)
	v_cmp_lt_u16_e32 vcc, v38, v39
	v_cndmask_b32_e32 v36, v36, v37, vcc
	v_cndmask_b32_e32 v40, v41, v40, vcc
	v_cmp_ge_i32_e32 vcc, v40, v36
	s_or_b64 s[14:15], vcc, s[14:15]
	s_andn2_b64 exec, exec, s[14:15]
	s_cbranch_execnz .LBB88_164
; %bb.165:                              ;   in Loop: Header=BB88_2 Depth=1
	s_or_b64 exec, exec, s[14:15]
.LBB88_166:                             ;   in Loop: Header=BB88_2 Depth=1
	s_or_b64 exec, exec, s[12:13]
	v_sub_u32_e32 v41, v35, v40
	ds_read_u8 v36, v40
	ds_read_u8 v37, v41
	v_cmp_le_i32_e64 s[12:13], v1, v40
	v_cmp_gt_i32_e32 vcc, s38, v41
                                        ; implicit-def: $vgpr38
	s_waitcnt lgkmcnt(0)
	v_cmp_lt_u16_sdwa s[14:15], v37, v36 src0_sel:BYTE_0 src1_sel:BYTE_0
	s_or_b64 s[12:13], s[12:13], s[14:15]
	s_and_b64 vcc, vcc, s[12:13]
	s_xor_b64 s[12:13], vcc, -1
	s_and_saveexec_b64 s[14:15], s[12:13]
	s_xor_b64 s[12:13], exec, s[14:15]
; %bb.167:                              ;   in Loop: Header=BB88_2 Depth=1
	ds_read_u8 v38, v40 offset:1
; %bb.168:                              ;   in Loop: Header=BB88_2 Depth=1
	s_or_saveexec_b64 s[12:13], s[12:13]
	v_mov_b32_e32 v39, v37
	s_xor_b64 exec, exec, s[12:13]
	s_cbranch_execz .LBB88_170
; %bb.169:                              ;   in Loop: Header=BB88_2 Depth=1
	ds_read_u8 v39, v41 offset:1
	s_waitcnt lgkmcnt(1)
	v_mov_b32_e32 v38, v36
.LBB88_170:                             ;   in Loop: Header=BB88_2 Depth=1
	s_or_b64 exec, exec, s[12:13]
	v_add_u32_e32 v43, 1, v40
	v_add_u32_e32 v42, 1, v41
	v_cndmask_b32_e32 v43, v43, v40, vcc
	v_cndmask_b32_e32 v42, v41, v42, vcc
	v_cmp_ge_i32_e64 s[14:15], v43, v1
	s_waitcnt lgkmcnt(0)
	v_cmp_lt_u16_sdwa s[16:17], v39, v38 src0_sel:BYTE_0 src1_sel:BYTE_0
	v_cmp_gt_i32_e64 s[12:13], s38, v42
	s_or_b64 s[14:15], s[14:15], s[16:17]
	s_and_b64 s[12:13], s[12:13], s[14:15]
	s_xor_b64 s[14:15], s[12:13], -1
                                        ; implicit-def: $vgpr40
	s_and_saveexec_b64 s[16:17], s[14:15]
	s_xor_b64 s[14:15], exec, s[16:17]
; %bb.171:                              ;   in Loop: Header=BB88_2 Depth=1
	ds_read_u8 v40, v43 offset:1
; %bb.172:                              ;   in Loop: Header=BB88_2 Depth=1
	s_or_saveexec_b64 s[14:15], s[14:15]
	v_mov_b32_e32 v41, v39
	s_xor_b64 exec, exec, s[14:15]
	s_cbranch_execz .LBB88_174
; %bb.173:                              ;   in Loop: Header=BB88_2 Depth=1
	ds_read_u8 v41, v42 offset:1
	s_waitcnt lgkmcnt(1)
	v_mov_b32_e32 v40, v38
.LBB88_174:                             ;   in Loop: Header=BB88_2 Depth=1
	s_or_b64 exec, exec, s[14:15]
	v_add_u32_e32 v45, 1, v43
	v_add_u32_e32 v44, 1, v42
	v_cndmask_b32_e64 v45, v45, v43, s[12:13]
	v_cndmask_b32_e64 v44, v42, v44, s[12:13]
	v_cmp_ge_i32_e64 s[16:17], v45, v1
	s_waitcnt lgkmcnt(0)
	v_cmp_lt_u16_sdwa s[18:19], v41, v40 src0_sel:BYTE_0 src1_sel:BYTE_0
	v_cmp_gt_i32_e64 s[14:15], s38, v44
	s_or_b64 s[16:17], s[16:17], s[18:19]
	s_and_b64 s[14:15], s[14:15], s[16:17]
	s_xor_b64 s[16:17], s[14:15], -1
                                        ; implicit-def: $vgpr42
	s_and_saveexec_b64 s[18:19], s[16:17]
	s_xor_b64 s[16:17], exec, s[18:19]
; %bb.175:                              ;   in Loop: Header=BB88_2 Depth=1
	ds_read_u8 v42, v45 offset:1
; %bb.176:                              ;   in Loop: Header=BB88_2 Depth=1
	s_or_saveexec_b64 s[16:17], s[16:17]
	v_mov_b32_e32 v43, v41
	s_xor_b64 exec, exec, s[16:17]
	s_cbranch_execz .LBB88_178
; %bb.177:                              ;   in Loop: Header=BB88_2 Depth=1
	ds_read_u8 v43, v44 offset:1
	s_waitcnt lgkmcnt(1)
	v_mov_b32_e32 v42, v40
.LBB88_178:                             ;   in Loop: Header=BB88_2 Depth=1
	s_or_b64 exec, exec, s[16:17]
	v_add_u32_e32 v47, 1, v45
	v_add_u32_e32 v46, 1, v44
	v_cndmask_b32_e64 v47, v47, v45, s[14:15]
	v_cndmask_b32_e64 v46, v44, v46, s[14:15]
	v_cmp_ge_i32_e64 s[18:19], v47, v1
	s_waitcnt lgkmcnt(0)
	v_cmp_lt_u16_sdwa s[20:21], v43, v42 src0_sel:BYTE_0 src1_sel:BYTE_0
	v_cmp_gt_i32_e64 s[16:17], s38, v46
	s_or_b64 s[18:19], s[18:19], s[20:21]
	s_and_b64 s[16:17], s[16:17], s[18:19]
	s_xor_b64 s[18:19], s[16:17], -1
                                        ; implicit-def: $vgpr44
	s_and_saveexec_b64 s[20:21], s[18:19]
	s_xor_b64 s[18:19], exec, s[20:21]
; %bb.179:                              ;   in Loop: Header=BB88_2 Depth=1
	ds_read_u8 v44, v47 offset:1
; %bb.180:                              ;   in Loop: Header=BB88_2 Depth=1
	s_or_saveexec_b64 s[18:19], s[18:19]
	v_mov_b32_e32 v45, v43
	s_xor_b64 exec, exec, s[18:19]
	s_cbranch_execz .LBB88_182
; %bb.181:                              ;   in Loop: Header=BB88_2 Depth=1
	ds_read_u8 v45, v46 offset:1
	s_waitcnt lgkmcnt(1)
	v_mov_b32_e32 v44, v42
.LBB88_182:                             ;   in Loop: Header=BB88_2 Depth=1
	s_or_b64 exec, exec, s[18:19]
	v_add_u32_e32 v49, 1, v47
	v_add_u32_e32 v48, 1, v46
	v_cndmask_b32_e64 v49, v49, v47, s[16:17]
	v_cndmask_b32_e64 v48, v46, v48, s[16:17]
	v_cmp_ge_i32_e64 s[20:21], v49, v1
	s_waitcnt lgkmcnt(0)
	v_cmp_lt_u16_sdwa s[22:23], v45, v44 src0_sel:BYTE_0 src1_sel:BYTE_0
	v_cmp_gt_i32_e64 s[18:19], s38, v48
	s_or_b64 s[20:21], s[20:21], s[22:23]
	s_and_b64 s[18:19], s[18:19], s[20:21]
	s_xor_b64 s[20:21], s[18:19], -1
                                        ; implicit-def: $vgpr46
	s_and_saveexec_b64 s[22:23], s[20:21]
	s_xor_b64 s[20:21], exec, s[22:23]
; %bb.183:                              ;   in Loop: Header=BB88_2 Depth=1
	ds_read_u8 v46, v49 offset:1
; %bb.184:                              ;   in Loop: Header=BB88_2 Depth=1
	s_or_saveexec_b64 s[20:21], s[20:21]
	v_mov_b32_e32 v47, v45
	s_xor_b64 exec, exec, s[20:21]
	s_cbranch_execz .LBB88_186
; %bb.185:                              ;   in Loop: Header=BB88_2 Depth=1
	ds_read_u8 v47, v48 offset:1
	s_waitcnt lgkmcnt(1)
	v_mov_b32_e32 v46, v44
.LBB88_186:                             ;   in Loop: Header=BB88_2 Depth=1
	s_or_b64 exec, exec, s[20:21]
	v_add_u32_e32 v51, 1, v49
	v_add_u32_e32 v50, 1, v48
	v_cndmask_b32_e64 v51, v51, v49, s[18:19]
	v_cndmask_b32_e64 v50, v48, v50, s[18:19]
	v_cmp_ge_i32_e64 s[22:23], v51, v1
	s_waitcnt lgkmcnt(0)
	v_cmp_lt_u16_sdwa s[24:25], v47, v46 src0_sel:BYTE_0 src1_sel:BYTE_0
	v_cmp_gt_i32_e64 s[20:21], s38, v50
	s_or_b64 s[22:23], s[22:23], s[24:25]
	s_and_b64 s[20:21], s[20:21], s[22:23]
	s_xor_b64 s[22:23], s[20:21], -1
                                        ; implicit-def: $vgpr48
	s_and_saveexec_b64 s[24:25], s[22:23]
	s_xor_b64 s[22:23], exec, s[24:25]
; %bb.187:                              ;   in Loop: Header=BB88_2 Depth=1
	ds_read_u8 v48, v51 offset:1
; %bb.188:                              ;   in Loop: Header=BB88_2 Depth=1
	s_or_saveexec_b64 s[22:23], s[22:23]
	v_mov_b32_e32 v49, v47
	s_xor_b64 exec, exec, s[22:23]
	s_cbranch_execz .LBB88_190
; %bb.189:                              ;   in Loop: Header=BB88_2 Depth=1
	ds_read_u8 v49, v50 offset:1
	s_waitcnt lgkmcnt(1)
	v_mov_b32_e32 v48, v46
.LBB88_190:                             ;   in Loop: Header=BB88_2 Depth=1
	s_or_b64 exec, exec, s[22:23]
	v_add_u32_e32 v53, 1, v51
	v_add_u32_e32 v52, 1, v50
	v_cndmask_b32_e64 v53, v53, v51, s[20:21]
	v_cndmask_b32_e64 v50, v50, v52, s[20:21]
	v_cmp_ge_i32_e64 s[24:25], v53, v1
	s_waitcnt lgkmcnt(0)
	v_cmp_lt_u16_sdwa s[40:41], v49, v48 src0_sel:BYTE_0 src1_sel:BYTE_0
	v_cmp_gt_i32_e64 s[22:23], s38, v50
	s_or_b64 s[24:25], s[24:25], s[40:41]
	s_and_b64 s[22:23], s[22:23], s[24:25]
	s_xor_b64 s[24:25], s[22:23], -1
                                        ; implicit-def: $vgpr51
                                        ; implicit-def: $vgpr52
	s_and_saveexec_b64 s[40:41], s[24:25]
	s_xor_b64 s[24:25], exec, s[40:41]
; %bb.191:                              ;   in Loop: Header=BB88_2 Depth=1
	ds_read_u8 v51, v53 offset:1
	v_add_u32_e32 v52, 1, v53
                                        ; implicit-def: $vgpr53
; %bb.192:                              ;   in Loop: Header=BB88_2 Depth=1
	s_or_saveexec_b64 s[24:25], s[24:25]
	v_mov_b32_e32 v54, v49
	s_xor_b64 exec, exec, s[24:25]
	s_cbranch_execz .LBB88_1
; %bb.193:                              ;   in Loop: Header=BB88_2 Depth=1
	ds_read_u8 v54, v50 offset:1
	v_add_u32_e32 v50, 1, v50
	v_mov_b32_e32 v52, v53
	s_waitcnt lgkmcnt(1)
	v_mov_b32_e32 v51, v48
	s_branch .LBB88_1
.LBB88_194:
	s_add_u32 s0, s26, s28
	s_addc_u32 s1, s27, 0
	v_mov_b32_e32 v1, s1
	v_add_co_u32_e32 v0, vcc, s0, v0
	v_addc_co_u32_e32 v1, vcc, 0, v1, vcc
	global_store_byte v[0:1], v37, off
	global_store_byte v[0:1], v38, off offset:64
	global_store_byte v[0:1], v39, off offset:128
	;; [unrolled: 1-line block ×7, first 2 shown]
	s_endpgm
	.section	.rodata,"a",@progbits
	.p2align	6, 0x0
	.amdhsa_kernel _Z16sort_keys_kernelIhLj64ELj8EN10test_utils4lessELj10EEvPKT_PS2_T2_
		.amdhsa_group_segment_fixed_size 513
		.amdhsa_private_segment_fixed_size 0
		.amdhsa_kernarg_size 20
		.amdhsa_user_sgpr_count 6
		.amdhsa_user_sgpr_private_segment_buffer 1
		.amdhsa_user_sgpr_dispatch_ptr 0
		.amdhsa_user_sgpr_queue_ptr 0
		.amdhsa_user_sgpr_kernarg_segment_ptr 1
		.amdhsa_user_sgpr_dispatch_id 0
		.amdhsa_user_sgpr_flat_scratch_init 0
		.amdhsa_user_sgpr_private_segment_size 0
		.amdhsa_uses_dynamic_stack 0
		.amdhsa_system_sgpr_private_segment_wavefront_offset 0
		.amdhsa_system_sgpr_workgroup_id_x 1
		.amdhsa_system_sgpr_workgroup_id_y 0
		.amdhsa_system_sgpr_workgroup_id_z 0
		.amdhsa_system_sgpr_workgroup_info 0
		.amdhsa_system_vgpr_workitem_id 0
		.amdhsa_next_free_vgpr 55
		.amdhsa_next_free_sgpr 42
		.amdhsa_reserve_vcc 1
		.amdhsa_reserve_flat_scratch 0
		.amdhsa_float_round_mode_32 0
		.amdhsa_float_round_mode_16_64 0
		.amdhsa_float_denorm_mode_32 3
		.amdhsa_float_denorm_mode_16_64 3
		.amdhsa_dx10_clamp 1
		.amdhsa_ieee_mode 1
		.amdhsa_fp16_overflow 0
		.amdhsa_exception_fp_ieee_invalid_op 0
		.amdhsa_exception_fp_denorm_src 0
		.amdhsa_exception_fp_ieee_div_zero 0
		.amdhsa_exception_fp_ieee_overflow 0
		.amdhsa_exception_fp_ieee_underflow 0
		.amdhsa_exception_fp_ieee_inexact 0
		.amdhsa_exception_int_div_zero 0
	.end_amdhsa_kernel
	.section	.text._Z16sort_keys_kernelIhLj64ELj8EN10test_utils4lessELj10EEvPKT_PS2_T2_,"axG",@progbits,_Z16sort_keys_kernelIhLj64ELj8EN10test_utils4lessELj10EEvPKT_PS2_T2_,comdat
.Lfunc_end88:
	.size	_Z16sort_keys_kernelIhLj64ELj8EN10test_utils4lessELj10EEvPKT_PS2_T2_, .Lfunc_end88-_Z16sort_keys_kernelIhLj64ELj8EN10test_utils4lessELj10EEvPKT_PS2_T2_
                                        ; -- End function
	.set _Z16sort_keys_kernelIhLj64ELj8EN10test_utils4lessELj10EEvPKT_PS2_T2_.num_vgpr, 55
	.set _Z16sort_keys_kernelIhLj64ELj8EN10test_utils4lessELj10EEvPKT_PS2_T2_.num_agpr, 0
	.set _Z16sort_keys_kernelIhLj64ELj8EN10test_utils4lessELj10EEvPKT_PS2_T2_.numbered_sgpr, 42
	.set _Z16sort_keys_kernelIhLj64ELj8EN10test_utils4lessELj10EEvPKT_PS2_T2_.num_named_barrier, 0
	.set _Z16sort_keys_kernelIhLj64ELj8EN10test_utils4lessELj10EEvPKT_PS2_T2_.private_seg_size, 0
	.set _Z16sort_keys_kernelIhLj64ELj8EN10test_utils4lessELj10EEvPKT_PS2_T2_.uses_vcc, 1
	.set _Z16sort_keys_kernelIhLj64ELj8EN10test_utils4lessELj10EEvPKT_PS2_T2_.uses_flat_scratch, 0
	.set _Z16sort_keys_kernelIhLj64ELj8EN10test_utils4lessELj10EEvPKT_PS2_T2_.has_dyn_sized_stack, 0
	.set _Z16sort_keys_kernelIhLj64ELj8EN10test_utils4lessELj10EEvPKT_PS2_T2_.has_recursion, 0
	.set _Z16sort_keys_kernelIhLj64ELj8EN10test_utils4lessELj10EEvPKT_PS2_T2_.has_indirect_call, 0
	.section	.AMDGPU.csdata,"",@progbits
; Kernel info:
; codeLenInByte = 8444
; TotalNumSgprs: 46
; NumVgprs: 55
; ScratchSize: 0
; MemoryBound: 0
; FloatMode: 240
; IeeeMode: 1
; LDSByteSize: 513 bytes/workgroup (compile time only)
; SGPRBlocks: 5
; VGPRBlocks: 13
; NumSGPRsForWavesPerEU: 46
; NumVGPRsForWavesPerEU: 55
; Occupancy: 4
; WaveLimiterHint : 0
; COMPUTE_PGM_RSRC2:SCRATCH_EN: 0
; COMPUTE_PGM_RSRC2:USER_SGPR: 6
; COMPUTE_PGM_RSRC2:TRAP_HANDLER: 0
; COMPUTE_PGM_RSRC2:TGID_X_EN: 1
; COMPUTE_PGM_RSRC2:TGID_Y_EN: 0
; COMPUTE_PGM_RSRC2:TGID_Z_EN: 0
; COMPUTE_PGM_RSRC2:TIDIG_COMP_CNT: 0
	.section	.text._Z17sort_pairs_kernelIhLj64ELj8EN10test_utils4lessELj10EEvPKT_PS2_T2_,"axG",@progbits,_Z17sort_pairs_kernelIhLj64ELj8EN10test_utils4lessELj10EEvPKT_PS2_T2_,comdat
	.protected	_Z17sort_pairs_kernelIhLj64ELj8EN10test_utils4lessELj10EEvPKT_PS2_T2_ ; -- Begin function _Z17sort_pairs_kernelIhLj64ELj8EN10test_utils4lessELj10EEvPKT_PS2_T2_
	.globl	_Z17sort_pairs_kernelIhLj64ELj8EN10test_utils4lessELj10EEvPKT_PS2_T2_
	.p2align	8
	.type	_Z17sort_pairs_kernelIhLj64ELj8EN10test_utils4lessELj10EEvPKT_PS2_T2_,@function
_Z17sort_pairs_kernelIhLj64ELj8EN10test_utils4lessELj10EEvPKT_PS2_T2_: ; @_Z17sort_pairs_kernelIhLj64ELj8EN10test_utils4lessELj10EEvPKT_PS2_T2_
; %bb.0:
	s_load_dwordx4 s[0:3], s[4:5], 0x0
	s_lshl_b32 s4, s6, 9
                                        ; implicit-def: $vgpr76 : SGPR spill to VGPR lane
	v_lshlrev_b32_e32 v5, 3, v0
	v_writelane_b32 v76, s4, 0
	v_and_b32_e32 v6, 0x1f0, v5
	s_waitcnt lgkmcnt(0)
	s_add_u32 s0, s0, s4
	v_writelane_b32 v76, s0, 1
	v_writelane_b32 v76, s1, 2
	;; [unrolled: 1-line block ×4, first 2 shown]
	s_addc_u32 s1, s1, 0
	s_nop 0
	global_load_ubyte v1, v0, s[0:1]
	global_load_ubyte v2, v0, s[0:1] offset:128
	global_load_ubyte v3, v0, s[0:1] offset:256
	;; [unrolled: 1-line block ×7, first 2 shown]
	v_and_b32_e32 v7, 0x1e0, v5
	v_or_b32_e32 v11, 8, v6
	v_add_u32_e32 v12, 16, v6
	v_and_b32_e32 v27, 8, v5
	v_and_b32_e32 v8, 0x1c0, v5
	v_or_b32_e32 v13, 16, v7
	v_add_u32_e32 v14, 32, v7
	v_sub_u32_e32 v36, v12, v11
	v_and_b32_e32 v28, 24, v5
	v_or_b32_e32 v15, 32, v8
	v_add_u32_e32 v16, 64, v8
	v_sub_u32_e32 v37, v14, v13
	v_sub_u32_e32 v24, v11, v6
	;; [unrolled: 1-line block ×3, first 2 shown]
	v_cmp_ge_i32_e32 vcc, v27, v36
	v_and_b32_e32 v29, 56, v5
	v_sub_u32_e32 v38, v16, v15
	v_add_u32_e32 v21, v11, v27
	v_sub_u32_e32 v25, v13, v7
	v_sub_u32_e32 v42, v28, v37
	v_min_i32_e32 v24, v27, v24
	v_cndmask_b32_e32 v27, 0, v41, vcc
	v_cmp_ge_i32_e32 vcc, v28, v37
	v_add_u32_e32 v22, v13, v28
	v_sub_u32_e32 v26, v15, v8
	v_sub_u32_e32 v43, v29, v38
	v_min_i32_e32 v25, v28, v25
	v_cndmask_b32_e32 v28, 0, v42, vcc
	v_cmp_ge_i32_e32 vcc, v29, v38
	s_mov_b32 s84, 0xc0c0004
	v_and_b32_e32 v9, 0x180, v5
	v_add_u32_e32 v23, v15, v29
	v_min_i32_e32 v26, v29, v26
	v_cndmask_b32_e32 v29, 0, v43, vcc
	s_movk_i32 s0, 0x100
	v_and_b32_e32 v10, 0x100, v5
	v_or_b32_e32 v17, 64, v9
	v_add_u32_e32 v18, 0x80, v9
	v_and_b32_e32 v34, 0x78, v5
	v_or_b32_e32 v19, 0x80, v10
	v_add_u32_e32 v20, 0x100, v10
	v_sub_u32_e32 v39, v18, v17
	v_and_b32_e32 v35, 0xf8, v5
	v_sub_u32_e32 v40, v20, v19
	v_sub_u32_e32 v44, v34, v39
	v_cmp_ge_i32_e32 vcc, v34, v39
	v_sub_u32_e32 v45, v35, v40
	v_cmp_lt_i32_e64 s[2:3], v27, v24
	v_writelane_b32 v76, s2, 5
	s_mov_b32 s85, 0
	v_writelane_b32 v76, s3, 6
	v_cmp_lt_i32_e64 s[2:3], v28, v25
	v_cmp_lt_i32_e64 s[4:5], v29, v26
	s_movk_i32 s88, 0xff
	s_mov_b32 s89, 0x7060405
	s_mov_b32 s90, 0xc0c0001
	;; [unrolled: 1-line block ×7, first 2 shown]
	s_movk_i32 s33, 0x200
	v_add_u32_e32 v39, 0x100, v5
	s_waitcnt vmcnt(7)
	v_add_u16_e32 v36, 1, v1
	s_waitcnt vmcnt(6)
	v_add_u16_e32 v37, 1, v2
	;; [unrolled: 2-line block ×4, first 2 shown]
	s_waitcnt vmcnt(3)
	v_lshlrev_b16_e32 v47, 8, v30
	s_waitcnt vmcnt(2)
	v_lshlrev_b16_e32 v46, 8, v31
	;; [unrolled: 2-line block ×4, first 2 shown]
	v_perm_b32 v1, v1, v33, s84
	v_perm_b32 v2, v2, v32, s84
	;; [unrolled: 1-line block ×4, first 2 shown]
	v_or_b32_sdwa v31, v42, v36 dst_sel:DWORD dst_unused:UNUSED_PAD src0_sel:DWORD src1_sel:BYTE_0
	v_or_b32_sdwa v32, v43, v37 dst_sel:DWORD dst_unused:UNUSED_PAD src0_sel:DWORD src1_sel:BYTE_0
	;; [unrolled: 1-line block ×4, first 2 shown]
	v_lshl_or_b32 v4, v2, 16, v1
	v_lshl_or_b32 v3, v30, 16, v3
	v_add_u16_e32 v1, 0x100, v31
	v_add_u16_sdwa v2, v32, s0 dst_sel:WORD_1 dst_unused:UNUSED_PAD src0_sel:DWORD src1_sel:DWORD
	v_add_u16_e32 v30, 0x100, v33
	v_add_u16_sdwa v31, v36, s0 dst_sel:WORD_1 dst_unused:UNUSED_PAD src0_sel:DWORD src1_sel:DWORD
	v_or_b32_e32 v1, v1, v2
	v_or_b32_e32 v2, v30, v31
	v_sub_u32_e32 v31, v17, v9
	v_cndmask_b32_e32 v30, 0, v44, vcc
	v_min_i32_e32 v31, v34, v31
	v_add_u32_e32 v32, v17, v34
	v_cmp_ge_i32_e32 vcc, v35, v40
	v_sub_u32_e32 v34, v19, v10
	v_mov_b32_e32 v36, 0x100
	v_cndmask_b32_e32 v33, 0, v45, vcc
	v_min_i32_e32 v34, v35, v34
	v_sub_u32_e64 v37, v5, v36 clamp
	v_min_i32_e32 v38, 0x100, v5
	v_cmp_lt_i32_e64 s[6:7], v30, v31
	v_cmp_lt_i32_e64 s[8:9], v33, v34
	v_add_u32_e32 v35, v19, v35
	v_cmp_lt_i32_e64 s[10:11], v37, v38
	s_branch .LBB89_2
.LBB89_1:                               ;   in Loop: Header=BB89_2 Depth=1
	s_or_b64 exec, exec, s[24:25]
	v_cndmask_b32_e32 v46, v46, v47, vcc
	v_cndmask_b32_e64 v47, v48, v49, s[12:13]
	v_cndmask_b32_e64 v50, v51, v50, s[12:13]
	v_cmp_ge_i32_e64 s[12:13], v72, v36
	s_waitcnt lgkmcnt(0)
	v_cmp_lt_u16_sdwa s[0:1], v75, v73 src0_sel:BYTE_0 src1_sel:BYTE_0
	v_cndmask_b32_e32 v45, v44, v45, vcc
	v_cmp_gt_i32_e32 vcc, s33, v70
	s_or_b64 s[0:1], s[12:13], s[0:1]
	s_and_b64 vcc, vcc, s[0:1]
	v_perm_b32 v41, v41, v42, s84
	v_perm_b32 v40, v43, v40, s84
	;; [unrolled: 1-line block ×4, first 2 shown]
	v_cndmask_b32_e64 v49, v56, v57, s[16:17]
	v_cndmask_b32_e64 v54, v55, v54, s[14:15]
	v_cndmask_b32_e32 v51, v72, v70, vcc
	v_lshl_or_b32 v41, v40, 16, v41
	v_lshl_or_b32 v40, v2, 16, v1
	v_cndmask_b32_e64 v48, v52, v53, s[14:15]
	v_cndmask_b32_e64 v52, v60, v61, s[18:19]
	;; [unrolled: 1-line block ×5, first 2 shown]
	; wave barrier
	ds_write_b64 v5, v[40:41]
	s_waitcnt lgkmcnt(0)
	; wave barrier
	ds_read_u8 v40, v45
	ds_read_u8 v41, v71
	;; [unrolled: 1-line block ×8, first 2 shown]
	v_lshlrev_b16_e32 v1, 8, v47
	v_lshlrev_b16_e32 v2, 8, v49
	v_cndmask_b32_e64 v53, v64, v65, s[20:21]
	v_cndmask_b32_e32 v44, v73, v75, vcc
	v_or_b32_sdwa v1, v46, v1 dst_sel:DWORD dst_unused:UNUSED_PAD src0_sel:BYTE_0 src1_sel:DWORD
	v_or_b32_sdwa v2, v48, v2 dst_sel:WORD_1 dst_unused:UNUSED_PAD src0_sel:BYTE_0 src1_sel:DWORD
	v_cndmask_b32_e64 v56, v68, v69, s[22:23]
	v_or_b32_sdwa v4, v1, v2 dst_sel:DWORD dst_unused:UNUSED_PAD src0_sel:WORD_0 src1_sel:DWORD
	v_lshlrev_b16_e32 v1, 8, v53
	v_lshlrev_b16_e32 v2, 8, v44
	v_or_b32_sdwa v1, v52, v1 dst_sel:DWORD dst_unused:UNUSED_PAD src0_sel:BYTE_0 src1_sel:DWORD
	v_or_b32_sdwa v2, v56, v2 dst_sel:WORD_1 dst_unused:UNUSED_PAD src0_sel:BYTE_0 src1_sel:DWORD
	v_or_b32_sdwa v3, v1, v2 dst_sel:DWORD dst_unused:UNUSED_PAD src0_sel:WORD_0 src1_sel:DWORD
	s_waitcnt lgkmcnt(4)
	v_perm_b32 v1, v40, v43, s84
	s_waitcnt lgkmcnt(2)
	v_perm_b32 v2, v45, v50, s84
	s_add_i32 s85, s85, 1
	v_lshl_or_b32 v1, v2, 16, v1
	s_waitcnt lgkmcnt(0)
	v_perm_b32 v2, v51, v54, s84
	v_perm_b32 v55, v41, v42, s84
	s_cmp_eq_u32 s85, 10
	v_lshl_or_b32 v2, v55, 16, v2
	s_cbranch_scc1 .LBB89_194
.LBB89_2:                               ; =>This Loop Header: Depth=1
                                        ;     Child Loop BB89_4 Depth 2
                                        ;     Child Loop BB89_36 Depth 2
	;; [unrolled: 1-line block ×6, first 2 shown]
	v_lshrrev_b32_e32 v41, 8, v4
	v_perm_b32 v40, v4, v4, s89
	v_cmp_lt_u16_sdwa s[12:13], v41, v4 src0_sel:BYTE_0 src1_sel:BYTE_0
	v_cndmask_b32_e64 v4, v4, v40, s[12:13]
	v_lshrrev_b32_e32 v40, 16, v4
	v_perm_b32 v41, 0, v40, s90
	v_lshlrev_b32_e32 v41, 16, v41
	v_and_or_b32 v41, v4, s91, v41
	v_cmp_lt_u16_sdwa s[14:15], v4, v40 src0_sel:BYTE_3 src1_sel:BYTE_0
	v_cndmask_b32_e64 v4, v4, v41, s[14:15]
	v_lshrrev_b32_e32 v41, 8, v3
	v_perm_b32 v40, v3, v3, s89
	v_cmp_lt_u16_sdwa s[16:17], v41, v3 src0_sel:BYTE_0 src1_sel:BYTE_0
	v_cndmask_b32_e64 v3, v3, v40, s[16:17]
	v_and_b32_sdwa v40, v3, s88 dst_sel:DWORD dst_unused:UNUSED_PAD src0_sel:WORD_1 src1_sel:DWORD
	v_perm_b32 v41, v3, v3, s92
	v_cmp_lt_u16_sdwa s[18:19], v3, v40 src0_sel:BYTE_3 src1_sel:DWORD
	v_cndmask_b32_e64 v3, v3, v41, s[18:19]
	v_and_b32_sdwa v40, v4, s88 dst_sel:DWORD dst_unused:UNUSED_PAD src0_sel:WORD_1 src1_sel:DWORD
	v_lshrrev_b32_e32 v41, 8, v4
	v_perm_b32 v42, v4, v4, s93
	v_cmp_lt_u16_sdwa s[20:21], v40, v41 src0_sel:DWORD src1_sel:BYTE_0
	v_cndmask_b32_e64 v4, v4, v42, s[20:21]
	v_and_b32_sdwa v41, v4, s88 dst_sel:DWORD dst_unused:UNUSED_PAD src0_sel:WORD_1 src1_sel:DWORD
	v_lshlrev_b16_e32 v42, 8, v3
	v_perm_b32 v40, v4, v3, s94
	v_or_b32_sdwa v41, v41, v42 dst_sel:WORD_1 dst_unused:UNUSED_PAD src0_sel:DWORD src1_sel:DWORD
	v_cmp_lt_u16_sdwa s[22:23], v3, v4 src0_sel:BYTE_0 src1_sel:BYTE_3
	v_and_or_b32 v41, v4, s91, v41
	v_cndmask_b32_e64 v3, v3, v40, s[22:23]
	v_cndmask_b32_e64 v4, v4, v41, s[22:23]
	v_and_b32_sdwa v40, v3, s88 dst_sel:DWORD dst_unused:UNUSED_PAD src0_sel:WORD_1 src1_sel:DWORD
	v_lshrrev_b32_e32 v41, 8, v3
	v_cmp_lt_u16_sdwa s[24:25], v40, v41 src0_sel:DWORD src1_sel:BYTE_0
	v_perm_b32 v40, 0, v4, s90
	v_lshrrev_b32_e32 v41, 8, v4
	v_and_or_b32 v40, v4, s95, v40
	v_cmp_lt_u16_sdwa s[26:27], v41, v4 src0_sel:BYTE_0 src1_sel:BYTE_0
	v_cndmask_b32_e64 v4, v4, v40, s[26:27]
	v_lshrrev_b32_e32 v40, 16, v4
	v_perm_b32 v41, 0, v40, s90
	v_perm_b32 v42, v3, v3, s93
	v_lshlrev_b32_e32 v41, 16, v41
	v_cndmask_b32_e64 v3, v3, v42, s[24:25]
	v_and_or_b32 v41, v4, s91, v41
	v_cmp_lt_u16_sdwa s[28:29], v4, v40 src0_sel:BYTE_3 src1_sel:BYTE_0
	v_cndmask_b32_e64 v4, v4, v41, s[28:29]
	v_lshrrev_b32_e32 v41, 8, v3
	v_perm_b32 v40, v3, v3, s89
	v_cmp_lt_u16_sdwa s[30:31], v41, v3 src0_sel:BYTE_0 src1_sel:BYTE_0
	v_cndmask_b32_e64 v3, v3, v40, s[30:31]
	v_and_b32_sdwa v40, v3, s88 dst_sel:DWORD dst_unused:UNUSED_PAD src0_sel:WORD_1 src1_sel:DWORD
	v_perm_b32 v41, v3, v3, s92
	v_cmp_lt_u16_sdwa s[34:35], v3, v40 src0_sel:BYTE_3 src1_sel:DWORD
	v_cndmask_b32_e64 v3, v3, v41, s[34:35]
	v_and_b32_sdwa v40, v4, s88 dst_sel:DWORD dst_unused:UNUSED_PAD src0_sel:WORD_1 src1_sel:DWORD
	v_lshrrev_b32_e32 v41, 8, v4
	v_perm_b32 v42, v4, v4, s93
	v_cmp_lt_u16_sdwa s[36:37], v40, v41 src0_sel:DWORD src1_sel:BYTE_0
	v_cndmask_b32_e64 v4, v4, v42, s[36:37]
	v_and_b32_sdwa v41, v4, s88 dst_sel:DWORD dst_unused:UNUSED_PAD src0_sel:WORD_1 src1_sel:DWORD
	v_lshlrev_b16_e32 v42, 8, v3
	v_perm_b32 v40, v4, v3, s94
	v_or_b32_sdwa v41, v41, v42 dst_sel:WORD_1 dst_unused:UNUSED_PAD src0_sel:DWORD src1_sel:DWORD
	v_cmp_lt_u16_sdwa s[38:39], v3, v4 src0_sel:BYTE_0 src1_sel:BYTE_3
	v_and_or_b32 v41, v4, s91, v41
	v_cndmask_b32_e64 v3, v3, v40, s[38:39]
	v_cndmask_b32_e64 v4, v4, v41, s[38:39]
	v_and_b32_sdwa v40, v3, s88 dst_sel:DWORD dst_unused:UNUSED_PAD src0_sel:WORD_1 src1_sel:DWORD
	v_lshrrev_b32_e32 v41, 8, v3
	v_cmp_lt_u16_sdwa s[40:41], v40, v41 src0_sel:DWORD src1_sel:BYTE_0
	v_perm_b32 v40, 0, v4, s90
	v_lshrrev_b32_e32 v41, 8, v4
	v_and_or_b32 v40, v4, s95, v40
	v_cmp_lt_u16_sdwa s[42:43], v41, v4 src0_sel:BYTE_0 src1_sel:BYTE_0
	v_cndmask_b32_e64 v4, v4, v40, s[42:43]
	v_lshrrev_b32_e32 v40, 16, v4
	v_perm_b32 v41, 0, v40, s90
	v_perm_b32 v42, v3, v3, s93
	v_lshlrev_b32_e32 v41, 16, v41
	v_cndmask_b32_e64 v3, v3, v42, s[40:41]
	;; [unrolled: 37-line block ×3, first 2 shown]
	v_and_or_b32 v41, v4, s91, v41
	v_cmp_lt_u16_sdwa s[58:59], v4, v40 src0_sel:BYTE_3 src1_sel:BYTE_0
	v_cndmask_b32_e64 v4, v4, v41, s[58:59]
	v_lshrrev_b32_e32 v41, 8, v3
	v_perm_b32 v40, v3, v3, s89
	v_cmp_lt_u16_sdwa s[60:61], v41, v3 src0_sel:BYTE_0 src1_sel:BYTE_0
	v_cndmask_b32_e64 v3, v3, v40, s[60:61]
	v_and_b32_sdwa v40, v3, s88 dst_sel:DWORD dst_unused:UNUSED_PAD src0_sel:WORD_1 src1_sel:DWORD
	v_perm_b32 v41, v3, v3, s92
	v_cmp_lt_u16_sdwa s[62:63], v3, v40 src0_sel:BYTE_3 src1_sel:DWORD
	v_cndmask_b32_e64 v40, v3, v41, s[62:63]
	v_and_b32_sdwa v3, v4, s88 dst_sel:DWORD dst_unused:UNUSED_PAD src0_sel:WORD_1 src1_sel:DWORD
	v_lshrrev_b32_e32 v41, 8, v4
	v_perm_b32 v42, v4, v4, s93
	v_cmp_lt_u16_sdwa s[64:65], v3, v41 src0_sel:DWORD src1_sel:BYTE_0
	v_cndmask_b32_e64 v3, v4, v42, s[64:65]
	v_and_b32_sdwa v41, v3, s88 dst_sel:DWORD dst_unused:UNUSED_PAD src0_sel:WORD_1 src1_sel:DWORD
	v_lshlrev_b16_e32 v42, 8, v40
	v_perm_b32 v4, v3, v40, s94
	v_or_b32_sdwa v41, v41, v42 dst_sel:WORD_1 dst_unused:UNUSED_PAD src0_sel:DWORD src1_sel:DWORD
	v_cmp_lt_u16_sdwa s[66:67], v40, v3 src0_sel:BYTE_0 src1_sel:BYTE_3
	v_and_or_b32 v41, v3, s91, v41
	v_cndmask_b32_e64 v4, v40, v4, s[66:67]
	v_cndmask_b32_e64 v3, v3, v41, s[66:67]
	v_and_b32_sdwa v40, v4, s88 dst_sel:DWORD dst_unused:UNUSED_PAD src0_sel:WORD_1 src1_sel:DWORD
	v_lshrrev_b32_e32 v41, 8, v4
	v_perm_b32 v42, v4, v4, s93
	v_cmp_lt_u16_sdwa s[68:69], v40, v41 src0_sel:DWORD src1_sel:BYTE_0
	v_readlane_b32 s0, v76, 5
	v_cndmask_b32_e64 v4, v4, v42, s[68:69]
	v_mov_b32_e32 v45, v27
	v_readlane_b32 s1, v76, 6
	; wave barrier
	ds_write_b64 v5, v[3:4]
	s_waitcnt lgkmcnt(0)
	; wave barrier
	s_and_saveexec_b64 s[70:71], s[0:1]
	s_cbranch_execz .LBB89_6
; %bb.3:                                ;   in Loop: Header=BB89_2 Depth=1
	s_mov_b64 s[72:73], 0
	v_mov_b32_e32 v45, v27
	v_mov_b32_e32 v3, v24
.LBB89_4:                               ;   Parent Loop BB89_2 Depth=1
                                        ; =>  This Inner Loop Header: Depth=2
	v_sub_u32_e32 v4, v3, v45
	v_lshrrev_b32_e32 v4, 1, v4
	v_add_u32_e32 v4, v4, v45
	v_add_u32_e32 v40, v6, v4
	v_xad_u32 v41, v4, -1, v21
	ds_read_u8 v40, v40
	ds_read_u8 v41, v41
	v_add_u32_e32 v42, 1, v4
	s_waitcnt lgkmcnt(0)
	v_cmp_lt_u16_e32 vcc, v41, v40
	v_cndmask_b32_e32 v3, v3, v4, vcc
	v_cndmask_b32_e32 v45, v42, v45, vcc
	v_cmp_ge_i32_e32 vcc, v45, v3
	s_or_b64 s[72:73], vcc, s[72:73]
	s_andn2_b64 exec, exec, s[72:73]
	s_cbranch_execnz .LBB89_4
; %bb.5:                                ;   in Loop: Header=BB89_2 Depth=1
	s_or_b64 exec, exec, s[72:73]
.LBB89_6:                               ;   in Loop: Header=BB89_2 Depth=1
	s_or_b64 exec, exec, s[70:71]
	v_add_u32_e32 v44, v45, v6
	v_sub_u32_e32 v45, v21, v45
	ds_read_u8 v46, v44
	ds_read_u8 v47, v45
	v_cmp_le_i32_e64 s[70:71], v11, v44
	v_cmp_gt_i32_e32 vcc, v12, v45
	v_lshrrev_b64 v[3:4], 24, v[1:2]
	v_lshrrev_b32_e32 v40, 8, v2
	s_waitcnt lgkmcnt(0)
	v_cmp_lt_u16_sdwa s[72:73], v47, v46 src0_sel:BYTE_0 src1_sel:BYTE_0
	s_or_b64 s[70:71], s[70:71], s[72:73]
	s_and_b64 s[70:71], vcc, s[70:71]
	v_lshrrev_b32_e32 v41, 16, v2
	v_lshrrev_b32_e32 v43, 24, v2
	;; [unrolled: 1-line block ×4, first 2 shown]
	s_xor_b64 s[72:73], s[70:71], -1
                                        ; implicit-def: $vgpr48
	s_and_saveexec_b64 s[74:75], s[72:73]
	s_xor_b64 s[72:73], exec, s[74:75]
; %bb.7:                                ;   in Loop: Header=BB89_2 Depth=1
	ds_read_u8 v48, v44 offset:1
; %bb.8:                                ;   in Loop: Header=BB89_2 Depth=1
	s_or_saveexec_b64 s[72:73], s[72:73]
	v_mov_b32_e32 v49, v47
	s_xor_b64 exec, exec, s[72:73]
	s_cbranch_execz .LBB89_10
; %bb.9:                                ;   in Loop: Header=BB89_2 Depth=1
	ds_read_u8 v49, v45 offset:1
	s_waitcnt lgkmcnt(1)
	v_mov_b32_e32 v48, v46
.LBB89_10:                              ;   in Loop: Header=BB89_2 Depth=1
	s_or_b64 exec, exec, s[72:73]
	v_add_u32_e32 v51, 1, v44
	v_add_u32_e32 v50, 1, v45
	v_cndmask_b32_e64 v51, v51, v44, s[70:71]
	v_cndmask_b32_e64 v50, v45, v50, s[70:71]
	v_cmp_ge_i32_e64 s[72:73], v51, v11
	s_waitcnt lgkmcnt(0)
	v_cmp_lt_u16_sdwa s[74:75], v49, v48 src0_sel:BYTE_0 src1_sel:BYTE_0
	v_cmp_lt_i32_e32 vcc, v50, v12
	s_or_b64 s[72:73], s[72:73], s[74:75]
	s_and_b64 s[72:73], vcc, s[72:73]
	s_xor_b64 s[74:75], s[72:73], -1
                                        ; implicit-def: $vgpr52
	s_and_saveexec_b64 s[76:77], s[74:75]
	s_xor_b64 s[74:75], exec, s[76:77]
; %bb.11:                               ;   in Loop: Header=BB89_2 Depth=1
	ds_read_u8 v52, v51 offset:1
; %bb.12:                               ;   in Loop: Header=BB89_2 Depth=1
	s_or_saveexec_b64 s[74:75], s[74:75]
	v_mov_b32_e32 v53, v49
	s_xor_b64 exec, exec, s[74:75]
	s_cbranch_execz .LBB89_14
; %bb.13:                               ;   in Loop: Header=BB89_2 Depth=1
	ds_read_u8 v53, v50 offset:1
	s_waitcnt lgkmcnt(1)
	v_mov_b32_e32 v52, v48
.LBB89_14:                              ;   in Loop: Header=BB89_2 Depth=1
	s_or_b64 exec, exec, s[74:75]
	v_add_u32_e32 v55, 1, v51
	v_add_u32_e32 v54, 1, v50
	v_cndmask_b32_e64 v55, v55, v51, s[72:73]
	v_cndmask_b32_e64 v54, v50, v54, s[72:73]
	v_cmp_ge_i32_e64 s[74:75], v55, v11
	s_waitcnt lgkmcnt(0)
	v_cmp_lt_u16_sdwa s[76:77], v53, v52 src0_sel:BYTE_0 src1_sel:BYTE_0
	v_cmp_lt_i32_e32 vcc, v54, v12
	s_or_b64 s[74:75], s[74:75], s[76:77]
	s_and_b64 s[74:75], vcc, s[74:75]
	s_xor_b64 s[76:77], s[74:75], -1
                                        ; implicit-def: $vgpr56
	s_and_saveexec_b64 s[78:79], s[76:77]
	s_xor_b64 s[76:77], exec, s[78:79]
; %bb.15:                               ;   in Loop: Header=BB89_2 Depth=1
	ds_read_u8 v56, v55 offset:1
; %bb.16:                               ;   in Loop: Header=BB89_2 Depth=1
	s_or_saveexec_b64 s[76:77], s[76:77]
	v_mov_b32_e32 v57, v53
	s_xor_b64 exec, exec, s[76:77]
	s_cbranch_execz .LBB89_18
; %bb.17:                               ;   in Loop: Header=BB89_2 Depth=1
	ds_read_u8 v57, v54 offset:1
	s_waitcnt lgkmcnt(1)
	v_mov_b32_e32 v56, v52
.LBB89_18:                              ;   in Loop: Header=BB89_2 Depth=1
	s_or_b64 exec, exec, s[76:77]
	v_add_u32_e32 v59, 1, v55
	v_add_u32_e32 v58, 1, v54
	v_cndmask_b32_e64 v59, v59, v55, s[74:75]
	v_cndmask_b32_e64 v58, v54, v58, s[74:75]
	v_cmp_ge_i32_e64 s[76:77], v59, v11
	s_waitcnt lgkmcnt(0)
	v_cmp_lt_u16_sdwa s[78:79], v57, v56 src0_sel:BYTE_0 src1_sel:BYTE_0
	v_cmp_lt_i32_e32 vcc, v58, v12
	s_or_b64 s[76:77], s[76:77], s[78:79]
	s_and_b64 s[76:77], vcc, s[76:77]
	s_xor_b64 s[78:79], s[76:77], -1
                                        ; implicit-def: $vgpr60
	s_and_saveexec_b64 s[80:81], s[78:79]
	s_xor_b64 s[78:79], exec, s[80:81]
; %bb.19:                               ;   in Loop: Header=BB89_2 Depth=1
	ds_read_u8 v60, v59 offset:1
; %bb.20:                               ;   in Loop: Header=BB89_2 Depth=1
	s_or_saveexec_b64 s[78:79], s[78:79]
	v_mov_b32_e32 v62, v57
	s_xor_b64 exec, exec, s[78:79]
	s_cbranch_execz .LBB89_22
; %bb.21:                               ;   in Loop: Header=BB89_2 Depth=1
	ds_read_u8 v62, v58 offset:1
	s_waitcnt lgkmcnt(1)
	v_mov_b32_e32 v60, v56
.LBB89_22:                              ;   in Loop: Header=BB89_2 Depth=1
	s_or_b64 exec, exec, s[78:79]
	v_add_u32_e32 v63, 1, v59
	v_add_u32_e32 v61, 1, v58
	v_cndmask_b32_e64 v65, v63, v59, s[76:77]
	v_cndmask_b32_e64 v64, v58, v61, s[76:77]
	v_cmp_ge_i32_e64 s[78:79], v65, v11
	s_waitcnt lgkmcnt(0)
	v_cmp_lt_u16_sdwa s[80:81], v62, v60 src0_sel:BYTE_0 src1_sel:BYTE_0
	v_cmp_lt_i32_e32 vcc, v64, v12
	s_or_b64 s[78:79], s[78:79], s[80:81]
	s_and_b64 s[78:79], vcc, s[78:79]
	s_xor_b64 s[80:81], s[78:79], -1
                                        ; implicit-def: $vgpr66
	s_and_saveexec_b64 s[82:83], s[80:81]
	s_xor_b64 s[80:81], exec, s[82:83]
; %bb.23:                               ;   in Loop: Header=BB89_2 Depth=1
	ds_read_u8 v66, v65 offset:1
; %bb.24:                               ;   in Loop: Header=BB89_2 Depth=1
	s_or_saveexec_b64 s[80:81], s[80:81]
	v_mov_b32_e32 v67, v62
	s_xor_b64 exec, exec, s[80:81]
	s_cbranch_execz .LBB89_26
; %bb.25:                               ;   in Loop: Header=BB89_2 Depth=1
	ds_read_u8 v67, v64 offset:1
	s_waitcnt lgkmcnt(1)
	v_mov_b32_e32 v66, v60
.LBB89_26:                              ;   in Loop: Header=BB89_2 Depth=1
	s_or_b64 exec, exec, s[80:81]
	v_add_u32_e32 v63, 1, v65
	v_add_u32_e32 v61, 1, v64
	v_cndmask_b32_e64 v69, v63, v65, s[78:79]
	v_cndmask_b32_e64 v68, v64, v61, s[78:79]
	v_cmp_ge_i32_e64 s[80:81], v69, v11
	s_waitcnt lgkmcnt(0)
	v_cmp_lt_u16_sdwa s[82:83], v67, v66 src0_sel:BYTE_0 src1_sel:BYTE_0
	v_cmp_lt_i32_e32 vcc, v68, v12
	s_or_b64 s[80:81], s[80:81], s[82:83]
	s_and_b64 vcc, vcc, s[80:81]
	s_xor_b64 s[80:81], vcc, -1
                                        ; implicit-def: $vgpr70
	s_and_saveexec_b64 s[82:83], s[80:81]
	s_xor_b64 s[80:81], exec, s[82:83]
; %bb.27:                               ;   in Loop: Header=BB89_2 Depth=1
	ds_read_u8 v70, v69 offset:1
; %bb.28:                               ;   in Loop: Header=BB89_2 Depth=1
	s_or_saveexec_b64 s[80:81], s[80:81]
	v_mov_b32_e32 v71, v67
	s_xor_b64 exec, exec, s[80:81]
	s_cbranch_execz .LBB89_30
; %bb.29:                               ;   in Loop: Header=BB89_2 Depth=1
	ds_read_u8 v71, v68 offset:1
	s_waitcnt lgkmcnt(1)
	v_mov_b32_e32 v70, v66
.LBB89_30:                              ;   in Loop: Header=BB89_2 Depth=1
	s_or_b64 exec, exec, s[80:81]
	v_add_u32_e32 v63, 1, v69
	v_add_u32_e32 v61, 1, v68
	v_cndmask_b32_e32 v73, v63, v69, vcc
	v_cndmask_b32_e32 v72, v68, v61, vcc
	v_cmp_ge_i32_e64 s[82:83], v73, v11
	s_waitcnt lgkmcnt(0)
	v_cmp_lt_u16_sdwa s[86:87], v71, v70 src0_sel:BYTE_0 src1_sel:BYTE_0
	v_cmp_lt_i32_e64 s[80:81], v72, v12
	s_or_b64 s[82:83], s[82:83], s[86:87]
	s_and_b64 s[80:81], s[80:81], s[82:83]
	s_xor_b64 s[82:83], s[80:81], -1
                                        ; implicit-def: $vgpr61
	s_and_saveexec_b64 s[86:87], s[82:83]
	s_xor_b64 s[82:83], exec, s[86:87]
; %bb.31:                               ;   in Loop: Header=BB89_2 Depth=1
	ds_read_u8 v61, v73 offset:1
; %bb.32:                               ;   in Loop: Header=BB89_2 Depth=1
	s_or_saveexec_b64 s[82:83], s[82:83]
	v_mov_b32_e32 v63, v71
	s_xor_b64 exec, exec, s[82:83]
	s_cbranch_execz .LBB89_34
; %bb.33:                               ;   in Loop: Header=BB89_2 Depth=1
	ds_read_u8 v63, v72 offset:1
	s_waitcnt lgkmcnt(1)
	v_mov_b32_e32 v61, v70
.LBB89_34:                              ;   in Loop: Header=BB89_2 Depth=1
	s_or_b64 exec, exec, s[82:83]
	v_perm_b32 v2, v2, v40, s84
	v_perm_b32 v40, v41, v43, s84
	v_lshl_or_b32 v2, v40, 16, v2
	v_perm_b32 v40, v4, v1, s84
	v_perm_b32 v1, v1, v4, s84
	v_perm_b32 v3, v42, v3, s84
	v_cndmask_b32_e64 v1, v1, v40, s[12:13]
	v_lshl_or_b32 v1, v3, 16, v1
	v_perm_b32 v3, 0, v3, s90
	v_lshlrev_b32_e32 v3, 16, v3
	v_and_or_b32 v3, v1, s91, v3
	v_cndmask_b32_e64 v1, v1, v3, s[14:15]
	v_perm_b32 v3, v2, v2, s89
	v_cndmask_b32_e64 v2, v2, v3, s[16:17]
	v_perm_b32 v3, v2, v2, s92
	v_cndmask_b32_e64 v2, v2, v3, s[18:19]
	v_perm_b32 v3, v1, v1, s93
	v_cndmask_b32_e64 v1, v1, v3, s[20:21]
	v_and_b32_sdwa v4, v1, s88 dst_sel:DWORD dst_unused:UNUSED_PAD src0_sel:WORD_1 src1_sel:DWORD
	v_lshlrev_b16_e32 v40, 8, v2
	v_or_b32_sdwa v4, v4, v40 dst_sel:WORD_1 dst_unused:UNUSED_PAD src0_sel:DWORD src1_sel:DWORD
	v_and_or_b32 v4, v1, s91, v4
	v_perm_b32 v3, v1, v2, s94
	v_cndmask_b32_e64 v1, v1, v4, s[22:23]
	v_perm_b32 v4, 0, v1, s90
	v_cndmask_b32_e64 v2, v2, v3, s[22:23]
	v_and_or_b32 v4, v1, s95, v4
	v_perm_b32 v3, v2, v2, s93
	v_cndmask_b32_e64 v1, v1, v4, s[26:27]
	v_cndmask_b32_e64 v2, v2, v3, s[24:25]
	v_lshrrev_b32_e32 v3, 16, v1
	v_perm_b32 v3, 0, v3, s90
	v_lshlrev_b32_e32 v3, 16, v3
	v_and_or_b32 v3, v1, s91, v3
	v_cndmask_b32_e64 v1, v1, v3, s[28:29]
	v_perm_b32 v3, v2, v2, s89
	v_cndmask_b32_e64 v2, v2, v3, s[30:31]
	v_perm_b32 v3, v2, v2, s92
	v_cndmask_b32_e64 v2, v2, v3, s[34:35]
	v_perm_b32 v3, v1, v1, s93
	v_cndmask_b32_e64 v1, v1, v3, s[36:37]
	v_and_b32_sdwa v4, v1, s88 dst_sel:DWORD dst_unused:UNUSED_PAD src0_sel:WORD_1 src1_sel:DWORD
	v_lshlrev_b16_e32 v40, 8, v2
	v_or_b32_sdwa v4, v4, v40 dst_sel:WORD_1 dst_unused:UNUSED_PAD src0_sel:DWORD src1_sel:DWORD
	v_and_or_b32 v4, v1, s91, v4
	v_perm_b32 v3, v1, v2, s94
	v_cndmask_b32_e64 v1, v1, v4, s[38:39]
	v_perm_b32 v4, 0, v1, s90
	v_cndmask_b32_e64 v2, v2, v3, s[38:39]
	v_and_or_b32 v4, v1, s95, v4
	v_perm_b32 v3, v2, v2, s93
	v_cndmask_b32_e64 v1, v1, v4, s[42:43]
	v_cndmask_b32_e64 v2, v2, v3, s[40:41]
	v_lshrrev_b32_e32 v3, 16, v1
	;; [unrolled: 23-line block ×3, first 2 shown]
	v_perm_b32 v3, 0, v3, s90
	v_lshlrev_b32_e32 v3, 16, v3
	v_and_or_b32 v3, v1, s91, v3
	v_cndmask_b32_e64 v1, v1, v3, s[58:59]
	v_perm_b32 v3, v2, v2, s89
	v_cndmask_b32_e64 v2, v2, v3, s[60:61]
	v_perm_b32 v3, v2, v2, s92
	v_add_u32_e32 v74, 1, v73
	v_cndmask_b32_e64 v2, v2, v3, s[62:63]
	v_perm_b32 v3, v1, v1, s93
	v_cndmask_b32_e64 v70, v70, v71, s[80:81]
	v_add_u32_e32 v71, 1, v72
	v_cndmask_b32_e64 v74, v74, v73, s[80:81]
	v_cndmask_b32_e64 v1, v1, v3, s[64:65]
	;; [unrolled: 1-line block ×3, first 2 shown]
	v_perm_b32 v3, v1, v2, s94
	v_and_b32_sdwa v4, v1, s88 dst_sel:DWORD dst_unused:UNUSED_PAD src0_sel:WORD_1 src1_sel:DWORD
	v_lshlrev_b16_e32 v40, 8, v2
	v_cmp_ge_i32_e64 s[12:13], v74, v11
	s_waitcnt lgkmcnt(0)
	v_cmp_lt_u16_sdwa s[0:1], v63, v61 src0_sel:BYTE_0 src1_sel:BYTE_0
	v_cndmask_b32_sdwa v66, v66, v67, vcc dst_sel:BYTE_1 dst_unused:UNUSED_PAD src0_sel:DWORD src1_sel:DWORD
	v_cndmask_b32_e32 v67, v69, v68, vcc
	v_or_b32_sdwa v4, v4, v40 dst_sel:WORD_1 dst_unused:UNUSED_PAD src0_sel:DWORD src1_sel:DWORD
	v_cndmask_b32_e64 v2, v2, v3, s[66:67]
	v_cmp_lt_i32_e32 vcc, v71, v12
	s_or_b64 s[0:1], s[12:13], s[0:1]
	v_and_or_b32 v4, v1, s91, v4
	v_perm_b32 v3, v2, v2, s93
	s_and_b64 vcc, vcc, s[0:1]
	v_cndmask_b32_e64 v44, v44, v45, s[70:71]
	v_cndmask_b32_e64 v1, v1, v4, s[66:67]
	;; [unrolled: 1-line block ×3, first 2 shown]
	v_cndmask_b32_e32 v3, v74, v71, vcc
	v_cndmask_b32_e64 v72, v73, v72, s[80:81]
	v_cndmask_b32_e64 v60, v60, v62, s[78:79]
	;; [unrolled: 1-line block ×9, first 2 shown]
	; wave barrier
	ds_write_b64 v5, v[1:2]
	s_waitcnt lgkmcnt(0)
	; wave barrier
	ds_read_u8 v1, v44
	ds_read_u8 v40, v3
	ds_read_u8 v2, v49
	ds_read_u8 v3, v53
	ds_read_u8 v4, v57
	ds_read_u8 v41, v62
	ds_read_u8 v42, v67
	ds_read_u8 v43, v72
	v_cndmask_b32_e64 v46, v46, v47, s[70:71]
	v_lshlrev_b16_e32 v44, 8, v48
	v_cndmask_b32_e32 v45, v61, v63, vcc
	v_or_b32_sdwa v44, v46, v44 dst_sel:DWORD dst_unused:UNUSED_PAD src0_sel:BYTE_0 src1_sel:DWORD
	v_lshlrev_b16_e32 v46, 8, v56
	v_or_b32_sdwa v46, v52, v46 dst_sel:WORD_1 dst_unused:UNUSED_PAD src0_sel:BYTE_0 src1_sel:DWORD
	v_lshlrev_b16_e32 v45, 8, v45
	v_or_b32_sdwa v44, v44, v46 dst_sel:DWORD dst_unused:UNUSED_PAD src0_sel:WORD_0 src1_sel:DWORD
	v_or_b32_sdwa v46, v60, v66 dst_sel:DWORD dst_unused:UNUSED_PAD src0_sel:BYTE_0 src1_sel:DWORD
	v_or_b32_sdwa v45, v70, v45 dst_sel:WORD_1 dst_unused:UNUSED_PAD src0_sel:BYTE_0 src1_sel:DWORD
	v_or_b32_sdwa v45, v46, v45 dst_sel:DWORD dst_unused:UNUSED_PAD src0_sel:WORD_0 src1_sel:DWORD
	s_waitcnt lgkmcnt(0)
	; wave barrier
	ds_write_b64 v5, v[44:45]
	v_mov_b32_e32 v45, v28
	s_waitcnt lgkmcnt(0)
	; wave barrier
	s_and_saveexec_b64 s[12:13], s[2:3]
	s_cbranch_execz .LBB89_38
; %bb.35:                               ;   in Loop: Header=BB89_2 Depth=1
	s_mov_b64 s[14:15], 0
	v_mov_b32_e32 v45, v28
	v_mov_b32_e32 v44, v25
.LBB89_36:                              ;   Parent Loop BB89_2 Depth=1
                                        ; =>  This Inner Loop Header: Depth=2
	v_sub_u32_e32 v46, v44, v45
	v_lshrrev_b32_e32 v46, 1, v46
	v_add_u32_e32 v46, v46, v45
	v_add_u32_e32 v47, v7, v46
	v_xad_u32 v48, v46, -1, v22
	ds_read_u8 v47, v47
	ds_read_u8 v48, v48
	v_add_u32_e32 v49, 1, v46
	s_waitcnt lgkmcnt(0)
	v_cmp_lt_u16_e32 vcc, v48, v47
	v_cndmask_b32_e32 v44, v44, v46, vcc
	v_cndmask_b32_e32 v45, v49, v45, vcc
	v_cmp_ge_i32_e32 vcc, v45, v44
	s_or_b64 s[14:15], vcc, s[14:15]
	s_andn2_b64 exec, exec, s[14:15]
	s_cbranch_execnz .LBB89_36
; %bb.37:                               ;   in Loop: Header=BB89_2 Depth=1
	s_or_b64 exec, exec, s[14:15]
.LBB89_38:                              ;   in Loop: Header=BB89_2 Depth=1
	s_or_b64 exec, exec, s[12:13]
	v_add_u32_e32 v44, v45, v7
	v_sub_u32_e32 v45, v22, v45
	ds_read_u8 v46, v44
	ds_read_u8 v47, v45
	v_cmp_le_i32_e64 s[12:13], v13, v44
	v_cmp_gt_i32_e32 vcc, v14, v45
                                        ; implicit-def: $vgpr48
	s_waitcnt lgkmcnt(0)
	v_cmp_lt_u16_sdwa s[0:1], v47, v46 src0_sel:BYTE_0 src1_sel:BYTE_0
	s_or_b64 s[0:1], s[12:13], s[0:1]
	s_and_b64 s[12:13], vcc, s[0:1]
	s_xor_b64 s[0:1], s[12:13], -1
	s_and_saveexec_b64 s[14:15], s[0:1]
	s_xor_b64 s[14:15], exec, s[14:15]
; %bb.39:                               ;   in Loop: Header=BB89_2 Depth=1
	ds_read_u8 v48, v44 offset:1
; %bb.40:                               ;   in Loop: Header=BB89_2 Depth=1
	s_or_saveexec_b64 s[14:15], s[14:15]
	v_mov_b32_e32 v49, v47
	s_xor_b64 exec, exec, s[14:15]
	s_cbranch_execz .LBB89_42
; %bb.41:                               ;   in Loop: Header=BB89_2 Depth=1
	ds_read_u8 v49, v45 offset:1
	s_waitcnt lgkmcnt(1)
	v_mov_b32_e32 v48, v46
.LBB89_42:                              ;   in Loop: Header=BB89_2 Depth=1
	s_or_b64 exec, exec, s[14:15]
	v_add_u32_e32 v51, 1, v44
	v_add_u32_e32 v50, 1, v45
	v_cndmask_b32_e64 v51, v51, v44, s[12:13]
	v_cndmask_b32_e64 v50, v45, v50, s[12:13]
	v_cmp_ge_i32_e64 s[14:15], v51, v13
	s_waitcnt lgkmcnt(0)
	v_cmp_lt_u16_sdwa s[0:1], v49, v48 src0_sel:BYTE_0 src1_sel:BYTE_0
	v_cmp_lt_i32_e32 vcc, v50, v14
	s_or_b64 s[0:1], s[14:15], s[0:1]
	s_and_b64 s[14:15], vcc, s[0:1]
	s_xor_b64 s[0:1], s[14:15], -1
                                        ; implicit-def: $vgpr52
	s_and_saveexec_b64 s[16:17], s[0:1]
	s_xor_b64 s[16:17], exec, s[16:17]
; %bb.43:                               ;   in Loop: Header=BB89_2 Depth=1
	ds_read_u8 v52, v51 offset:1
; %bb.44:                               ;   in Loop: Header=BB89_2 Depth=1
	s_or_saveexec_b64 s[16:17], s[16:17]
	v_mov_b32_e32 v53, v49
	s_xor_b64 exec, exec, s[16:17]
	s_cbranch_execz .LBB89_46
; %bb.45:                               ;   in Loop: Header=BB89_2 Depth=1
	ds_read_u8 v53, v50 offset:1
	s_waitcnt lgkmcnt(1)
	v_mov_b32_e32 v52, v48
.LBB89_46:                              ;   in Loop: Header=BB89_2 Depth=1
	s_or_b64 exec, exec, s[16:17]
	v_add_u32_e32 v55, 1, v51
	v_add_u32_e32 v54, 1, v50
	v_cndmask_b32_e64 v55, v55, v51, s[14:15]
	v_cndmask_b32_e64 v54, v50, v54, s[14:15]
	v_cmp_ge_i32_e64 s[16:17], v55, v13
	s_waitcnt lgkmcnt(0)
	v_cmp_lt_u16_sdwa s[0:1], v53, v52 src0_sel:BYTE_0 src1_sel:BYTE_0
	v_cmp_lt_i32_e32 vcc, v54, v14
	s_or_b64 s[0:1], s[16:17], s[0:1]
	s_and_b64 s[16:17], vcc, s[0:1]
	s_xor_b64 s[0:1], s[16:17], -1
                                        ; implicit-def: $vgpr56
	s_and_saveexec_b64 s[18:19], s[0:1]
	s_xor_b64 s[18:19], exec, s[18:19]
; %bb.47:                               ;   in Loop: Header=BB89_2 Depth=1
	ds_read_u8 v56, v55 offset:1
; %bb.48:                               ;   in Loop: Header=BB89_2 Depth=1
	s_or_saveexec_b64 s[18:19], s[18:19]
	v_mov_b32_e32 v57, v53
	s_xor_b64 exec, exec, s[18:19]
	s_cbranch_execz .LBB89_50
; %bb.49:                               ;   in Loop: Header=BB89_2 Depth=1
	ds_read_u8 v57, v54 offset:1
	s_waitcnt lgkmcnt(1)
	v_mov_b32_e32 v56, v52
.LBB89_50:                              ;   in Loop: Header=BB89_2 Depth=1
	s_or_b64 exec, exec, s[18:19]
	v_add_u32_e32 v59, 1, v55
	v_add_u32_e32 v58, 1, v54
	v_cndmask_b32_e64 v59, v59, v55, s[16:17]
	v_cndmask_b32_e64 v58, v54, v58, s[16:17]
	v_cmp_ge_i32_e64 s[18:19], v59, v13
	s_waitcnt lgkmcnt(0)
	v_cmp_lt_u16_sdwa s[0:1], v57, v56 src0_sel:BYTE_0 src1_sel:BYTE_0
	v_cmp_lt_i32_e32 vcc, v58, v14
	s_or_b64 s[0:1], s[18:19], s[0:1]
	s_and_b64 s[18:19], vcc, s[0:1]
	s_xor_b64 s[0:1], s[18:19], -1
                                        ; implicit-def: $vgpr60
	s_and_saveexec_b64 s[20:21], s[0:1]
	s_xor_b64 s[20:21], exec, s[20:21]
; %bb.51:                               ;   in Loop: Header=BB89_2 Depth=1
	ds_read_u8 v60, v59 offset:1
; %bb.52:                               ;   in Loop: Header=BB89_2 Depth=1
	s_or_saveexec_b64 s[20:21], s[20:21]
	v_mov_b32_e32 v61, v57
	s_xor_b64 exec, exec, s[20:21]
	s_cbranch_execz .LBB89_54
; %bb.53:                               ;   in Loop: Header=BB89_2 Depth=1
	ds_read_u8 v61, v58 offset:1
	s_waitcnt lgkmcnt(1)
	v_mov_b32_e32 v60, v56
.LBB89_54:                              ;   in Loop: Header=BB89_2 Depth=1
	s_or_b64 exec, exec, s[20:21]
	v_add_u32_e32 v63, 1, v59
	v_add_u32_e32 v62, 1, v58
	v_cndmask_b32_e64 v63, v63, v59, s[18:19]
	v_cndmask_b32_e64 v62, v58, v62, s[18:19]
	v_cmp_ge_i32_e64 s[20:21], v63, v13
	s_waitcnt lgkmcnt(0)
	v_cmp_lt_u16_sdwa s[0:1], v61, v60 src0_sel:BYTE_0 src1_sel:BYTE_0
	v_cmp_lt_i32_e32 vcc, v62, v14
	s_or_b64 s[0:1], s[20:21], s[0:1]
	s_and_b64 s[20:21], vcc, s[0:1]
	s_xor_b64 s[0:1], s[20:21], -1
                                        ; implicit-def: $vgpr64
	s_and_saveexec_b64 s[22:23], s[0:1]
	s_xor_b64 s[22:23], exec, s[22:23]
; %bb.55:                               ;   in Loop: Header=BB89_2 Depth=1
	ds_read_u8 v64, v63 offset:1
; %bb.56:                               ;   in Loop: Header=BB89_2 Depth=1
	s_or_saveexec_b64 s[22:23], s[22:23]
	v_mov_b32_e32 v65, v61
	s_xor_b64 exec, exec, s[22:23]
	s_cbranch_execz .LBB89_58
; %bb.57:                               ;   in Loop: Header=BB89_2 Depth=1
	ds_read_u8 v65, v62 offset:1
	s_waitcnt lgkmcnt(1)
	v_mov_b32_e32 v64, v60
.LBB89_58:                              ;   in Loop: Header=BB89_2 Depth=1
	s_or_b64 exec, exec, s[22:23]
	v_add_u32_e32 v67, 1, v63
	v_add_u32_e32 v66, 1, v62
	v_cndmask_b32_e64 v67, v67, v63, s[20:21]
	v_cndmask_b32_e64 v66, v62, v66, s[20:21]
	v_cmp_ge_i32_e64 s[22:23], v67, v13
	s_waitcnt lgkmcnt(0)
	v_cmp_lt_u16_sdwa s[0:1], v65, v64 src0_sel:BYTE_0 src1_sel:BYTE_0
	v_cmp_lt_i32_e32 vcc, v66, v14
	s_or_b64 s[0:1], s[22:23], s[0:1]
	s_and_b64 vcc, vcc, s[0:1]
	s_xor_b64 s[0:1], vcc, -1
                                        ; implicit-def: $vgpr68
	s_and_saveexec_b64 s[22:23], s[0:1]
	s_xor_b64 s[22:23], exec, s[22:23]
; %bb.59:                               ;   in Loop: Header=BB89_2 Depth=1
	ds_read_u8 v68, v67 offset:1
; %bb.60:                               ;   in Loop: Header=BB89_2 Depth=1
	s_or_saveexec_b64 s[22:23], s[22:23]
	v_mov_b32_e32 v69, v65
	s_xor_b64 exec, exec, s[22:23]
	s_cbranch_execz .LBB89_62
; %bb.61:                               ;   in Loop: Header=BB89_2 Depth=1
	ds_read_u8 v69, v66 offset:1
	s_waitcnt lgkmcnt(1)
	v_mov_b32_e32 v68, v64
.LBB89_62:                              ;   in Loop: Header=BB89_2 Depth=1
	s_or_b64 exec, exec, s[22:23]
	v_add_u32_e32 v72, 1, v67
	v_add_u32_e32 v70, 1, v66
	v_cndmask_b32_e32 v72, v72, v67, vcc
	v_cndmask_b32_e32 v71, v66, v70, vcc
	v_cmp_ge_i32_e64 s[24:25], v72, v13
	s_waitcnt lgkmcnt(0)
	v_cmp_lt_u16_sdwa s[0:1], v69, v68 src0_sel:BYTE_0 src1_sel:BYTE_0
	v_cmp_lt_i32_e64 s[22:23], v71, v14
	s_or_b64 s[0:1], s[24:25], s[0:1]
	s_and_b64 s[22:23], s[22:23], s[0:1]
	s_xor_b64 s[0:1], s[22:23], -1
                                        ; implicit-def: $vgpr70
	s_and_saveexec_b64 s[24:25], s[0:1]
	s_xor_b64 s[24:25], exec, s[24:25]
; %bb.63:                               ;   in Loop: Header=BB89_2 Depth=1
	ds_read_u8 v70, v72 offset:1
; %bb.64:                               ;   in Loop: Header=BB89_2 Depth=1
	s_or_saveexec_b64 s[24:25], s[24:25]
	v_mov_b32_e32 v73, v69
	s_xor_b64 exec, exec, s[24:25]
	s_cbranch_execz .LBB89_66
; %bb.65:                               ;   in Loop: Header=BB89_2 Depth=1
	ds_read_u8 v73, v71 offset:1
	s_waitcnt lgkmcnt(1)
	v_mov_b32_e32 v70, v68
.LBB89_66:                              ;   in Loop: Header=BB89_2 Depth=1
	s_or_b64 exec, exec, s[24:25]
	v_add_u32_e32 v74, 1, v72
	v_cndmask_b32_e64 v68, v68, v69, s[22:23]
	v_add_u32_e32 v69, 1, v71
	v_cndmask_b32_e64 v74, v74, v72, s[22:23]
	v_cndmask_b32_e64 v69, v71, v69, s[22:23]
	;; [unrolled: 1-line block ×4, first 2 shown]
	v_cmp_ge_i32_e64 s[12:13], v74, v13
	s_waitcnt lgkmcnt(0)
	v_cmp_lt_u16_sdwa s[0:1], v73, v70 src0_sel:BYTE_0 src1_sel:BYTE_0
	v_cndmask_b32_sdwa v64, v64, v65, vcc dst_sel:BYTE_1 dst_unused:UNUSED_PAD src0_sel:DWORD src1_sel:DWORD
	v_cndmask_b32_e32 v65, v67, v66, vcc
	v_cmp_lt_i32_e32 vcc, v69, v14
	s_or_b64 s[0:1], s[12:13], s[0:1]
	v_perm_b32 v41, v41, v42, s84
	v_perm_b32 v40, v43, v40, s84
	;; [unrolled: 1-line block ×4, first 2 shown]
	s_and_b64 vcc, vcc, s[0:1]
	v_lshl_or_b32 v41, v40, 16, v41
	v_lshl_or_b32 v40, v2, 16, v1
	v_cndmask_b32_e64 v71, v72, v71, s[22:23]
	v_cndmask_b32_e64 v60, v60, v61, s[20:21]
	;; [unrolled: 1-line block ×9, first 2 shown]
	v_cndmask_b32_e32 v47, v74, v69, vcc
	; wave barrier
	ds_write_b64 v5, v[40:41]
	s_waitcnt lgkmcnt(0)
	; wave barrier
	ds_read_u8 v1, v44
	ds_read_u8 v40, v47
	;; [unrolled: 1-line block ×8, first 2 shown]
	v_lshlrev_b16_e32 v44, 8, v48
	v_cndmask_b32_e32 v45, v70, v73, vcc
	v_or_b32_sdwa v44, v46, v44 dst_sel:DWORD dst_unused:UNUSED_PAD src0_sel:BYTE_0 src1_sel:DWORD
	v_lshlrev_b16_e32 v46, 8, v56
	v_or_b32_sdwa v46, v52, v46 dst_sel:WORD_1 dst_unused:UNUSED_PAD src0_sel:BYTE_0 src1_sel:DWORD
	v_lshlrev_b16_e32 v45, 8, v45
	v_or_b32_sdwa v44, v44, v46 dst_sel:DWORD dst_unused:UNUSED_PAD src0_sel:WORD_0 src1_sel:DWORD
	v_or_b32_sdwa v46, v60, v64 dst_sel:DWORD dst_unused:UNUSED_PAD src0_sel:BYTE_0 src1_sel:DWORD
	v_or_b32_sdwa v45, v68, v45 dst_sel:WORD_1 dst_unused:UNUSED_PAD src0_sel:BYTE_0 src1_sel:DWORD
	v_or_b32_sdwa v45, v46, v45 dst_sel:DWORD dst_unused:UNUSED_PAD src0_sel:WORD_0 src1_sel:DWORD
	s_waitcnt lgkmcnt(0)
	; wave barrier
	ds_write_b64 v5, v[44:45]
	v_mov_b32_e32 v45, v29
	s_waitcnt lgkmcnt(0)
	; wave barrier
	s_and_saveexec_b64 s[12:13], s[4:5]
	s_cbranch_execz .LBB89_70
; %bb.67:                               ;   in Loop: Header=BB89_2 Depth=1
	s_mov_b64 s[14:15], 0
	v_mov_b32_e32 v45, v29
	v_mov_b32_e32 v44, v26
.LBB89_68:                              ;   Parent Loop BB89_2 Depth=1
                                        ; =>  This Inner Loop Header: Depth=2
	v_sub_u32_e32 v46, v44, v45
	v_lshrrev_b32_e32 v46, 1, v46
	v_add_u32_e32 v46, v46, v45
	v_add_u32_e32 v47, v8, v46
	v_xad_u32 v48, v46, -1, v23
	ds_read_u8 v47, v47
	ds_read_u8 v48, v48
	v_add_u32_e32 v49, 1, v46
	s_waitcnt lgkmcnt(0)
	v_cmp_lt_u16_e32 vcc, v48, v47
	v_cndmask_b32_e32 v44, v44, v46, vcc
	v_cndmask_b32_e32 v45, v49, v45, vcc
	v_cmp_ge_i32_e32 vcc, v45, v44
	s_or_b64 s[14:15], vcc, s[14:15]
	s_andn2_b64 exec, exec, s[14:15]
	s_cbranch_execnz .LBB89_68
; %bb.69:                               ;   in Loop: Header=BB89_2 Depth=1
	s_or_b64 exec, exec, s[14:15]
.LBB89_70:                              ;   in Loop: Header=BB89_2 Depth=1
	s_or_b64 exec, exec, s[12:13]
	v_add_u32_e32 v44, v45, v8
	v_sub_u32_e32 v45, v23, v45
	ds_read_u8 v46, v44
	ds_read_u8 v47, v45
	v_cmp_le_i32_e64 s[12:13], v15, v44
	v_cmp_gt_i32_e32 vcc, v16, v45
                                        ; implicit-def: $vgpr48
	s_waitcnt lgkmcnt(0)
	v_cmp_lt_u16_sdwa s[0:1], v47, v46 src0_sel:BYTE_0 src1_sel:BYTE_0
	s_or_b64 s[0:1], s[12:13], s[0:1]
	s_and_b64 s[12:13], vcc, s[0:1]
	s_xor_b64 s[0:1], s[12:13], -1
	s_and_saveexec_b64 s[14:15], s[0:1]
	s_xor_b64 s[14:15], exec, s[14:15]
; %bb.71:                               ;   in Loop: Header=BB89_2 Depth=1
	ds_read_u8 v48, v44 offset:1
; %bb.72:                               ;   in Loop: Header=BB89_2 Depth=1
	s_or_saveexec_b64 s[14:15], s[14:15]
	v_mov_b32_e32 v49, v47
	s_xor_b64 exec, exec, s[14:15]
	s_cbranch_execz .LBB89_74
; %bb.73:                               ;   in Loop: Header=BB89_2 Depth=1
	ds_read_u8 v49, v45 offset:1
	s_waitcnt lgkmcnt(1)
	v_mov_b32_e32 v48, v46
.LBB89_74:                              ;   in Loop: Header=BB89_2 Depth=1
	s_or_b64 exec, exec, s[14:15]
	v_add_u32_e32 v51, 1, v44
	v_add_u32_e32 v50, 1, v45
	v_cndmask_b32_e64 v51, v51, v44, s[12:13]
	v_cndmask_b32_e64 v50, v45, v50, s[12:13]
	v_cmp_ge_i32_e64 s[14:15], v51, v15
	s_waitcnt lgkmcnt(0)
	v_cmp_lt_u16_sdwa s[0:1], v49, v48 src0_sel:BYTE_0 src1_sel:BYTE_0
	v_cmp_lt_i32_e32 vcc, v50, v16
	s_or_b64 s[0:1], s[14:15], s[0:1]
	s_and_b64 s[14:15], vcc, s[0:1]
	s_xor_b64 s[0:1], s[14:15], -1
                                        ; implicit-def: $vgpr52
	s_and_saveexec_b64 s[16:17], s[0:1]
	s_xor_b64 s[16:17], exec, s[16:17]
; %bb.75:                               ;   in Loop: Header=BB89_2 Depth=1
	ds_read_u8 v52, v51 offset:1
; %bb.76:                               ;   in Loop: Header=BB89_2 Depth=1
	s_or_saveexec_b64 s[16:17], s[16:17]
	v_mov_b32_e32 v53, v49
	s_xor_b64 exec, exec, s[16:17]
	s_cbranch_execz .LBB89_78
; %bb.77:                               ;   in Loop: Header=BB89_2 Depth=1
	ds_read_u8 v53, v50 offset:1
	s_waitcnt lgkmcnt(1)
	v_mov_b32_e32 v52, v48
.LBB89_78:                              ;   in Loop: Header=BB89_2 Depth=1
	s_or_b64 exec, exec, s[16:17]
	v_add_u32_e32 v55, 1, v51
	v_add_u32_e32 v54, 1, v50
	v_cndmask_b32_e64 v55, v55, v51, s[14:15]
	v_cndmask_b32_e64 v54, v50, v54, s[14:15]
	v_cmp_ge_i32_e64 s[16:17], v55, v15
	s_waitcnt lgkmcnt(0)
	v_cmp_lt_u16_sdwa s[0:1], v53, v52 src0_sel:BYTE_0 src1_sel:BYTE_0
	v_cmp_lt_i32_e32 vcc, v54, v16
	s_or_b64 s[0:1], s[16:17], s[0:1]
	s_and_b64 s[16:17], vcc, s[0:1]
	s_xor_b64 s[0:1], s[16:17], -1
                                        ; implicit-def: $vgpr56
	s_and_saveexec_b64 s[18:19], s[0:1]
	s_xor_b64 s[18:19], exec, s[18:19]
; %bb.79:                               ;   in Loop: Header=BB89_2 Depth=1
	ds_read_u8 v56, v55 offset:1
; %bb.80:                               ;   in Loop: Header=BB89_2 Depth=1
	s_or_saveexec_b64 s[18:19], s[18:19]
	v_mov_b32_e32 v57, v53
	s_xor_b64 exec, exec, s[18:19]
	s_cbranch_execz .LBB89_82
; %bb.81:                               ;   in Loop: Header=BB89_2 Depth=1
	ds_read_u8 v57, v54 offset:1
	s_waitcnt lgkmcnt(1)
	v_mov_b32_e32 v56, v52
.LBB89_82:                              ;   in Loop: Header=BB89_2 Depth=1
	s_or_b64 exec, exec, s[18:19]
	v_add_u32_e32 v59, 1, v55
	v_add_u32_e32 v58, 1, v54
	v_cndmask_b32_e64 v59, v59, v55, s[16:17]
	v_cndmask_b32_e64 v58, v54, v58, s[16:17]
	v_cmp_ge_i32_e64 s[18:19], v59, v15
	s_waitcnt lgkmcnt(0)
	v_cmp_lt_u16_sdwa s[0:1], v57, v56 src0_sel:BYTE_0 src1_sel:BYTE_0
	v_cmp_lt_i32_e32 vcc, v58, v16
	s_or_b64 s[0:1], s[18:19], s[0:1]
	s_and_b64 s[18:19], vcc, s[0:1]
	s_xor_b64 s[0:1], s[18:19], -1
                                        ; implicit-def: $vgpr60
	s_and_saveexec_b64 s[20:21], s[0:1]
	s_xor_b64 s[20:21], exec, s[20:21]
; %bb.83:                               ;   in Loop: Header=BB89_2 Depth=1
	ds_read_u8 v60, v59 offset:1
; %bb.84:                               ;   in Loop: Header=BB89_2 Depth=1
	s_or_saveexec_b64 s[20:21], s[20:21]
	v_mov_b32_e32 v61, v57
	s_xor_b64 exec, exec, s[20:21]
	s_cbranch_execz .LBB89_86
; %bb.85:                               ;   in Loop: Header=BB89_2 Depth=1
	ds_read_u8 v61, v58 offset:1
	s_waitcnt lgkmcnt(1)
	v_mov_b32_e32 v60, v56
.LBB89_86:                              ;   in Loop: Header=BB89_2 Depth=1
	s_or_b64 exec, exec, s[20:21]
	v_add_u32_e32 v63, 1, v59
	v_add_u32_e32 v62, 1, v58
	v_cndmask_b32_e64 v63, v63, v59, s[18:19]
	v_cndmask_b32_e64 v62, v58, v62, s[18:19]
	v_cmp_ge_i32_e64 s[20:21], v63, v15
	s_waitcnt lgkmcnt(0)
	v_cmp_lt_u16_sdwa s[0:1], v61, v60 src0_sel:BYTE_0 src1_sel:BYTE_0
	v_cmp_lt_i32_e32 vcc, v62, v16
	s_or_b64 s[0:1], s[20:21], s[0:1]
	s_and_b64 s[20:21], vcc, s[0:1]
	s_xor_b64 s[0:1], s[20:21], -1
                                        ; implicit-def: $vgpr64
	s_and_saveexec_b64 s[22:23], s[0:1]
	s_xor_b64 s[22:23], exec, s[22:23]
; %bb.87:                               ;   in Loop: Header=BB89_2 Depth=1
	ds_read_u8 v64, v63 offset:1
; %bb.88:                               ;   in Loop: Header=BB89_2 Depth=1
	s_or_saveexec_b64 s[22:23], s[22:23]
	v_mov_b32_e32 v65, v61
	s_xor_b64 exec, exec, s[22:23]
	s_cbranch_execz .LBB89_90
; %bb.89:                               ;   in Loop: Header=BB89_2 Depth=1
	ds_read_u8 v65, v62 offset:1
	s_waitcnt lgkmcnt(1)
	v_mov_b32_e32 v64, v60
.LBB89_90:                              ;   in Loop: Header=BB89_2 Depth=1
	s_or_b64 exec, exec, s[22:23]
	v_add_u32_e32 v67, 1, v63
	v_add_u32_e32 v66, 1, v62
	v_cndmask_b32_e64 v67, v67, v63, s[20:21]
	v_cndmask_b32_e64 v66, v62, v66, s[20:21]
	v_cmp_ge_i32_e64 s[22:23], v67, v15
	s_waitcnt lgkmcnt(0)
	v_cmp_lt_u16_sdwa s[0:1], v65, v64 src0_sel:BYTE_0 src1_sel:BYTE_0
	v_cmp_lt_i32_e32 vcc, v66, v16
	s_or_b64 s[0:1], s[22:23], s[0:1]
	s_and_b64 vcc, vcc, s[0:1]
	s_xor_b64 s[0:1], vcc, -1
                                        ; implicit-def: $vgpr68
	s_and_saveexec_b64 s[22:23], s[0:1]
	s_xor_b64 s[22:23], exec, s[22:23]
; %bb.91:                               ;   in Loop: Header=BB89_2 Depth=1
	ds_read_u8 v68, v67 offset:1
; %bb.92:                               ;   in Loop: Header=BB89_2 Depth=1
	s_or_saveexec_b64 s[22:23], s[22:23]
	v_mov_b32_e32 v69, v65
	s_xor_b64 exec, exec, s[22:23]
	s_cbranch_execz .LBB89_94
; %bb.93:                               ;   in Loop: Header=BB89_2 Depth=1
	ds_read_u8 v69, v66 offset:1
	s_waitcnt lgkmcnt(1)
	v_mov_b32_e32 v68, v64
.LBB89_94:                              ;   in Loop: Header=BB89_2 Depth=1
	s_or_b64 exec, exec, s[22:23]
	v_add_u32_e32 v72, 1, v67
	v_add_u32_e32 v70, 1, v66
	v_cndmask_b32_e32 v72, v72, v67, vcc
	v_cndmask_b32_e32 v71, v66, v70, vcc
	v_cmp_ge_i32_e64 s[24:25], v72, v15
	s_waitcnt lgkmcnt(0)
	v_cmp_lt_u16_sdwa s[0:1], v69, v68 src0_sel:BYTE_0 src1_sel:BYTE_0
	v_cmp_lt_i32_e64 s[22:23], v71, v16
	s_or_b64 s[0:1], s[24:25], s[0:1]
	s_and_b64 s[22:23], s[22:23], s[0:1]
	s_xor_b64 s[0:1], s[22:23], -1
                                        ; implicit-def: $vgpr70
	s_and_saveexec_b64 s[24:25], s[0:1]
	s_xor_b64 s[24:25], exec, s[24:25]
; %bb.95:                               ;   in Loop: Header=BB89_2 Depth=1
	ds_read_u8 v70, v72 offset:1
; %bb.96:                               ;   in Loop: Header=BB89_2 Depth=1
	s_or_saveexec_b64 s[24:25], s[24:25]
	v_mov_b32_e32 v73, v69
	s_xor_b64 exec, exec, s[24:25]
	s_cbranch_execz .LBB89_98
; %bb.97:                               ;   in Loop: Header=BB89_2 Depth=1
	ds_read_u8 v73, v71 offset:1
	s_waitcnt lgkmcnt(1)
	v_mov_b32_e32 v70, v68
.LBB89_98:                              ;   in Loop: Header=BB89_2 Depth=1
	s_or_b64 exec, exec, s[24:25]
	v_add_u32_e32 v74, 1, v72
	v_cndmask_b32_e64 v68, v68, v69, s[22:23]
	v_add_u32_e32 v69, 1, v71
	v_cndmask_b32_e64 v74, v74, v72, s[22:23]
	v_cndmask_b32_e64 v69, v71, v69, s[22:23]
	;; [unrolled: 1-line block ×4, first 2 shown]
	v_cmp_ge_i32_e64 s[12:13], v74, v15
	s_waitcnt lgkmcnt(0)
	v_cmp_lt_u16_sdwa s[0:1], v73, v70 src0_sel:BYTE_0 src1_sel:BYTE_0
	v_cndmask_b32_sdwa v64, v64, v65, vcc dst_sel:BYTE_1 dst_unused:UNUSED_PAD src0_sel:DWORD src1_sel:DWORD
	v_cndmask_b32_e32 v65, v67, v66, vcc
	v_cmp_lt_i32_e32 vcc, v69, v16
	s_or_b64 s[0:1], s[12:13], s[0:1]
	v_perm_b32 v41, v41, v42, s84
	v_perm_b32 v40, v43, v40, s84
	;; [unrolled: 1-line block ×4, first 2 shown]
	s_and_b64 vcc, vcc, s[0:1]
	v_lshl_or_b32 v41, v40, 16, v41
	v_lshl_or_b32 v40, v2, 16, v1
	v_cndmask_b32_e64 v71, v72, v71, s[22:23]
	v_cndmask_b32_e64 v60, v60, v61, s[20:21]
	v_cndmask_b32_e64 v61, v63, v62, s[20:21]
	v_cndmask_b32_e64 v56, v56, v57, s[18:19]
	v_cndmask_b32_e64 v57, v59, v58, s[18:19]
	v_cndmask_b32_e64 v52, v52, v53, s[16:17]
	v_cndmask_b32_e64 v53, v55, v54, s[16:17]
	v_cndmask_b32_e64 v48, v48, v49, s[14:15]
	v_cndmask_b32_e64 v49, v51, v50, s[14:15]
	v_cndmask_b32_e32 v47, v74, v69, vcc
	; wave barrier
	ds_write_b64 v5, v[40:41]
	s_waitcnt lgkmcnt(0)
	; wave barrier
	ds_read_u8 v1, v44
	ds_read_u8 v40, v47
	;; [unrolled: 1-line block ×8, first 2 shown]
	v_lshlrev_b16_e32 v44, 8, v48
	v_cndmask_b32_e32 v45, v70, v73, vcc
	v_or_b32_sdwa v44, v46, v44 dst_sel:DWORD dst_unused:UNUSED_PAD src0_sel:BYTE_0 src1_sel:DWORD
	v_lshlrev_b16_e32 v46, 8, v56
	v_or_b32_sdwa v46, v52, v46 dst_sel:WORD_1 dst_unused:UNUSED_PAD src0_sel:BYTE_0 src1_sel:DWORD
	v_lshlrev_b16_e32 v45, 8, v45
	v_or_b32_sdwa v44, v44, v46 dst_sel:DWORD dst_unused:UNUSED_PAD src0_sel:WORD_0 src1_sel:DWORD
	v_or_b32_sdwa v46, v60, v64 dst_sel:DWORD dst_unused:UNUSED_PAD src0_sel:BYTE_0 src1_sel:DWORD
	v_or_b32_sdwa v45, v68, v45 dst_sel:WORD_1 dst_unused:UNUSED_PAD src0_sel:BYTE_0 src1_sel:DWORD
	v_or_b32_sdwa v45, v46, v45 dst_sel:DWORD dst_unused:UNUSED_PAD src0_sel:WORD_0 src1_sel:DWORD
	s_waitcnt lgkmcnt(0)
	; wave barrier
	ds_write_b64 v5, v[44:45]
	v_mov_b32_e32 v45, v30
	s_waitcnt lgkmcnt(0)
	; wave barrier
	s_and_saveexec_b64 s[12:13], s[6:7]
	s_cbranch_execz .LBB89_102
; %bb.99:                               ;   in Loop: Header=BB89_2 Depth=1
	s_mov_b64 s[14:15], 0
	v_mov_b32_e32 v45, v30
	v_mov_b32_e32 v44, v31
.LBB89_100:                             ;   Parent Loop BB89_2 Depth=1
                                        ; =>  This Inner Loop Header: Depth=2
	v_sub_u32_e32 v46, v44, v45
	v_lshrrev_b32_e32 v46, 1, v46
	v_add_u32_e32 v46, v46, v45
	v_add_u32_e32 v47, v9, v46
	v_xad_u32 v48, v46, -1, v32
	ds_read_u8 v47, v47
	ds_read_u8 v48, v48
	v_add_u32_e32 v49, 1, v46
	s_waitcnt lgkmcnt(0)
	v_cmp_lt_u16_e32 vcc, v48, v47
	v_cndmask_b32_e32 v44, v44, v46, vcc
	v_cndmask_b32_e32 v45, v49, v45, vcc
	v_cmp_ge_i32_e32 vcc, v45, v44
	s_or_b64 s[14:15], vcc, s[14:15]
	s_andn2_b64 exec, exec, s[14:15]
	s_cbranch_execnz .LBB89_100
; %bb.101:                              ;   in Loop: Header=BB89_2 Depth=1
	s_or_b64 exec, exec, s[14:15]
.LBB89_102:                             ;   in Loop: Header=BB89_2 Depth=1
	s_or_b64 exec, exec, s[12:13]
	v_add_u32_e32 v44, v45, v9
	v_sub_u32_e32 v45, v32, v45
	ds_read_u8 v46, v44
	ds_read_u8 v47, v45
	v_cmp_le_i32_e64 s[12:13], v17, v44
	v_cmp_gt_i32_e32 vcc, v18, v45
                                        ; implicit-def: $vgpr48
	s_waitcnt lgkmcnt(0)
	v_cmp_lt_u16_sdwa s[0:1], v47, v46 src0_sel:BYTE_0 src1_sel:BYTE_0
	s_or_b64 s[0:1], s[12:13], s[0:1]
	s_and_b64 s[12:13], vcc, s[0:1]
	s_xor_b64 s[0:1], s[12:13], -1
	s_and_saveexec_b64 s[14:15], s[0:1]
	s_xor_b64 s[14:15], exec, s[14:15]
; %bb.103:                              ;   in Loop: Header=BB89_2 Depth=1
	ds_read_u8 v48, v44 offset:1
; %bb.104:                              ;   in Loop: Header=BB89_2 Depth=1
	s_or_saveexec_b64 s[14:15], s[14:15]
	v_mov_b32_e32 v49, v47
	s_xor_b64 exec, exec, s[14:15]
	s_cbranch_execz .LBB89_106
; %bb.105:                              ;   in Loop: Header=BB89_2 Depth=1
	ds_read_u8 v49, v45 offset:1
	s_waitcnt lgkmcnt(1)
	v_mov_b32_e32 v48, v46
.LBB89_106:                             ;   in Loop: Header=BB89_2 Depth=1
	s_or_b64 exec, exec, s[14:15]
	v_add_u32_e32 v51, 1, v44
	v_add_u32_e32 v50, 1, v45
	v_cndmask_b32_e64 v51, v51, v44, s[12:13]
	v_cndmask_b32_e64 v50, v45, v50, s[12:13]
	v_cmp_ge_i32_e64 s[14:15], v51, v17
	s_waitcnt lgkmcnt(0)
	v_cmp_lt_u16_sdwa s[0:1], v49, v48 src0_sel:BYTE_0 src1_sel:BYTE_0
	v_cmp_lt_i32_e32 vcc, v50, v18
	s_or_b64 s[0:1], s[14:15], s[0:1]
	s_and_b64 s[14:15], vcc, s[0:1]
	s_xor_b64 s[0:1], s[14:15], -1
                                        ; implicit-def: $vgpr52
	s_and_saveexec_b64 s[16:17], s[0:1]
	s_xor_b64 s[16:17], exec, s[16:17]
; %bb.107:                              ;   in Loop: Header=BB89_2 Depth=1
	ds_read_u8 v52, v51 offset:1
; %bb.108:                              ;   in Loop: Header=BB89_2 Depth=1
	s_or_saveexec_b64 s[16:17], s[16:17]
	v_mov_b32_e32 v53, v49
	s_xor_b64 exec, exec, s[16:17]
	s_cbranch_execz .LBB89_110
; %bb.109:                              ;   in Loop: Header=BB89_2 Depth=1
	ds_read_u8 v53, v50 offset:1
	s_waitcnt lgkmcnt(1)
	v_mov_b32_e32 v52, v48
.LBB89_110:                             ;   in Loop: Header=BB89_2 Depth=1
	s_or_b64 exec, exec, s[16:17]
	v_add_u32_e32 v55, 1, v51
	v_add_u32_e32 v54, 1, v50
	v_cndmask_b32_e64 v55, v55, v51, s[14:15]
	v_cndmask_b32_e64 v54, v50, v54, s[14:15]
	v_cmp_ge_i32_e64 s[16:17], v55, v17
	s_waitcnt lgkmcnt(0)
	v_cmp_lt_u16_sdwa s[0:1], v53, v52 src0_sel:BYTE_0 src1_sel:BYTE_0
	v_cmp_lt_i32_e32 vcc, v54, v18
	s_or_b64 s[0:1], s[16:17], s[0:1]
	s_and_b64 s[16:17], vcc, s[0:1]
	s_xor_b64 s[0:1], s[16:17], -1
                                        ; implicit-def: $vgpr56
	s_and_saveexec_b64 s[18:19], s[0:1]
	s_xor_b64 s[18:19], exec, s[18:19]
; %bb.111:                              ;   in Loop: Header=BB89_2 Depth=1
	ds_read_u8 v56, v55 offset:1
; %bb.112:                              ;   in Loop: Header=BB89_2 Depth=1
	s_or_saveexec_b64 s[18:19], s[18:19]
	v_mov_b32_e32 v57, v53
	s_xor_b64 exec, exec, s[18:19]
	s_cbranch_execz .LBB89_114
; %bb.113:                              ;   in Loop: Header=BB89_2 Depth=1
	ds_read_u8 v57, v54 offset:1
	s_waitcnt lgkmcnt(1)
	v_mov_b32_e32 v56, v52
.LBB89_114:                             ;   in Loop: Header=BB89_2 Depth=1
	s_or_b64 exec, exec, s[18:19]
	v_add_u32_e32 v59, 1, v55
	v_add_u32_e32 v58, 1, v54
	v_cndmask_b32_e64 v59, v59, v55, s[16:17]
	v_cndmask_b32_e64 v58, v54, v58, s[16:17]
	v_cmp_ge_i32_e64 s[18:19], v59, v17
	s_waitcnt lgkmcnt(0)
	v_cmp_lt_u16_sdwa s[0:1], v57, v56 src0_sel:BYTE_0 src1_sel:BYTE_0
	v_cmp_lt_i32_e32 vcc, v58, v18
	s_or_b64 s[0:1], s[18:19], s[0:1]
	s_and_b64 s[18:19], vcc, s[0:1]
	s_xor_b64 s[0:1], s[18:19], -1
                                        ; implicit-def: $vgpr60
	s_and_saveexec_b64 s[20:21], s[0:1]
	s_xor_b64 s[20:21], exec, s[20:21]
; %bb.115:                              ;   in Loop: Header=BB89_2 Depth=1
	ds_read_u8 v60, v59 offset:1
; %bb.116:                              ;   in Loop: Header=BB89_2 Depth=1
	s_or_saveexec_b64 s[20:21], s[20:21]
	v_mov_b32_e32 v61, v57
	s_xor_b64 exec, exec, s[20:21]
	s_cbranch_execz .LBB89_118
; %bb.117:                              ;   in Loop: Header=BB89_2 Depth=1
	ds_read_u8 v61, v58 offset:1
	s_waitcnt lgkmcnt(1)
	v_mov_b32_e32 v60, v56
.LBB89_118:                             ;   in Loop: Header=BB89_2 Depth=1
	s_or_b64 exec, exec, s[20:21]
	v_add_u32_e32 v63, 1, v59
	v_add_u32_e32 v62, 1, v58
	v_cndmask_b32_e64 v63, v63, v59, s[18:19]
	v_cndmask_b32_e64 v62, v58, v62, s[18:19]
	v_cmp_ge_i32_e64 s[20:21], v63, v17
	s_waitcnt lgkmcnt(0)
	v_cmp_lt_u16_sdwa s[0:1], v61, v60 src0_sel:BYTE_0 src1_sel:BYTE_0
	v_cmp_lt_i32_e32 vcc, v62, v18
	s_or_b64 s[0:1], s[20:21], s[0:1]
	s_and_b64 s[20:21], vcc, s[0:1]
	s_xor_b64 s[0:1], s[20:21], -1
                                        ; implicit-def: $vgpr64
	s_and_saveexec_b64 s[22:23], s[0:1]
	s_xor_b64 s[22:23], exec, s[22:23]
; %bb.119:                              ;   in Loop: Header=BB89_2 Depth=1
	ds_read_u8 v64, v63 offset:1
; %bb.120:                              ;   in Loop: Header=BB89_2 Depth=1
	s_or_saveexec_b64 s[22:23], s[22:23]
	v_mov_b32_e32 v65, v61
	s_xor_b64 exec, exec, s[22:23]
	s_cbranch_execz .LBB89_122
; %bb.121:                              ;   in Loop: Header=BB89_2 Depth=1
	ds_read_u8 v65, v62 offset:1
	s_waitcnt lgkmcnt(1)
	v_mov_b32_e32 v64, v60
.LBB89_122:                             ;   in Loop: Header=BB89_2 Depth=1
	s_or_b64 exec, exec, s[22:23]
	v_add_u32_e32 v67, 1, v63
	v_add_u32_e32 v66, 1, v62
	v_cndmask_b32_e64 v67, v67, v63, s[20:21]
	v_cndmask_b32_e64 v66, v62, v66, s[20:21]
	v_cmp_ge_i32_e64 s[22:23], v67, v17
	s_waitcnt lgkmcnt(0)
	v_cmp_lt_u16_sdwa s[0:1], v65, v64 src0_sel:BYTE_0 src1_sel:BYTE_0
	v_cmp_lt_i32_e32 vcc, v66, v18
	s_or_b64 s[0:1], s[22:23], s[0:1]
	s_and_b64 vcc, vcc, s[0:1]
	s_xor_b64 s[0:1], vcc, -1
                                        ; implicit-def: $vgpr68
	s_and_saveexec_b64 s[22:23], s[0:1]
	s_xor_b64 s[22:23], exec, s[22:23]
; %bb.123:                              ;   in Loop: Header=BB89_2 Depth=1
	ds_read_u8 v68, v67 offset:1
; %bb.124:                              ;   in Loop: Header=BB89_2 Depth=1
	s_or_saveexec_b64 s[22:23], s[22:23]
	v_mov_b32_e32 v69, v65
	s_xor_b64 exec, exec, s[22:23]
	s_cbranch_execz .LBB89_126
; %bb.125:                              ;   in Loop: Header=BB89_2 Depth=1
	ds_read_u8 v69, v66 offset:1
	s_waitcnt lgkmcnt(1)
	v_mov_b32_e32 v68, v64
.LBB89_126:                             ;   in Loop: Header=BB89_2 Depth=1
	s_or_b64 exec, exec, s[22:23]
	v_add_u32_e32 v72, 1, v67
	v_add_u32_e32 v70, 1, v66
	v_cndmask_b32_e32 v72, v72, v67, vcc
	v_cndmask_b32_e32 v71, v66, v70, vcc
	v_cmp_ge_i32_e64 s[24:25], v72, v17
	s_waitcnt lgkmcnt(0)
	v_cmp_lt_u16_sdwa s[0:1], v69, v68 src0_sel:BYTE_0 src1_sel:BYTE_0
	v_cmp_lt_i32_e64 s[22:23], v71, v18
	s_or_b64 s[0:1], s[24:25], s[0:1]
	s_and_b64 s[22:23], s[22:23], s[0:1]
	s_xor_b64 s[0:1], s[22:23], -1
                                        ; implicit-def: $vgpr70
	s_and_saveexec_b64 s[24:25], s[0:1]
	s_xor_b64 s[24:25], exec, s[24:25]
; %bb.127:                              ;   in Loop: Header=BB89_2 Depth=1
	ds_read_u8 v70, v72 offset:1
; %bb.128:                              ;   in Loop: Header=BB89_2 Depth=1
	s_or_saveexec_b64 s[24:25], s[24:25]
	v_mov_b32_e32 v73, v69
	s_xor_b64 exec, exec, s[24:25]
	s_cbranch_execz .LBB89_130
; %bb.129:                              ;   in Loop: Header=BB89_2 Depth=1
	ds_read_u8 v73, v71 offset:1
	s_waitcnt lgkmcnt(1)
	v_mov_b32_e32 v70, v68
.LBB89_130:                             ;   in Loop: Header=BB89_2 Depth=1
	s_or_b64 exec, exec, s[24:25]
	v_add_u32_e32 v74, 1, v72
	v_cndmask_b32_e64 v68, v68, v69, s[22:23]
	v_add_u32_e32 v69, 1, v71
	v_cndmask_b32_e64 v74, v74, v72, s[22:23]
	v_cndmask_b32_e64 v69, v71, v69, s[22:23]
	;; [unrolled: 1-line block ×4, first 2 shown]
	v_cmp_ge_i32_e64 s[12:13], v74, v17
	s_waitcnt lgkmcnt(0)
	v_cmp_lt_u16_sdwa s[0:1], v73, v70 src0_sel:BYTE_0 src1_sel:BYTE_0
	v_cndmask_b32_sdwa v64, v64, v65, vcc dst_sel:BYTE_1 dst_unused:UNUSED_PAD src0_sel:DWORD src1_sel:DWORD
	v_cndmask_b32_e32 v65, v67, v66, vcc
	v_cmp_lt_i32_e32 vcc, v69, v18
	s_or_b64 s[0:1], s[12:13], s[0:1]
	v_perm_b32 v41, v41, v42, s84
	v_perm_b32 v40, v43, v40, s84
	;; [unrolled: 1-line block ×4, first 2 shown]
	s_and_b64 vcc, vcc, s[0:1]
	v_lshl_or_b32 v41, v40, 16, v41
	v_lshl_or_b32 v40, v2, 16, v1
	v_cndmask_b32_e64 v71, v72, v71, s[22:23]
	v_cndmask_b32_e64 v60, v60, v61, s[20:21]
	;; [unrolled: 1-line block ×9, first 2 shown]
	v_cndmask_b32_e32 v47, v74, v69, vcc
	; wave barrier
	ds_write_b64 v5, v[40:41]
	s_waitcnt lgkmcnt(0)
	; wave barrier
	ds_read_u8 v1, v44
	ds_read_u8 v40, v47
	ds_read_u8 v2, v49
	ds_read_u8 v3, v53
	ds_read_u8 v4, v57
	ds_read_u8 v41, v61
	ds_read_u8 v42, v65
	ds_read_u8 v43, v71
	v_lshlrev_b16_e32 v44, 8, v48
	v_cndmask_b32_e32 v45, v70, v73, vcc
	v_or_b32_sdwa v44, v46, v44 dst_sel:DWORD dst_unused:UNUSED_PAD src0_sel:BYTE_0 src1_sel:DWORD
	v_lshlrev_b16_e32 v46, 8, v56
	v_or_b32_sdwa v46, v52, v46 dst_sel:WORD_1 dst_unused:UNUSED_PAD src0_sel:BYTE_0 src1_sel:DWORD
	v_lshlrev_b16_e32 v45, 8, v45
	v_or_b32_sdwa v44, v44, v46 dst_sel:DWORD dst_unused:UNUSED_PAD src0_sel:WORD_0 src1_sel:DWORD
	v_or_b32_sdwa v46, v60, v64 dst_sel:DWORD dst_unused:UNUSED_PAD src0_sel:BYTE_0 src1_sel:DWORD
	v_or_b32_sdwa v45, v68, v45 dst_sel:WORD_1 dst_unused:UNUSED_PAD src0_sel:BYTE_0 src1_sel:DWORD
	v_or_b32_sdwa v45, v46, v45 dst_sel:DWORD dst_unused:UNUSED_PAD src0_sel:WORD_0 src1_sel:DWORD
	s_waitcnt lgkmcnt(0)
	; wave barrier
	ds_write_b64 v5, v[44:45]
	v_mov_b32_e32 v45, v33
	s_waitcnt lgkmcnt(0)
	; wave barrier
	s_and_saveexec_b64 s[12:13], s[8:9]
	s_cbranch_execz .LBB89_134
; %bb.131:                              ;   in Loop: Header=BB89_2 Depth=1
	s_mov_b64 s[14:15], 0
	v_mov_b32_e32 v45, v33
	v_mov_b32_e32 v44, v34
.LBB89_132:                             ;   Parent Loop BB89_2 Depth=1
                                        ; =>  This Inner Loop Header: Depth=2
	v_sub_u32_e32 v46, v44, v45
	v_lshrrev_b32_e32 v46, 1, v46
	v_add_u32_e32 v46, v46, v45
	v_add_u32_e32 v47, v10, v46
	v_xad_u32 v48, v46, -1, v35
	ds_read_u8 v47, v47
	ds_read_u8 v48, v48
	v_add_u32_e32 v49, 1, v46
	s_waitcnt lgkmcnt(0)
	v_cmp_lt_u16_e32 vcc, v48, v47
	v_cndmask_b32_e32 v44, v44, v46, vcc
	v_cndmask_b32_e32 v45, v49, v45, vcc
	v_cmp_ge_i32_e32 vcc, v45, v44
	s_or_b64 s[14:15], vcc, s[14:15]
	s_andn2_b64 exec, exec, s[14:15]
	s_cbranch_execnz .LBB89_132
; %bb.133:                              ;   in Loop: Header=BB89_2 Depth=1
	s_or_b64 exec, exec, s[14:15]
.LBB89_134:                             ;   in Loop: Header=BB89_2 Depth=1
	s_or_b64 exec, exec, s[12:13]
	v_add_u32_e32 v44, v45, v10
	v_sub_u32_e32 v45, v35, v45
	ds_read_u8 v46, v44
	ds_read_u8 v47, v45
	v_cmp_le_i32_e64 s[12:13], v19, v44
	v_cmp_gt_i32_e32 vcc, v20, v45
                                        ; implicit-def: $vgpr48
	s_waitcnt lgkmcnt(0)
	v_cmp_lt_u16_sdwa s[0:1], v47, v46 src0_sel:BYTE_0 src1_sel:BYTE_0
	s_or_b64 s[0:1], s[12:13], s[0:1]
	s_and_b64 s[12:13], vcc, s[0:1]
	s_xor_b64 s[0:1], s[12:13], -1
	s_and_saveexec_b64 s[14:15], s[0:1]
	s_xor_b64 s[14:15], exec, s[14:15]
; %bb.135:                              ;   in Loop: Header=BB89_2 Depth=1
	ds_read_u8 v48, v44 offset:1
; %bb.136:                              ;   in Loop: Header=BB89_2 Depth=1
	s_or_saveexec_b64 s[14:15], s[14:15]
	v_mov_b32_e32 v49, v47
	s_xor_b64 exec, exec, s[14:15]
	s_cbranch_execz .LBB89_138
; %bb.137:                              ;   in Loop: Header=BB89_2 Depth=1
	ds_read_u8 v49, v45 offset:1
	s_waitcnt lgkmcnt(1)
	v_mov_b32_e32 v48, v46
.LBB89_138:                             ;   in Loop: Header=BB89_2 Depth=1
	s_or_b64 exec, exec, s[14:15]
	v_add_u32_e32 v51, 1, v44
	v_add_u32_e32 v50, 1, v45
	v_cndmask_b32_e64 v51, v51, v44, s[12:13]
	v_cndmask_b32_e64 v50, v45, v50, s[12:13]
	v_cmp_ge_i32_e64 s[14:15], v51, v19
	s_waitcnt lgkmcnt(0)
	v_cmp_lt_u16_sdwa s[0:1], v49, v48 src0_sel:BYTE_0 src1_sel:BYTE_0
	v_cmp_lt_i32_e32 vcc, v50, v20
	s_or_b64 s[0:1], s[14:15], s[0:1]
	s_and_b64 s[14:15], vcc, s[0:1]
	s_xor_b64 s[0:1], s[14:15], -1
                                        ; implicit-def: $vgpr52
	s_and_saveexec_b64 s[16:17], s[0:1]
	s_xor_b64 s[16:17], exec, s[16:17]
; %bb.139:                              ;   in Loop: Header=BB89_2 Depth=1
	ds_read_u8 v52, v51 offset:1
; %bb.140:                              ;   in Loop: Header=BB89_2 Depth=1
	s_or_saveexec_b64 s[16:17], s[16:17]
	v_mov_b32_e32 v53, v49
	s_xor_b64 exec, exec, s[16:17]
	s_cbranch_execz .LBB89_142
; %bb.141:                              ;   in Loop: Header=BB89_2 Depth=1
	ds_read_u8 v53, v50 offset:1
	s_waitcnt lgkmcnt(1)
	v_mov_b32_e32 v52, v48
.LBB89_142:                             ;   in Loop: Header=BB89_2 Depth=1
	s_or_b64 exec, exec, s[16:17]
	v_add_u32_e32 v55, 1, v51
	v_add_u32_e32 v54, 1, v50
	v_cndmask_b32_e64 v55, v55, v51, s[14:15]
	v_cndmask_b32_e64 v54, v50, v54, s[14:15]
	v_cmp_ge_i32_e64 s[16:17], v55, v19
	s_waitcnt lgkmcnt(0)
	v_cmp_lt_u16_sdwa s[0:1], v53, v52 src0_sel:BYTE_0 src1_sel:BYTE_0
	v_cmp_lt_i32_e32 vcc, v54, v20
	s_or_b64 s[0:1], s[16:17], s[0:1]
	s_and_b64 s[16:17], vcc, s[0:1]
	s_xor_b64 s[0:1], s[16:17], -1
                                        ; implicit-def: $vgpr56
	s_and_saveexec_b64 s[18:19], s[0:1]
	s_xor_b64 s[18:19], exec, s[18:19]
; %bb.143:                              ;   in Loop: Header=BB89_2 Depth=1
	ds_read_u8 v56, v55 offset:1
; %bb.144:                              ;   in Loop: Header=BB89_2 Depth=1
	s_or_saveexec_b64 s[18:19], s[18:19]
	v_mov_b32_e32 v57, v53
	s_xor_b64 exec, exec, s[18:19]
	s_cbranch_execz .LBB89_146
; %bb.145:                              ;   in Loop: Header=BB89_2 Depth=1
	ds_read_u8 v57, v54 offset:1
	s_waitcnt lgkmcnt(1)
	v_mov_b32_e32 v56, v52
.LBB89_146:                             ;   in Loop: Header=BB89_2 Depth=1
	s_or_b64 exec, exec, s[18:19]
	v_add_u32_e32 v59, 1, v55
	v_add_u32_e32 v58, 1, v54
	v_cndmask_b32_e64 v59, v59, v55, s[16:17]
	v_cndmask_b32_e64 v58, v54, v58, s[16:17]
	v_cmp_ge_i32_e64 s[18:19], v59, v19
	s_waitcnt lgkmcnt(0)
	v_cmp_lt_u16_sdwa s[0:1], v57, v56 src0_sel:BYTE_0 src1_sel:BYTE_0
	v_cmp_lt_i32_e32 vcc, v58, v20
	s_or_b64 s[0:1], s[18:19], s[0:1]
	s_and_b64 s[18:19], vcc, s[0:1]
	s_xor_b64 s[0:1], s[18:19], -1
                                        ; implicit-def: $vgpr60
	s_and_saveexec_b64 s[20:21], s[0:1]
	s_xor_b64 s[20:21], exec, s[20:21]
; %bb.147:                              ;   in Loop: Header=BB89_2 Depth=1
	ds_read_u8 v60, v59 offset:1
; %bb.148:                              ;   in Loop: Header=BB89_2 Depth=1
	s_or_saveexec_b64 s[20:21], s[20:21]
	v_mov_b32_e32 v61, v57
	s_xor_b64 exec, exec, s[20:21]
	s_cbranch_execz .LBB89_150
; %bb.149:                              ;   in Loop: Header=BB89_2 Depth=1
	ds_read_u8 v61, v58 offset:1
	s_waitcnt lgkmcnt(1)
	v_mov_b32_e32 v60, v56
.LBB89_150:                             ;   in Loop: Header=BB89_2 Depth=1
	s_or_b64 exec, exec, s[20:21]
	v_add_u32_e32 v63, 1, v59
	v_add_u32_e32 v62, 1, v58
	v_cndmask_b32_e64 v63, v63, v59, s[18:19]
	v_cndmask_b32_e64 v62, v58, v62, s[18:19]
	v_cmp_ge_i32_e64 s[20:21], v63, v19
	s_waitcnt lgkmcnt(0)
	v_cmp_lt_u16_sdwa s[0:1], v61, v60 src0_sel:BYTE_0 src1_sel:BYTE_0
	v_cmp_lt_i32_e32 vcc, v62, v20
	s_or_b64 s[0:1], s[20:21], s[0:1]
	s_and_b64 s[20:21], vcc, s[0:1]
	s_xor_b64 s[0:1], s[20:21], -1
                                        ; implicit-def: $vgpr64
	s_and_saveexec_b64 s[22:23], s[0:1]
	s_xor_b64 s[22:23], exec, s[22:23]
; %bb.151:                              ;   in Loop: Header=BB89_2 Depth=1
	ds_read_u8 v64, v63 offset:1
; %bb.152:                              ;   in Loop: Header=BB89_2 Depth=1
	s_or_saveexec_b64 s[22:23], s[22:23]
	v_mov_b32_e32 v65, v61
	s_xor_b64 exec, exec, s[22:23]
	s_cbranch_execz .LBB89_154
; %bb.153:                              ;   in Loop: Header=BB89_2 Depth=1
	ds_read_u8 v65, v62 offset:1
	s_waitcnt lgkmcnt(1)
	v_mov_b32_e32 v64, v60
.LBB89_154:                             ;   in Loop: Header=BB89_2 Depth=1
	s_or_b64 exec, exec, s[22:23]
	v_add_u32_e32 v67, 1, v63
	v_add_u32_e32 v66, 1, v62
	v_cndmask_b32_e64 v67, v67, v63, s[20:21]
	v_cndmask_b32_e64 v66, v62, v66, s[20:21]
	v_cmp_ge_i32_e64 s[22:23], v67, v19
	s_waitcnt lgkmcnt(0)
	v_cmp_lt_u16_sdwa s[0:1], v65, v64 src0_sel:BYTE_0 src1_sel:BYTE_0
	v_cmp_lt_i32_e32 vcc, v66, v20
	s_or_b64 s[0:1], s[22:23], s[0:1]
	s_and_b64 vcc, vcc, s[0:1]
	s_xor_b64 s[0:1], vcc, -1
                                        ; implicit-def: $vgpr68
	s_and_saveexec_b64 s[22:23], s[0:1]
	s_xor_b64 s[22:23], exec, s[22:23]
; %bb.155:                              ;   in Loop: Header=BB89_2 Depth=1
	ds_read_u8 v68, v67 offset:1
; %bb.156:                              ;   in Loop: Header=BB89_2 Depth=1
	s_or_saveexec_b64 s[22:23], s[22:23]
	v_mov_b32_e32 v69, v65
	s_xor_b64 exec, exec, s[22:23]
	s_cbranch_execz .LBB89_158
; %bb.157:                              ;   in Loop: Header=BB89_2 Depth=1
	ds_read_u8 v69, v66 offset:1
	s_waitcnt lgkmcnt(1)
	v_mov_b32_e32 v68, v64
.LBB89_158:                             ;   in Loop: Header=BB89_2 Depth=1
	s_or_b64 exec, exec, s[22:23]
	v_add_u32_e32 v72, 1, v67
	v_add_u32_e32 v70, 1, v66
	v_cndmask_b32_e32 v72, v72, v67, vcc
	v_cndmask_b32_e32 v71, v66, v70, vcc
	v_cmp_ge_i32_e64 s[24:25], v72, v19
	s_waitcnt lgkmcnt(0)
	v_cmp_lt_u16_sdwa s[0:1], v69, v68 src0_sel:BYTE_0 src1_sel:BYTE_0
	v_cmp_lt_i32_e64 s[22:23], v71, v20
	s_or_b64 s[0:1], s[24:25], s[0:1]
	s_and_b64 s[22:23], s[22:23], s[0:1]
	s_xor_b64 s[0:1], s[22:23], -1
                                        ; implicit-def: $vgpr70
	s_and_saveexec_b64 s[24:25], s[0:1]
	s_xor_b64 s[24:25], exec, s[24:25]
; %bb.159:                              ;   in Loop: Header=BB89_2 Depth=1
	ds_read_u8 v70, v72 offset:1
; %bb.160:                              ;   in Loop: Header=BB89_2 Depth=1
	s_or_saveexec_b64 s[24:25], s[24:25]
	v_mov_b32_e32 v73, v69
	s_xor_b64 exec, exec, s[24:25]
	s_cbranch_execz .LBB89_162
; %bb.161:                              ;   in Loop: Header=BB89_2 Depth=1
	ds_read_u8 v73, v71 offset:1
	s_waitcnt lgkmcnt(1)
	v_mov_b32_e32 v70, v68
.LBB89_162:                             ;   in Loop: Header=BB89_2 Depth=1
	s_or_b64 exec, exec, s[24:25]
	v_add_u32_e32 v74, 1, v72
	v_cndmask_b32_e64 v68, v68, v69, s[22:23]
	v_add_u32_e32 v69, 1, v71
	v_cndmask_b32_e64 v74, v74, v72, s[22:23]
	v_cndmask_b32_e64 v69, v71, v69, s[22:23]
	;; [unrolled: 1-line block ×4, first 2 shown]
	v_cmp_ge_i32_e64 s[12:13], v74, v19
	s_waitcnt lgkmcnt(0)
	v_cmp_lt_u16_sdwa s[0:1], v73, v70 src0_sel:BYTE_0 src1_sel:BYTE_0
	v_cndmask_b32_sdwa v64, v64, v65, vcc dst_sel:BYTE_1 dst_unused:UNUSED_PAD src0_sel:DWORD src1_sel:DWORD
	v_cndmask_b32_e32 v65, v67, v66, vcc
	v_cmp_lt_i32_e32 vcc, v69, v20
	s_or_b64 s[0:1], s[12:13], s[0:1]
	v_perm_b32 v41, v41, v42, s84
	v_perm_b32 v40, v43, v40, s84
	;; [unrolled: 1-line block ×4, first 2 shown]
	s_and_b64 vcc, vcc, s[0:1]
	v_lshl_or_b32 v41, v40, 16, v41
	v_lshl_or_b32 v40, v2, 16, v1
	v_cndmask_b32_e64 v71, v72, v71, s[22:23]
	v_cndmask_b32_e64 v60, v60, v61, s[20:21]
	;; [unrolled: 1-line block ×9, first 2 shown]
	v_cndmask_b32_e32 v47, v74, v69, vcc
	; wave barrier
	ds_write_b64 v5, v[40:41]
	s_waitcnt lgkmcnt(0)
	; wave barrier
	ds_read_u8 v1, v44
	ds_read_u8 v40, v47
	;; [unrolled: 1-line block ×8, first 2 shown]
	v_lshlrev_b16_e32 v44, 8, v48
	v_cndmask_b32_e32 v45, v70, v73, vcc
	v_or_b32_sdwa v44, v46, v44 dst_sel:DWORD dst_unused:UNUSED_PAD src0_sel:BYTE_0 src1_sel:DWORD
	v_lshlrev_b16_e32 v46, 8, v56
	v_or_b32_sdwa v46, v52, v46 dst_sel:WORD_1 dst_unused:UNUSED_PAD src0_sel:BYTE_0 src1_sel:DWORD
	v_lshlrev_b16_e32 v45, 8, v45
	v_or_b32_sdwa v44, v44, v46 dst_sel:DWORD dst_unused:UNUSED_PAD src0_sel:WORD_0 src1_sel:DWORD
	v_or_b32_sdwa v46, v60, v64 dst_sel:DWORD dst_unused:UNUSED_PAD src0_sel:BYTE_0 src1_sel:DWORD
	v_or_b32_sdwa v45, v68, v45 dst_sel:WORD_1 dst_unused:UNUSED_PAD src0_sel:BYTE_0 src1_sel:DWORD
	v_or_b32_sdwa v45, v46, v45 dst_sel:DWORD dst_unused:UNUSED_PAD src0_sel:WORD_0 src1_sel:DWORD
	s_waitcnt lgkmcnt(0)
	; wave barrier
	ds_write_b64 v5, v[44:45]
	v_mov_b32_e32 v44, v37
	s_waitcnt lgkmcnt(0)
	; wave barrier
	s_and_saveexec_b64 s[12:13], s[10:11]
	s_cbranch_execz .LBB89_166
; %bb.163:                              ;   in Loop: Header=BB89_2 Depth=1
	s_mov_b64 s[14:15], 0
	v_mov_b32_e32 v44, v37
	v_mov_b32_e32 v45, v38
.LBB89_164:                             ;   Parent Loop BB89_2 Depth=1
                                        ; =>  This Inner Loop Header: Depth=2
	v_sub_u32_e32 v46, v45, v44
	v_lshrrev_b32_e32 v46, 1, v46
	v_add_u32_e32 v46, v46, v44
	v_xad_u32 v47, v46, -1, v39
	ds_read_u8 v48, v46
	ds_read_u8 v47, v47
	v_add_u32_e32 v49, 1, v46
	s_waitcnt lgkmcnt(0)
	v_cmp_lt_u16_e32 vcc, v47, v48
	v_cndmask_b32_e32 v45, v45, v46, vcc
	v_cndmask_b32_e32 v44, v49, v44, vcc
	v_cmp_ge_i32_e32 vcc, v44, v45
	s_or_b64 s[14:15], vcc, s[14:15]
	s_andn2_b64 exec, exec, s[14:15]
	s_cbranch_execnz .LBB89_164
; %bb.165:                              ;   in Loop: Header=BB89_2 Depth=1
	s_or_b64 exec, exec, s[14:15]
.LBB89_166:                             ;   in Loop: Header=BB89_2 Depth=1
	s_or_b64 exec, exec, s[12:13]
	v_sub_u32_e32 v45, v39, v44
	ds_read_u8 v46, v44
	ds_read_u8 v47, v45
	v_cmp_le_i32_e64 s[12:13], v36, v44
	v_cmp_gt_i32_e32 vcc, s33, v45
                                        ; implicit-def: $vgpr48
	s_waitcnt lgkmcnt(0)
	v_cmp_lt_u16_sdwa s[0:1], v47, v46 src0_sel:BYTE_0 src1_sel:BYTE_0
	s_or_b64 s[0:1], s[12:13], s[0:1]
	s_and_b64 vcc, vcc, s[0:1]
	s_xor_b64 s[0:1], vcc, -1
	s_and_saveexec_b64 s[12:13], s[0:1]
	s_xor_b64 s[12:13], exec, s[12:13]
; %bb.167:                              ;   in Loop: Header=BB89_2 Depth=1
	ds_read_u8 v48, v44 offset:1
; %bb.168:                              ;   in Loop: Header=BB89_2 Depth=1
	s_or_saveexec_b64 s[12:13], s[12:13]
	v_mov_b32_e32 v49, v47
	s_xor_b64 exec, exec, s[12:13]
	s_cbranch_execz .LBB89_170
; %bb.169:                              ;   in Loop: Header=BB89_2 Depth=1
	ds_read_u8 v49, v45 offset:1
	s_waitcnt lgkmcnt(1)
	v_mov_b32_e32 v48, v46
.LBB89_170:                             ;   in Loop: Header=BB89_2 Depth=1
	s_or_b64 exec, exec, s[12:13]
	v_add_u32_e32 v51, 1, v44
	v_add_u32_e32 v50, 1, v45
	v_cndmask_b32_e32 v51, v51, v44, vcc
	v_cndmask_b32_e32 v50, v45, v50, vcc
	v_cmp_ge_i32_e64 s[14:15], v51, v36
	s_waitcnt lgkmcnt(0)
	v_cmp_lt_u16_sdwa s[0:1], v49, v48 src0_sel:BYTE_0 src1_sel:BYTE_0
	v_cmp_gt_i32_e64 s[12:13], s33, v50
	s_or_b64 s[0:1], s[14:15], s[0:1]
	s_and_b64 s[12:13], s[12:13], s[0:1]
	s_xor_b64 s[0:1], s[12:13], -1
                                        ; implicit-def: $vgpr52
	s_and_saveexec_b64 s[14:15], s[0:1]
	s_xor_b64 s[14:15], exec, s[14:15]
; %bb.171:                              ;   in Loop: Header=BB89_2 Depth=1
	ds_read_u8 v52, v51 offset:1
; %bb.172:                              ;   in Loop: Header=BB89_2 Depth=1
	s_or_saveexec_b64 s[14:15], s[14:15]
	v_mov_b32_e32 v53, v49
	s_xor_b64 exec, exec, s[14:15]
	s_cbranch_execz .LBB89_174
; %bb.173:                              ;   in Loop: Header=BB89_2 Depth=1
	ds_read_u8 v53, v50 offset:1
	s_waitcnt lgkmcnt(1)
	v_mov_b32_e32 v52, v48
.LBB89_174:                             ;   in Loop: Header=BB89_2 Depth=1
	s_or_b64 exec, exec, s[14:15]
	v_add_u32_e32 v55, 1, v51
	v_add_u32_e32 v54, 1, v50
	v_cndmask_b32_e64 v55, v55, v51, s[12:13]
	v_cndmask_b32_e64 v54, v50, v54, s[12:13]
	v_cmp_ge_i32_e64 s[16:17], v55, v36
	s_waitcnt lgkmcnt(0)
	v_cmp_lt_u16_sdwa s[0:1], v53, v52 src0_sel:BYTE_0 src1_sel:BYTE_0
	v_cmp_gt_i32_e64 s[14:15], s33, v54
	s_or_b64 s[0:1], s[16:17], s[0:1]
	s_and_b64 s[14:15], s[14:15], s[0:1]
	s_xor_b64 s[0:1], s[14:15], -1
                                        ; implicit-def: $vgpr56
	s_and_saveexec_b64 s[16:17], s[0:1]
	s_xor_b64 s[16:17], exec, s[16:17]
; %bb.175:                              ;   in Loop: Header=BB89_2 Depth=1
	ds_read_u8 v56, v55 offset:1
; %bb.176:                              ;   in Loop: Header=BB89_2 Depth=1
	s_or_saveexec_b64 s[16:17], s[16:17]
	v_mov_b32_e32 v57, v53
	s_xor_b64 exec, exec, s[16:17]
	s_cbranch_execz .LBB89_178
; %bb.177:                              ;   in Loop: Header=BB89_2 Depth=1
	ds_read_u8 v57, v54 offset:1
	s_waitcnt lgkmcnt(1)
	v_mov_b32_e32 v56, v52
.LBB89_178:                             ;   in Loop: Header=BB89_2 Depth=1
	s_or_b64 exec, exec, s[16:17]
	v_add_u32_e32 v59, 1, v55
	v_add_u32_e32 v58, 1, v54
	v_cndmask_b32_e64 v59, v59, v55, s[14:15]
	v_cndmask_b32_e64 v58, v54, v58, s[14:15]
	v_cmp_ge_i32_e64 s[18:19], v59, v36
	s_waitcnt lgkmcnt(0)
	v_cmp_lt_u16_sdwa s[0:1], v57, v56 src0_sel:BYTE_0 src1_sel:BYTE_0
	v_cmp_gt_i32_e64 s[16:17], s33, v58
	s_or_b64 s[0:1], s[18:19], s[0:1]
	s_and_b64 s[16:17], s[16:17], s[0:1]
	s_xor_b64 s[0:1], s[16:17], -1
                                        ; implicit-def: $vgpr60
	s_and_saveexec_b64 s[18:19], s[0:1]
	s_xor_b64 s[18:19], exec, s[18:19]
; %bb.179:                              ;   in Loop: Header=BB89_2 Depth=1
	ds_read_u8 v60, v59 offset:1
; %bb.180:                              ;   in Loop: Header=BB89_2 Depth=1
	s_or_saveexec_b64 s[18:19], s[18:19]
	v_mov_b32_e32 v61, v57
	s_xor_b64 exec, exec, s[18:19]
	s_cbranch_execz .LBB89_182
; %bb.181:                              ;   in Loop: Header=BB89_2 Depth=1
	ds_read_u8 v61, v58 offset:1
	s_waitcnt lgkmcnt(1)
	v_mov_b32_e32 v60, v56
.LBB89_182:                             ;   in Loop: Header=BB89_2 Depth=1
	s_or_b64 exec, exec, s[18:19]
	v_add_u32_e32 v63, 1, v59
	v_add_u32_e32 v62, 1, v58
	v_cndmask_b32_e64 v63, v63, v59, s[16:17]
	v_cndmask_b32_e64 v62, v58, v62, s[16:17]
	v_cmp_ge_i32_e64 s[20:21], v63, v36
	s_waitcnt lgkmcnt(0)
	v_cmp_lt_u16_sdwa s[0:1], v61, v60 src0_sel:BYTE_0 src1_sel:BYTE_0
	v_cmp_gt_i32_e64 s[18:19], s33, v62
	s_or_b64 s[0:1], s[20:21], s[0:1]
	s_and_b64 s[18:19], s[18:19], s[0:1]
	s_xor_b64 s[0:1], s[18:19], -1
                                        ; implicit-def: $vgpr64
	s_and_saveexec_b64 s[20:21], s[0:1]
	s_xor_b64 s[20:21], exec, s[20:21]
; %bb.183:                              ;   in Loop: Header=BB89_2 Depth=1
	ds_read_u8 v64, v63 offset:1
; %bb.184:                              ;   in Loop: Header=BB89_2 Depth=1
	s_or_saveexec_b64 s[20:21], s[20:21]
	v_mov_b32_e32 v65, v61
	s_xor_b64 exec, exec, s[20:21]
	s_cbranch_execz .LBB89_186
; %bb.185:                              ;   in Loop: Header=BB89_2 Depth=1
	ds_read_u8 v65, v62 offset:1
	s_waitcnt lgkmcnt(1)
	v_mov_b32_e32 v64, v60
.LBB89_186:                             ;   in Loop: Header=BB89_2 Depth=1
	s_or_b64 exec, exec, s[20:21]
	v_add_u32_e32 v67, 1, v63
	v_add_u32_e32 v66, 1, v62
	v_cndmask_b32_e64 v67, v67, v63, s[18:19]
	v_cndmask_b32_e64 v66, v62, v66, s[18:19]
	v_cmp_ge_i32_e64 s[22:23], v67, v36
	s_waitcnt lgkmcnt(0)
	v_cmp_lt_u16_sdwa s[0:1], v65, v64 src0_sel:BYTE_0 src1_sel:BYTE_0
	v_cmp_gt_i32_e64 s[20:21], s33, v66
	s_or_b64 s[0:1], s[22:23], s[0:1]
	s_and_b64 s[20:21], s[20:21], s[0:1]
	s_xor_b64 s[0:1], s[20:21], -1
                                        ; implicit-def: $vgpr68
	s_and_saveexec_b64 s[22:23], s[0:1]
	s_xor_b64 s[22:23], exec, s[22:23]
; %bb.187:                              ;   in Loop: Header=BB89_2 Depth=1
	ds_read_u8 v68, v67 offset:1
; %bb.188:                              ;   in Loop: Header=BB89_2 Depth=1
	s_or_saveexec_b64 s[22:23], s[22:23]
	v_mov_b32_e32 v69, v65
	s_xor_b64 exec, exec, s[22:23]
	s_cbranch_execz .LBB89_190
; %bb.189:                              ;   in Loop: Header=BB89_2 Depth=1
	ds_read_u8 v69, v66 offset:1
	s_waitcnt lgkmcnt(1)
	v_mov_b32_e32 v68, v64
.LBB89_190:                             ;   in Loop: Header=BB89_2 Depth=1
	s_or_b64 exec, exec, s[22:23]
	v_add_u32_e32 v71, 1, v67
	v_add_u32_e32 v70, 1, v66
	v_cndmask_b32_e64 v74, v71, v67, s[20:21]
	v_cndmask_b32_e64 v70, v66, v70, s[20:21]
	v_cmp_ge_i32_e64 s[24:25], v74, v36
	s_waitcnt lgkmcnt(0)
	v_cmp_lt_u16_sdwa s[0:1], v69, v68 src0_sel:BYTE_0 src1_sel:BYTE_0
	v_cmp_gt_i32_e64 s[22:23], s33, v70
	s_or_b64 s[0:1], s[24:25], s[0:1]
	s_and_b64 s[22:23], s[22:23], s[0:1]
	s_xor_b64 s[0:1], s[22:23], -1
                                        ; implicit-def: $vgpr73
                                        ; implicit-def: $vgpr72
	s_and_saveexec_b64 s[24:25], s[0:1]
	s_xor_b64 s[24:25], exec, s[24:25]
; %bb.191:                              ;   in Loop: Header=BB89_2 Depth=1
	ds_read_u8 v73, v74 offset:1
	v_add_u32_e32 v72, 1, v74
; %bb.192:                              ;   in Loop: Header=BB89_2 Depth=1
	s_or_saveexec_b64 s[24:25], s[24:25]
	v_mov_b32_e32 v71, v74
	v_mov_b32_e32 v75, v69
	s_xor_b64 exec, exec, s[24:25]
	s_cbranch_execz .LBB89_1
; %bb.193:                              ;   in Loop: Header=BB89_2 Depth=1
	ds_read_u8 v75, v70 offset:1
	s_waitcnt lgkmcnt(1)
	v_add_u32_e32 v73, 1, v70
	v_mov_b32_e32 v71, v70
	v_mov_b32_e32 v72, v74
	;; [unrolled: 1-line block ×4, first 2 shown]
	s_branch .LBB89_1
.LBB89_194:
	v_readlane_b32 s0, v76, 1
	v_readlane_b32 s2, v76, 3
	;; [unrolled: 1-line block ×5, first 2 shown]
	s_add_u32 s0, s2, s0
	s_addc_u32 s1, s3, 0
	v_mov_b32_e32 v1, s1
	v_add_co_u32_e32 v0, vcc, s0, v0
	v_add_u16_e32 v2, v46, v40
	v_addc_co_u32_e32 v1, vcc, 0, v1, vcc
	v_add_u16_e32 v3, v47, v43
	v_add_u16_e32 v4, v48, v45
	;; [unrolled: 1-line block ×7, first 2 shown]
	global_store_byte v[0:1], v2, off
	global_store_byte v[0:1], v3, off offset:64
	global_store_byte v[0:1], v4, off offset:128
	;; [unrolled: 1-line block ×7, first 2 shown]
	s_endpgm
	.section	.rodata,"a",@progbits
	.p2align	6, 0x0
	.amdhsa_kernel _Z17sort_pairs_kernelIhLj64ELj8EN10test_utils4lessELj10EEvPKT_PS2_T2_
		.amdhsa_group_segment_fixed_size 513
		.amdhsa_private_segment_fixed_size 0
		.amdhsa_kernarg_size 20
		.amdhsa_user_sgpr_count 6
		.amdhsa_user_sgpr_private_segment_buffer 1
		.amdhsa_user_sgpr_dispatch_ptr 0
		.amdhsa_user_sgpr_queue_ptr 0
		.amdhsa_user_sgpr_kernarg_segment_ptr 1
		.amdhsa_user_sgpr_dispatch_id 0
		.amdhsa_user_sgpr_flat_scratch_init 0
		.amdhsa_user_sgpr_private_segment_size 0
		.amdhsa_uses_dynamic_stack 0
		.amdhsa_system_sgpr_private_segment_wavefront_offset 0
		.amdhsa_system_sgpr_workgroup_id_x 1
		.amdhsa_system_sgpr_workgroup_id_y 0
		.amdhsa_system_sgpr_workgroup_id_z 0
		.amdhsa_system_sgpr_workgroup_info 0
		.amdhsa_system_vgpr_workitem_id 0
		.amdhsa_next_free_vgpr 77
		.amdhsa_next_free_sgpr 96
		.amdhsa_reserve_vcc 1
		.amdhsa_reserve_flat_scratch 0
		.amdhsa_float_round_mode_32 0
		.amdhsa_float_round_mode_16_64 0
		.amdhsa_float_denorm_mode_32 3
		.amdhsa_float_denorm_mode_16_64 3
		.amdhsa_dx10_clamp 1
		.amdhsa_ieee_mode 1
		.amdhsa_fp16_overflow 0
		.amdhsa_exception_fp_ieee_invalid_op 0
		.amdhsa_exception_fp_denorm_src 0
		.amdhsa_exception_fp_ieee_div_zero 0
		.amdhsa_exception_fp_ieee_overflow 0
		.amdhsa_exception_fp_ieee_underflow 0
		.amdhsa_exception_fp_ieee_inexact 0
		.amdhsa_exception_int_div_zero 0
	.end_amdhsa_kernel
	.section	.text._Z17sort_pairs_kernelIhLj64ELj8EN10test_utils4lessELj10EEvPKT_PS2_T2_,"axG",@progbits,_Z17sort_pairs_kernelIhLj64ELj8EN10test_utils4lessELj10EEvPKT_PS2_T2_,comdat
.Lfunc_end89:
	.size	_Z17sort_pairs_kernelIhLj64ELj8EN10test_utils4lessELj10EEvPKT_PS2_T2_, .Lfunc_end89-_Z17sort_pairs_kernelIhLj64ELj8EN10test_utils4lessELj10EEvPKT_PS2_T2_
                                        ; -- End function
	.set _Z17sort_pairs_kernelIhLj64ELj8EN10test_utils4lessELj10EEvPKT_PS2_T2_.num_vgpr, 77
	.set _Z17sort_pairs_kernelIhLj64ELj8EN10test_utils4lessELj10EEvPKT_PS2_T2_.num_agpr, 0
	.set _Z17sort_pairs_kernelIhLj64ELj8EN10test_utils4lessELj10EEvPKT_PS2_T2_.numbered_sgpr, 96
	.set _Z17sort_pairs_kernelIhLj64ELj8EN10test_utils4lessELj10EEvPKT_PS2_T2_.num_named_barrier, 0
	.set _Z17sort_pairs_kernelIhLj64ELj8EN10test_utils4lessELj10EEvPKT_PS2_T2_.private_seg_size, 0
	.set _Z17sort_pairs_kernelIhLj64ELj8EN10test_utils4lessELj10EEvPKT_PS2_T2_.uses_vcc, 1
	.set _Z17sort_pairs_kernelIhLj64ELj8EN10test_utils4lessELj10EEvPKT_PS2_T2_.uses_flat_scratch, 0
	.set _Z17sort_pairs_kernelIhLj64ELj8EN10test_utils4lessELj10EEvPKT_PS2_T2_.has_dyn_sized_stack, 0
	.set _Z17sort_pairs_kernelIhLj64ELj8EN10test_utils4lessELj10EEvPKT_PS2_T2_.has_recursion, 0
	.set _Z17sort_pairs_kernelIhLj64ELj8EN10test_utils4lessELj10EEvPKT_PS2_T2_.has_indirect_call, 0
	.section	.AMDGPU.csdata,"",@progbits
; Kernel info:
; codeLenInByte = 10340
; TotalNumSgprs: 100
; NumVgprs: 77
; ScratchSize: 0
; MemoryBound: 0
; FloatMode: 240
; IeeeMode: 1
; LDSByteSize: 513 bytes/workgroup (compile time only)
; SGPRBlocks: 12
; VGPRBlocks: 19
; NumSGPRsForWavesPerEU: 100
; NumVGPRsForWavesPerEU: 77
; Occupancy: 3
; WaveLimiterHint : 0
; COMPUTE_PGM_RSRC2:SCRATCH_EN: 0
; COMPUTE_PGM_RSRC2:USER_SGPR: 6
; COMPUTE_PGM_RSRC2:TRAP_HANDLER: 0
; COMPUTE_PGM_RSRC2:TGID_X_EN: 1
; COMPUTE_PGM_RSRC2:TGID_Y_EN: 0
; COMPUTE_PGM_RSRC2:TGID_Z_EN: 0
; COMPUTE_PGM_RSRC2:TIDIG_COMP_CNT: 0
	.section	.text._Z16sort_keys_kernelIhLj128ELj1EN10test_utils4lessELj10EEvPKT_PS2_T2_,"axG",@progbits,_Z16sort_keys_kernelIhLj128ELj1EN10test_utils4lessELj10EEvPKT_PS2_T2_,comdat
	.protected	_Z16sort_keys_kernelIhLj128ELj1EN10test_utils4lessELj10EEvPKT_PS2_T2_ ; -- Begin function _Z16sort_keys_kernelIhLj128ELj1EN10test_utils4lessELj10EEvPKT_PS2_T2_
	.globl	_Z16sort_keys_kernelIhLj128ELj1EN10test_utils4lessELj10EEvPKT_PS2_T2_
	.p2align	8
	.type	_Z16sort_keys_kernelIhLj128ELj1EN10test_utils4lessELj10EEvPKT_PS2_T2_,@function
_Z16sort_keys_kernelIhLj128ELj1EN10test_utils4lessELj10EEvPKT_PS2_T2_: ; @_Z16sort_keys_kernelIhLj128ELj1EN10test_utils4lessELj10EEvPKT_PS2_T2_
; %bb.0:
	s_load_dwordx4 s[16:19], s[4:5], 0x0
	s_lshl_b32 s20, s6, 7
	v_and_b32_e32 v1, 0x7c, v0
	v_and_b32_e32 v3, 0x78, v0
	v_and_b32_e32 v5, 0x70, v0
	s_waitcnt lgkmcnt(0)
	s_add_u32 s0, s16, s20
	s_addc_u32 s1, s17, 0
	global_load_ubyte v40, v0, s[0:1]
	v_and_b32_e32 v7, 0x60, v0
	v_and_b32_e32 v9, 64, v0
	v_or_b32_e32 v19, 2, v1
	v_add_u32_e32 v2, 4, v1
	v_or_b32_e32 v23, 4, v3
	v_add_u32_e32 v4, 8, v3
	v_or_b32_e32 v27, 8, v5
	v_add_u32_e32 v6, 16, v5
	v_or_b32_e32 v31, 16, v7
	v_add_u32_e32 v8, 32, v7
	v_or_b32_e32 v35, 32, v9
	v_add_u32_e32 v10, 64, v9
	v_and_b32_e32 v20, 3, v0
	v_sub_u32_e32 v17, v2, v19
	v_and_b32_e32 v24, 7, v0
	v_sub_u32_e32 v21, v4, v23
	;; [unrolled: 2-line block ×6, first 2 shown]
	v_sub_u32_e32 v22, v24, v21
	v_sub_u32_e32 v26, v28, v25
	;; [unrolled: 1-line block ×4, first 2 shown]
	v_and_b32_e32 v16, 1, v0
	v_or_b32_e32 v13, 1, v12
	v_cmp_ge_i32_e64 s[0:1], v20, v17
	v_cmp_ge_i32_e64 s[2:3], v24, v21
	;; [unrolled: 1-line block ×5, first 2 shown]
	v_add_u32_e32 v11, -1, v16
	v_cmp_lt_i32_e32 vcc, 0, v16
	v_sub_u32_e32 v14, v13, v12
	v_cndmask_b32_e64 v17, 0, v18, s[0:1]
	v_sub_u32_e32 v18, v19, v1
	v_cndmask_b32_e64 v21, 0, v22, s[2:3]
	;; [unrolled: 2-line block ×5, first 2 shown]
	v_sub_u32_e32 v34, v35, v9
	v_cndmask_b32_e32 v11, 0, v11, vcc
	v_min_i32_e32 v15, v16, v14
	v_add_u32_e32 v19, v19, v20
	v_min_i32_e32 v20, v20, v18
	v_add_u32_e32 v23, v23, v24
	;; [unrolled: 2-line block ×5, first 2 shown]
	v_min_i32_e32 v36, v36, v34
	v_sub_u32_e64 v37, v0, 64 clamp
	v_min_i32_e32 v38, 64, v0
	s_mov_b32 s21, 0
	v_cmp_lt_i32_e32 vcc, v11, v15
	v_add_u32_e32 v16, v13, v16
	v_cmp_lt_i32_e64 s[0:1], v17, v20
	v_cmp_lt_i32_e64 s[2:3], v21, v24
	;; [unrolled: 1-line block ×6, first 2 shown]
	s_movk_i32 s22, 0x80
	v_add_u32_e32 v39, 64, v0
	s_branch .LBB90_2
.LBB90_1:                               ;   in Loop: Header=BB90_2 Depth=1
	s_or_b64 exec, exec, s[14:15]
	v_sub_u32_e32 v41, v39, v40
	ds_read_u8 v42, v40
	ds_read_u8 v43, v41
	v_cmp_le_i32_e64 s[12:13], 64, v40
	v_cmp_gt_i32_e64 s[14:15], s22, v41
	s_add_i32 s21, s21, 1
	s_waitcnt lgkmcnt(0)
	v_cmp_lt_u16_sdwa s[16:17], v43, v42 src0_sel:BYTE_0 src1_sel:BYTE_0
	s_or_b64 s[12:13], s[12:13], s[16:17]
	s_and_b64 s[12:13], s[14:15], s[12:13]
	s_cmp_eq_u32 s21, 10
	v_cndmask_b32_e64 v40, v42, v43, s[12:13]
	s_cbranch_scc1 .LBB90_30
.LBB90_2:                               ; =>This Loop Header: Depth=1
                                        ;     Child Loop BB90_4 Depth 2
                                        ;     Child Loop BB90_8 Depth 2
	;; [unrolled: 1-line block ×7, first 2 shown]
	s_waitcnt vmcnt(0)
	s_barrier
	ds_write_b8 v0, v40
	v_mov_b32_e32 v40, v11
	s_waitcnt lgkmcnt(0)
	s_barrier
	s_and_saveexec_b64 s[14:15], vcc
	s_cbranch_execz .LBB90_6
; %bb.3:                                ;   in Loop: Header=BB90_2 Depth=1
	s_mov_b64 s[16:17], 0
	v_mov_b32_e32 v40, v11
	v_mov_b32_e32 v41, v15
.LBB90_4:                               ;   Parent Loop BB90_2 Depth=1
                                        ; =>  This Inner Loop Header: Depth=2
	v_sub_u32_e32 v42, v41, v40
	v_lshrrev_b32_e32 v42, 1, v42
	v_add_u32_e32 v42, v42, v40
	v_add_u32_e32 v43, v12, v42
	v_xad_u32 v44, v42, -1, v16
	ds_read_u8 v43, v43
	ds_read_u8 v44, v44
	v_add_u32_e32 v45, 1, v42
	s_waitcnt lgkmcnt(0)
	v_cmp_lt_u16_e64 s[12:13], v44, v43
	v_cndmask_b32_e64 v41, v41, v42, s[12:13]
	v_cndmask_b32_e64 v40, v45, v40, s[12:13]
	v_cmp_ge_i32_e64 s[12:13], v40, v41
	s_or_b64 s[16:17], s[12:13], s[16:17]
	s_andn2_b64 exec, exec, s[16:17]
	s_cbranch_execnz .LBB90_4
; %bb.5:                                ;   in Loop: Header=BB90_2 Depth=1
	s_or_b64 exec, exec, s[16:17]
.LBB90_6:                               ;   in Loop: Header=BB90_2 Depth=1
	s_or_b64 exec, exec, s[14:15]
	v_add_u32_e32 v42, v12, v40
	v_sub_u32_e32 v41, v16, v40
	ds_read_u8 v42, v42
	ds_read_u8 v43, v41
	v_cmp_ge_i32_e64 s[12:13], v40, v14
	v_cmp_ge_i32_e64 s[14:15], v13, v41
	s_waitcnt lgkmcnt(0)
	s_barrier
	v_cmp_lt_u16_sdwa s[16:17], v43, v42 src0_sel:BYTE_0 src1_sel:BYTE_0
	s_or_b64 s[12:13], s[12:13], s[16:17]
	s_and_b64 s[12:13], s[14:15], s[12:13]
	v_cndmask_b32_e64 v40, v42, v43, s[12:13]
	ds_write_b8 v0, v40
	v_mov_b32_e32 v40, v17
	s_waitcnt lgkmcnt(0)
	s_barrier
	s_and_saveexec_b64 s[14:15], s[0:1]
	s_cbranch_execz .LBB90_10
; %bb.7:                                ;   in Loop: Header=BB90_2 Depth=1
	s_mov_b64 s[16:17], 0
	v_mov_b32_e32 v40, v17
	v_mov_b32_e32 v41, v20
.LBB90_8:                               ;   Parent Loop BB90_2 Depth=1
                                        ; =>  This Inner Loop Header: Depth=2
	v_sub_u32_e32 v42, v41, v40
	v_lshrrev_b32_e32 v42, 1, v42
	v_add_u32_e32 v42, v42, v40
	v_add_u32_e32 v43, v1, v42
	v_xad_u32 v44, v42, -1, v19
	ds_read_u8 v43, v43
	ds_read_u8 v44, v44
	v_add_u32_e32 v45, 1, v42
	s_waitcnt lgkmcnt(0)
	v_cmp_lt_u16_e64 s[12:13], v44, v43
	v_cndmask_b32_e64 v41, v41, v42, s[12:13]
	v_cndmask_b32_e64 v40, v45, v40, s[12:13]
	v_cmp_ge_i32_e64 s[12:13], v40, v41
	s_or_b64 s[16:17], s[12:13], s[16:17]
	s_andn2_b64 exec, exec, s[16:17]
	s_cbranch_execnz .LBB90_8
; %bb.9:                                ;   in Loop: Header=BB90_2 Depth=1
	s_or_b64 exec, exec, s[16:17]
.LBB90_10:                              ;   in Loop: Header=BB90_2 Depth=1
	s_or_b64 exec, exec, s[14:15]
	v_add_u32_e32 v42, v1, v40
	v_sub_u32_e32 v41, v19, v40
	ds_read_u8 v42, v42
	ds_read_u8 v43, v41
	v_cmp_ge_i32_e64 s[12:13], v40, v18
	v_cmp_gt_i32_e64 s[14:15], v2, v41
	s_waitcnt lgkmcnt(0)
	s_barrier
	v_cmp_lt_u16_sdwa s[16:17], v43, v42 src0_sel:BYTE_0 src1_sel:BYTE_0
	s_or_b64 s[12:13], s[12:13], s[16:17]
	s_and_b64 s[12:13], s[14:15], s[12:13]
	v_cndmask_b32_e64 v40, v42, v43, s[12:13]
	ds_write_b8 v0, v40
	v_mov_b32_e32 v40, v21
	s_waitcnt lgkmcnt(0)
	s_barrier
	s_and_saveexec_b64 s[14:15], s[2:3]
	s_cbranch_execz .LBB90_14
; %bb.11:                               ;   in Loop: Header=BB90_2 Depth=1
	s_mov_b64 s[16:17], 0
	v_mov_b32_e32 v40, v21
	v_mov_b32_e32 v41, v24
.LBB90_12:                              ;   Parent Loop BB90_2 Depth=1
                                        ; =>  This Inner Loop Header: Depth=2
	v_sub_u32_e32 v42, v41, v40
	v_lshrrev_b32_e32 v42, 1, v42
	v_add_u32_e32 v42, v42, v40
	v_add_u32_e32 v43, v3, v42
	v_xad_u32 v44, v42, -1, v23
	ds_read_u8 v43, v43
	ds_read_u8 v44, v44
	v_add_u32_e32 v45, 1, v42
	s_waitcnt lgkmcnt(0)
	v_cmp_lt_u16_e64 s[12:13], v44, v43
	v_cndmask_b32_e64 v41, v41, v42, s[12:13]
	v_cndmask_b32_e64 v40, v45, v40, s[12:13]
	v_cmp_ge_i32_e64 s[12:13], v40, v41
	s_or_b64 s[16:17], s[12:13], s[16:17]
	s_andn2_b64 exec, exec, s[16:17]
	s_cbranch_execnz .LBB90_12
; %bb.13:                               ;   in Loop: Header=BB90_2 Depth=1
	s_or_b64 exec, exec, s[16:17]
.LBB90_14:                              ;   in Loop: Header=BB90_2 Depth=1
	s_or_b64 exec, exec, s[14:15]
	v_add_u32_e32 v42, v3, v40
	v_sub_u32_e32 v41, v23, v40
	ds_read_u8 v42, v42
	ds_read_u8 v43, v41
	v_cmp_ge_i32_e64 s[12:13], v40, v22
	v_cmp_gt_i32_e64 s[14:15], v4, v41
	s_waitcnt lgkmcnt(0)
	s_barrier
	v_cmp_lt_u16_sdwa s[16:17], v43, v42 src0_sel:BYTE_0 src1_sel:BYTE_0
	s_or_b64 s[12:13], s[12:13], s[16:17]
	s_and_b64 s[12:13], s[14:15], s[12:13]
	v_cndmask_b32_e64 v40, v42, v43, s[12:13]
	ds_write_b8 v0, v40
	v_mov_b32_e32 v40, v25
	s_waitcnt lgkmcnt(0)
	s_barrier
	s_and_saveexec_b64 s[14:15], s[4:5]
	s_cbranch_execz .LBB90_18
; %bb.15:                               ;   in Loop: Header=BB90_2 Depth=1
	s_mov_b64 s[16:17], 0
	v_mov_b32_e32 v40, v25
	v_mov_b32_e32 v41, v28
.LBB90_16:                              ;   Parent Loop BB90_2 Depth=1
                                        ; =>  This Inner Loop Header: Depth=2
	v_sub_u32_e32 v42, v41, v40
	v_lshrrev_b32_e32 v42, 1, v42
	v_add_u32_e32 v42, v42, v40
	v_add_u32_e32 v43, v5, v42
	v_xad_u32 v44, v42, -1, v27
	ds_read_u8 v43, v43
	ds_read_u8 v44, v44
	v_add_u32_e32 v45, 1, v42
	s_waitcnt lgkmcnt(0)
	v_cmp_lt_u16_e64 s[12:13], v44, v43
	v_cndmask_b32_e64 v41, v41, v42, s[12:13]
	v_cndmask_b32_e64 v40, v45, v40, s[12:13]
	v_cmp_ge_i32_e64 s[12:13], v40, v41
	s_or_b64 s[16:17], s[12:13], s[16:17]
	s_andn2_b64 exec, exec, s[16:17]
	s_cbranch_execnz .LBB90_16
; %bb.17:                               ;   in Loop: Header=BB90_2 Depth=1
	s_or_b64 exec, exec, s[16:17]
.LBB90_18:                              ;   in Loop: Header=BB90_2 Depth=1
	;; [unrolled: 44-line block ×4, first 2 shown]
	s_or_b64 exec, exec, s[14:15]
	v_add_u32_e32 v42, v9, v40
	v_sub_u32_e32 v41, v35, v40
	ds_read_u8 v42, v42
	ds_read_u8 v43, v41
	v_cmp_ge_i32_e64 s[12:13], v40, v34
	v_cmp_gt_i32_e64 s[14:15], v10, v41
	s_waitcnt lgkmcnt(0)
	s_barrier
	v_cmp_lt_u16_sdwa s[16:17], v43, v42 src0_sel:BYTE_0 src1_sel:BYTE_0
	s_or_b64 s[12:13], s[12:13], s[16:17]
	s_and_b64 s[12:13], s[14:15], s[12:13]
	v_cndmask_b32_e64 v40, v42, v43, s[12:13]
	ds_write_b8 v0, v40
	v_mov_b32_e32 v40, v37
	s_waitcnt lgkmcnt(0)
	s_barrier
	s_and_saveexec_b64 s[14:15], s[10:11]
	s_cbranch_execz .LBB90_1
; %bb.27:                               ;   in Loop: Header=BB90_2 Depth=1
	s_mov_b64 s[16:17], 0
	v_mov_b32_e32 v40, v37
	v_mov_b32_e32 v41, v38
.LBB90_28:                              ;   Parent Loop BB90_2 Depth=1
                                        ; =>  This Inner Loop Header: Depth=2
	v_sub_u32_e32 v42, v41, v40
	v_lshrrev_b32_e32 v42, 1, v42
	v_add_u32_e32 v42, v42, v40
	v_xad_u32 v43, v42, -1, v39
	ds_read_u8 v44, v42
	ds_read_u8 v43, v43
	v_add_u32_e32 v45, 1, v42
	s_waitcnt lgkmcnt(0)
	v_cmp_lt_u16_e64 s[12:13], v43, v44
	v_cndmask_b32_e64 v41, v41, v42, s[12:13]
	v_cndmask_b32_e64 v40, v45, v40, s[12:13]
	v_cmp_ge_i32_e64 s[12:13], v40, v41
	s_or_b64 s[16:17], s[12:13], s[16:17]
	s_andn2_b64 exec, exec, s[16:17]
	s_cbranch_execnz .LBB90_28
; %bb.29:                               ;   in Loop: Header=BB90_2 Depth=1
	s_or_b64 exec, exec, s[16:17]
	s_branch .LBB90_1
.LBB90_30:
	s_add_u32 s0, s18, s20
	s_addc_u32 s1, s19, 0
	v_mov_b32_e32 v1, s1
	v_add_co_u32_e32 v0, vcc, s0, v0
	v_addc_co_u32_e32 v1, vcc, 0, v1, vcc
	global_store_byte v[0:1], v40, off
	s_endpgm
	.section	.rodata,"a",@progbits
	.p2align	6, 0x0
	.amdhsa_kernel _Z16sort_keys_kernelIhLj128ELj1EN10test_utils4lessELj10EEvPKT_PS2_T2_
		.amdhsa_group_segment_fixed_size 129
		.amdhsa_private_segment_fixed_size 0
		.amdhsa_kernarg_size 20
		.amdhsa_user_sgpr_count 6
		.amdhsa_user_sgpr_private_segment_buffer 1
		.amdhsa_user_sgpr_dispatch_ptr 0
		.amdhsa_user_sgpr_queue_ptr 0
		.amdhsa_user_sgpr_kernarg_segment_ptr 1
		.amdhsa_user_sgpr_dispatch_id 0
		.amdhsa_user_sgpr_flat_scratch_init 0
		.amdhsa_user_sgpr_private_segment_size 0
		.amdhsa_uses_dynamic_stack 0
		.amdhsa_system_sgpr_private_segment_wavefront_offset 0
		.amdhsa_system_sgpr_workgroup_id_x 1
		.amdhsa_system_sgpr_workgroup_id_y 0
		.amdhsa_system_sgpr_workgroup_id_z 0
		.amdhsa_system_sgpr_workgroup_info 0
		.amdhsa_system_vgpr_workitem_id 0
		.amdhsa_next_free_vgpr 46
		.amdhsa_next_free_sgpr 23
		.amdhsa_reserve_vcc 1
		.amdhsa_reserve_flat_scratch 0
		.amdhsa_float_round_mode_32 0
		.amdhsa_float_round_mode_16_64 0
		.amdhsa_float_denorm_mode_32 3
		.amdhsa_float_denorm_mode_16_64 3
		.amdhsa_dx10_clamp 1
		.amdhsa_ieee_mode 1
		.amdhsa_fp16_overflow 0
		.amdhsa_exception_fp_ieee_invalid_op 0
		.amdhsa_exception_fp_denorm_src 0
		.amdhsa_exception_fp_ieee_div_zero 0
		.amdhsa_exception_fp_ieee_overflow 0
		.amdhsa_exception_fp_ieee_underflow 0
		.amdhsa_exception_fp_ieee_inexact 0
		.amdhsa_exception_int_div_zero 0
	.end_amdhsa_kernel
	.section	.text._Z16sort_keys_kernelIhLj128ELj1EN10test_utils4lessELj10EEvPKT_PS2_T2_,"axG",@progbits,_Z16sort_keys_kernelIhLj128ELj1EN10test_utils4lessELj10EEvPKT_PS2_T2_,comdat
.Lfunc_end90:
	.size	_Z16sort_keys_kernelIhLj128ELj1EN10test_utils4lessELj10EEvPKT_PS2_T2_, .Lfunc_end90-_Z16sort_keys_kernelIhLj128ELj1EN10test_utils4lessELj10EEvPKT_PS2_T2_
                                        ; -- End function
	.set _Z16sort_keys_kernelIhLj128ELj1EN10test_utils4lessELj10EEvPKT_PS2_T2_.num_vgpr, 46
	.set _Z16sort_keys_kernelIhLj128ELj1EN10test_utils4lessELj10EEvPKT_PS2_T2_.num_agpr, 0
	.set _Z16sort_keys_kernelIhLj128ELj1EN10test_utils4lessELj10EEvPKT_PS2_T2_.numbered_sgpr, 23
	.set _Z16sort_keys_kernelIhLj128ELj1EN10test_utils4lessELj10EEvPKT_PS2_T2_.num_named_barrier, 0
	.set _Z16sort_keys_kernelIhLj128ELj1EN10test_utils4lessELj10EEvPKT_PS2_T2_.private_seg_size, 0
	.set _Z16sort_keys_kernelIhLj128ELj1EN10test_utils4lessELj10EEvPKT_PS2_T2_.uses_vcc, 1
	.set _Z16sort_keys_kernelIhLj128ELj1EN10test_utils4lessELj10EEvPKT_PS2_T2_.uses_flat_scratch, 0
	.set _Z16sort_keys_kernelIhLj128ELj1EN10test_utils4lessELj10EEvPKT_PS2_T2_.has_dyn_sized_stack, 0
	.set _Z16sort_keys_kernelIhLj128ELj1EN10test_utils4lessELj10EEvPKT_PS2_T2_.has_recursion, 0
	.set _Z16sort_keys_kernelIhLj128ELj1EN10test_utils4lessELj10EEvPKT_PS2_T2_.has_indirect_call, 0
	.section	.AMDGPU.csdata,"",@progbits
; Kernel info:
; codeLenInByte = 1956
; TotalNumSgprs: 27
; NumVgprs: 46
; ScratchSize: 0
; MemoryBound: 0
; FloatMode: 240
; IeeeMode: 1
; LDSByteSize: 129 bytes/workgroup (compile time only)
; SGPRBlocks: 3
; VGPRBlocks: 11
; NumSGPRsForWavesPerEU: 27
; NumVGPRsForWavesPerEU: 46
; Occupancy: 5
; WaveLimiterHint : 0
; COMPUTE_PGM_RSRC2:SCRATCH_EN: 0
; COMPUTE_PGM_RSRC2:USER_SGPR: 6
; COMPUTE_PGM_RSRC2:TRAP_HANDLER: 0
; COMPUTE_PGM_RSRC2:TGID_X_EN: 1
; COMPUTE_PGM_RSRC2:TGID_Y_EN: 0
; COMPUTE_PGM_RSRC2:TGID_Z_EN: 0
; COMPUTE_PGM_RSRC2:TIDIG_COMP_CNT: 0
	.section	.text._Z17sort_pairs_kernelIhLj128ELj1EN10test_utils4lessELj10EEvPKT_PS2_T2_,"axG",@progbits,_Z17sort_pairs_kernelIhLj128ELj1EN10test_utils4lessELj10EEvPKT_PS2_T2_,comdat
	.protected	_Z17sort_pairs_kernelIhLj128ELj1EN10test_utils4lessELj10EEvPKT_PS2_T2_ ; -- Begin function _Z17sort_pairs_kernelIhLj128ELj1EN10test_utils4lessELj10EEvPKT_PS2_T2_
	.globl	_Z17sort_pairs_kernelIhLj128ELj1EN10test_utils4lessELj10EEvPKT_PS2_T2_
	.p2align	8
	.type	_Z17sort_pairs_kernelIhLj128ELj1EN10test_utils4lessELj10EEvPKT_PS2_T2_,@function
_Z17sort_pairs_kernelIhLj128ELj1EN10test_utils4lessELj10EEvPKT_PS2_T2_: ; @_Z17sort_pairs_kernelIhLj128ELj1EN10test_utils4lessELj10EEvPKT_PS2_T2_
; %bb.0:
	s_load_dwordx4 s[16:19], s[4:5], 0x0
	s_lshl_b32 s20, s6, 7
	v_and_b32_e32 v1, 0x7c, v0
	v_and_b32_e32 v4, 0x60, v0
	;; [unrolled: 1-line block ×3, first 2 shown]
	s_waitcnt lgkmcnt(0)
	s_add_u32 s0, s16, s20
	s_addc_u32 s1, s17, 0
	global_load_ubyte v39, v0, s[0:1]
	v_or_b32_e32 v9, 2, v1
	v_add_u32_e32 v10, 4, v1
	v_and_b32_e32 v28, 3, v0
	v_and_b32_e32 v2, 0x78, v0
	;; [unrolled: 1-line block ×4, first 2 shown]
	v_or_b32_e32 v15, 16, v4
	v_add_u32_e32 v16, 32, v4
	v_or_b32_e32 v19, 1, v6
	v_sub_u32_e32 v27, v10, v9
	v_and_b32_e32 v36, 31, v0
	v_and_b32_e32 v26, 1, v0
	v_or_b32_e32 v11, 4, v2
	v_add_u32_e32 v12, 8, v2
	v_or_b32_e32 v13, 8, v3
	v_add_u32_e32 v14, 16, v3
	;; [unrolled: 2-line block ×3, first 2 shown]
	v_sub_u32_e32 v38, v16, v15
	v_sub_u32_e32 v33, v19, v6
	;; [unrolled: 1-line block ×3, first 2 shown]
	v_cmp_ge_i32_e64 s[2:3], v28, v27
	v_and_b32_e32 v29, 7, v0
	v_and_b32_e32 v30, 15, v0
	;; [unrolled: 1-line block ×3, first 2 shown]
	v_add_u32_e32 v20, -1, v26
	v_sub_u32_e32 v31, v12, v11
	v_sub_u32_e32 v32, v14, v13
	v_sub_u32_e32 v40, v18, v17
	v_cmp_lt_i32_e64 s[0:1], 0, v26
	v_add_u32_e32 v21, v19, v26
	v_sub_u32_e32 v42, v15, v4
	v_min_i32_e32 v26, v26, v33
	v_sub_u32_e32 v46, v36, v38
	v_cndmask_b32_e64 v33, 0, v43, s[2:3]
	v_cmp_ge_i32_e64 s[2:3], v36, v38
	v_sub_u32_e32 v34, v9, v1
	v_sub_u32_e32 v35, v11, v2
	;; [unrolled: 1-line block ×3, first 2 shown]
	v_add_u32_e32 v25, v15, v36
	v_sub_u32_e32 v44, v29, v31
	v_cmp_ge_i32_e64 s[4:5], v29, v31
	v_sub_u32_e32 v45, v30, v32
	v_cmp_ge_i32_e64 s[6:7], v30, v32
	v_sub_u32_e32 v32, v17, v5
	v_sub_u32_e32 v47, v37, v40
	v_min_i32_e32 v31, v36, v42
	v_cndmask_b32_e64 v36, 0, v46, s[2:3]
	v_cmp_ge_i32_e64 s[2:3], v37, v40
	v_sub_u32_e64 v7, v0, 64 clamp
	v_min_i32_e32 v8, 64, v0
	v_cndmask_b32_e64 v20, 0, v20, s[0:1]
	v_add_u32_e32 v22, v9, v28
	v_add_u32_e32 v23, v11, v29
	;; [unrolled: 1-line block ×4, first 2 shown]
	v_min_i32_e32 v28, v28, v34
	v_min_i32_e32 v29, v29, v35
	;; [unrolled: 1-line block ×4, first 2 shown]
	v_cndmask_b32_e64 v34, 0, v44, s[4:5]
	v_cndmask_b32_e64 v35, 0, v45, s[6:7]
	;; [unrolled: 1-line block ×3, first 2 shown]
	s_mov_b32 s21, 0
	s_movk_i32 s22, 0x80
	v_cmp_lt_i32_e32 vcc, v7, v8
	v_cmp_lt_i32_e64 s[0:1], v20, v26
	v_cmp_lt_i32_e64 s[2:3], v33, v28
	;; [unrolled: 1-line block ×6, first 2 shown]
	v_add_u32_e32 v38, 64, v0
	s_waitcnt vmcnt(0)
	v_add_u16_e32 v40, 1, v39
	s_branch .LBB91_2
.LBB91_1:                               ;   in Loop: Header=BB91_2 Depth=1
	s_or_b64 exec, exec, s[14:15]
	v_sub_u32_e32 v42, v38, v41
	ds_read_u8 v39, v41
	ds_read_u8 v43, v42
	v_cmp_le_i32_e64 s[12:13], 64, v41
	v_cmp_gt_i32_e64 s[14:15], s22, v42
	s_waitcnt lgkmcnt(0)
	s_barrier
	v_cmp_lt_u16_sdwa s[16:17], v43, v39 src0_sel:BYTE_0 src1_sel:BYTE_0
	s_or_b64 s[12:13], s[12:13], s[16:17]
	s_and_b64 s[12:13], s[14:15], s[12:13]
	v_cndmask_b32_e64 v41, v41, v42, s[12:13]
	ds_write_b8 v0, v40
	s_waitcnt lgkmcnt(0)
	s_barrier
	ds_read_u8 v40, v41
	s_add_i32 s21, s21, 1
	v_cndmask_b32_e64 v39, v39, v43, s[12:13]
	s_cmp_eq_u32 s21, 10
	s_cbranch_scc1 .LBB91_30
.LBB91_2:                               ; =>This Loop Header: Depth=1
                                        ;     Child Loop BB91_4 Depth 2
                                        ;     Child Loop BB91_8 Depth 2
	;; [unrolled: 1-line block ×7, first 2 shown]
	s_waitcnt lgkmcnt(0)
	s_barrier
	ds_write_b8 v0, v39
	v_mov_b32_e32 v39, v20
	s_waitcnt lgkmcnt(0)
	s_barrier
	s_and_saveexec_b64 s[14:15], s[0:1]
	s_cbranch_execz .LBB91_6
; %bb.3:                                ;   in Loop: Header=BB91_2 Depth=1
	s_mov_b64 s[16:17], 0
	v_mov_b32_e32 v39, v20
	v_mov_b32_e32 v41, v26
.LBB91_4:                               ;   Parent Loop BB91_2 Depth=1
                                        ; =>  This Inner Loop Header: Depth=2
	v_sub_u32_e32 v42, v41, v39
	v_lshrrev_b32_e32 v42, 1, v42
	v_add_u32_e32 v42, v42, v39
	v_add_u32_e32 v43, v6, v42
	v_xad_u32 v44, v42, -1, v21
	ds_read_u8 v43, v43
	ds_read_u8 v44, v44
	v_add_u32_e32 v45, 1, v42
	s_waitcnt lgkmcnt(0)
	v_cmp_lt_u16_e64 s[12:13], v44, v43
	v_cndmask_b32_e64 v41, v41, v42, s[12:13]
	v_cndmask_b32_e64 v39, v45, v39, s[12:13]
	v_cmp_ge_i32_e64 s[12:13], v39, v41
	s_or_b64 s[16:17], s[12:13], s[16:17]
	s_andn2_b64 exec, exec, s[16:17]
	s_cbranch_execnz .LBB91_4
; %bb.5:                                ;   in Loop: Header=BB91_2 Depth=1
	s_or_b64 exec, exec, s[16:17]
.LBB91_6:                               ;   in Loop: Header=BB91_2 Depth=1
	s_or_b64 exec, exec, s[14:15]
	v_add_u32_e32 v41, v39, v6
	v_sub_u32_e32 v39, v21, v39
	ds_read_u8 v42, v41
	ds_read_u8 v43, v39
	v_cmp_le_i32_e64 s[14:15], v19, v41
	v_cmp_ge_i32_e64 s[12:13], v19, v39
	s_waitcnt lgkmcnt(0)
	s_barrier
	v_cmp_lt_u16_sdwa s[16:17], v43, v42 src0_sel:BYTE_0 src1_sel:BYTE_0
	s_or_b64 s[14:15], s[14:15], s[16:17]
	s_and_b64 s[12:13], s[12:13], s[14:15]
	v_cndmask_b32_e64 v39, v41, v39, s[12:13]
	ds_write_b8 v0, v40
	s_waitcnt lgkmcnt(0)
	s_barrier
	ds_read_u8 v39, v39
	v_cndmask_b32_e64 v42, v42, v43, s[12:13]
	v_mov_b32_e32 v40, v33
	s_waitcnt lgkmcnt(0)
	s_barrier
	ds_write_b8 v0, v42
	s_waitcnt lgkmcnt(0)
	s_barrier
	s_and_saveexec_b64 s[14:15], s[2:3]
	s_cbranch_execz .LBB91_10
; %bb.7:                                ;   in Loop: Header=BB91_2 Depth=1
	s_mov_b64 s[16:17], 0
	v_mov_b32_e32 v40, v33
	v_mov_b32_e32 v41, v28
.LBB91_8:                               ;   Parent Loop BB91_2 Depth=1
                                        ; =>  This Inner Loop Header: Depth=2
	v_sub_u32_e32 v42, v41, v40
	v_lshrrev_b32_e32 v42, 1, v42
	v_add_u32_e32 v42, v42, v40
	v_add_u32_e32 v43, v1, v42
	v_xad_u32 v44, v42, -1, v22
	ds_read_u8 v43, v43
	ds_read_u8 v44, v44
	v_add_u32_e32 v45, 1, v42
	s_waitcnt lgkmcnt(0)
	v_cmp_lt_u16_e64 s[12:13], v44, v43
	v_cndmask_b32_e64 v41, v41, v42, s[12:13]
	v_cndmask_b32_e64 v40, v45, v40, s[12:13]
	v_cmp_ge_i32_e64 s[12:13], v40, v41
	s_or_b64 s[16:17], s[12:13], s[16:17]
	s_andn2_b64 exec, exec, s[16:17]
	s_cbranch_execnz .LBB91_8
; %bb.9:                                ;   in Loop: Header=BB91_2 Depth=1
	s_or_b64 exec, exec, s[16:17]
.LBB91_10:                              ;   in Loop: Header=BB91_2 Depth=1
	s_or_b64 exec, exec, s[14:15]
	v_add_u32_e32 v41, v40, v1
	v_sub_u32_e32 v40, v22, v40
	ds_read_u8 v42, v41
	ds_read_u8 v43, v40
	v_cmp_le_i32_e64 s[14:15], v9, v41
	v_cmp_gt_i32_e64 s[12:13], v10, v40
	s_waitcnt lgkmcnt(0)
	s_barrier
	v_cmp_lt_u16_sdwa s[16:17], v43, v42 src0_sel:BYTE_0 src1_sel:BYTE_0
	s_or_b64 s[14:15], s[14:15], s[16:17]
	s_and_b64 s[12:13], s[12:13], s[14:15]
	v_cndmask_b32_e64 v40, v41, v40, s[12:13]
	ds_write_b8 v0, v39
	s_waitcnt lgkmcnt(0)
	s_barrier
	ds_read_u8 v39, v40
	v_cndmask_b32_e64 v42, v42, v43, s[12:13]
	v_mov_b32_e32 v40, v34
	s_waitcnt lgkmcnt(0)
	s_barrier
	ds_write_b8 v0, v42
	s_waitcnt lgkmcnt(0)
	s_barrier
	s_and_saveexec_b64 s[14:15], s[4:5]
	s_cbranch_execz .LBB91_14
; %bb.11:                               ;   in Loop: Header=BB91_2 Depth=1
	s_mov_b64 s[16:17], 0
	v_mov_b32_e32 v40, v34
	v_mov_b32_e32 v41, v29
.LBB91_12:                              ;   Parent Loop BB91_2 Depth=1
                                        ; =>  This Inner Loop Header: Depth=2
	v_sub_u32_e32 v42, v41, v40
	v_lshrrev_b32_e32 v42, 1, v42
	v_add_u32_e32 v42, v42, v40
	v_add_u32_e32 v43, v2, v42
	v_xad_u32 v44, v42, -1, v23
	ds_read_u8 v43, v43
	ds_read_u8 v44, v44
	v_add_u32_e32 v45, 1, v42
	s_waitcnt lgkmcnt(0)
	v_cmp_lt_u16_e64 s[12:13], v44, v43
	v_cndmask_b32_e64 v41, v41, v42, s[12:13]
	v_cndmask_b32_e64 v40, v45, v40, s[12:13]
	v_cmp_ge_i32_e64 s[12:13], v40, v41
	s_or_b64 s[16:17], s[12:13], s[16:17]
	s_andn2_b64 exec, exec, s[16:17]
	s_cbranch_execnz .LBB91_12
; %bb.13:                               ;   in Loop: Header=BB91_2 Depth=1
	s_or_b64 exec, exec, s[16:17]
.LBB91_14:                              ;   in Loop: Header=BB91_2 Depth=1
	s_or_b64 exec, exec, s[14:15]
	v_add_u32_e32 v41, v40, v2
	v_sub_u32_e32 v40, v23, v40
	ds_read_u8 v42, v41
	ds_read_u8 v43, v40
	v_cmp_le_i32_e64 s[14:15], v11, v41
	v_cmp_gt_i32_e64 s[12:13], v12, v40
	s_waitcnt lgkmcnt(0)
	s_barrier
	v_cmp_lt_u16_sdwa s[16:17], v43, v42 src0_sel:BYTE_0 src1_sel:BYTE_0
	s_or_b64 s[14:15], s[14:15], s[16:17]
	s_and_b64 s[12:13], s[12:13], s[14:15]
	v_cndmask_b32_e64 v40, v41, v40, s[12:13]
	ds_write_b8 v0, v39
	s_waitcnt lgkmcnt(0)
	s_barrier
	ds_read_u8 v39, v40
	v_cndmask_b32_e64 v42, v42, v43, s[12:13]
	v_mov_b32_e32 v40, v35
	s_waitcnt lgkmcnt(0)
	s_barrier
	ds_write_b8 v0, v42
	s_waitcnt lgkmcnt(0)
	s_barrier
	s_and_saveexec_b64 s[14:15], s[6:7]
	s_cbranch_execz .LBB91_18
; %bb.15:                               ;   in Loop: Header=BB91_2 Depth=1
	s_mov_b64 s[16:17], 0
	v_mov_b32_e32 v40, v35
	v_mov_b32_e32 v41, v30
.LBB91_16:                              ;   Parent Loop BB91_2 Depth=1
                                        ; =>  This Inner Loop Header: Depth=2
	v_sub_u32_e32 v42, v41, v40
	v_lshrrev_b32_e32 v42, 1, v42
	v_add_u32_e32 v42, v42, v40
	v_add_u32_e32 v43, v3, v42
	v_xad_u32 v44, v42, -1, v24
	ds_read_u8 v43, v43
	ds_read_u8 v44, v44
	v_add_u32_e32 v45, 1, v42
	s_waitcnt lgkmcnt(0)
	v_cmp_lt_u16_e64 s[12:13], v44, v43
	v_cndmask_b32_e64 v41, v41, v42, s[12:13]
	v_cndmask_b32_e64 v40, v45, v40, s[12:13]
	v_cmp_ge_i32_e64 s[12:13], v40, v41
	s_or_b64 s[16:17], s[12:13], s[16:17]
	s_andn2_b64 exec, exec, s[16:17]
	s_cbranch_execnz .LBB91_16
; %bb.17:                               ;   in Loop: Header=BB91_2 Depth=1
	s_or_b64 exec, exec, s[16:17]
.LBB91_18:                              ;   in Loop: Header=BB91_2 Depth=1
	s_or_b64 exec, exec, s[14:15]
	v_add_u32_e32 v41, v40, v3
	v_sub_u32_e32 v40, v24, v40
	ds_read_u8 v42, v41
	ds_read_u8 v43, v40
	v_cmp_le_i32_e64 s[14:15], v13, v41
	v_cmp_gt_i32_e64 s[12:13], v14, v40
	s_waitcnt lgkmcnt(0)
	s_barrier
	v_cmp_lt_u16_sdwa s[16:17], v43, v42 src0_sel:BYTE_0 src1_sel:BYTE_0
	s_or_b64 s[14:15], s[14:15], s[16:17]
	s_and_b64 s[12:13], s[12:13], s[14:15]
	v_cndmask_b32_e64 v40, v41, v40, s[12:13]
	ds_write_b8 v0, v39
	s_waitcnt lgkmcnt(0)
	s_barrier
	ds_read_u8 v39, v40
	v_cndmask_b32_e64 v42, v42, v43, s[12:13]
	v_mov_b32_e32 v40, v36
	s_waitcnt lgkmcnt(0)
	s_barrier
	ds_write_b8 v0, v42
	s_waitcnt lgkmcnt(0)
	s_barrier
	s_and_saveexec_b64 s[14:15], s[8:9]
	s_cbranch_execz .LBB91_22
; %bb.19:                               ;   in Loop: Header=BB91_2 Depth=1
	s_mov_b64 s[16:17], 0
	v_mov_b32_e32 v40, v36
	v_mov_b32_e32 v41, v31
.LBB91_20:                              ;   Parent Loop BB91_2 Depth=1
                                        ; =>  This Inner Loop Header: Depth=2
	v_sub_u32_e32 v42, v41, v40
	v_lshrrev_b32_e32 v42, 1, v42
	v_add_u32_e32 v42, v42, v40
	v_add_u32_e32 v43, v4, v42
	v_xad_u32 v44, v42, -1, v25
	ds_read_u8 v43, v43
	ds_read_u8 v44, v44
	v_add_u32_e32 v45, 1, v42
	s_waitcnt lgkmcnt(0)
	v_cmp_lt_u16_e64 s[12:13], v44, v43
	v_cndmask_b32_e64 v41, v41, v42, s[12:13]
	v_cndmask_b32_e64 v40, v45, v40, s[12:13]
	v_cmp_ge_i32_e64 s[12:13], v40, v41
	s_or_b64 s[16:17], s[12:13], s[16:17]
	s_andn2_b64 exec, exec, s[16:17]
	s_cbranch_execnz .LBB91_20
; %bb.21:                               ;   in Loop: Header=BB91_2 Depth=1
	s_or_b64 exec, exec, s[16:17]
.LBB91_22:                              ;   in Loop: Header=BB91_2 Depth=1
	s_or_b64 exec, exec, s[14:15]
	v_add_u32_e32 v41, v40, v4
	v_sub_u32_e32 v40, v25, v40
	ds_read_u8 v42, v41
	ds_read_u8 v43, v40
	v_cmp_le_i32_e64 s[14:15], v15, v41
	v_cmp_gt_i32_e64 s[12:13], v16, v40
	s_waitcnt lgkmcnt(0)
	s_barrier
	v_cmp_lt_u16_sdwa s[16:17], v43, v42 src0_sel:BYTE_0 src1_sel:BYTE_0
	s_or_b64 s[14:15], s[14:15], s[16:17]
	s_and_b64 s[12:13], s[12:13], s[14:15]
	v_cndmask_b32_e64 v40, v41, v40, s[12:13]
	ds_write_b8 v0, v39
	s_waitcnt lgkmcnt(0)
	s_barrier
	ds_read_u8 v39, v40
	v_cndmask_b32_e64 v42, v42, v43, s[12:13]
	v_mov_b32_e32 v40, v37
	s_waitcnt lgkmcnt(0)
	s_barrier
	ds_write_b8 v0, v42
	s_waitcnt lgkmcnt(0)
	s_barrier
	s_and_saveexec_b64 s[14:15], s[10:11]
	s_cbranch_execz .LBB91_26
; %bb.23:                               ;   in Loop: Header=BB91_2 Depth=1
	s_mov_b64 s[16:17], 0
	v_mov_b32_e32 v40, v37
	v_mov_b32_e32 v41, v32
.LBB91_24:                              ;   Parent Loop BB91_2 Depth=1
                                        ; =>  This Inner Loop Header: Depth=2
	v_sub_u32_e32 v42, v41, v40
	v_lshrrev_b32_e32 v42, 1, v42
	v_add_u32_e32 v42, v42, v40
	v_add_u32_e32 v43, v5, v42
	v_xad_u32 v44, v42, -1, v27
	ds_read_u8 v43, v43
	ds_read_u8 v44, v44
	v_add_u32_e32 v45, 1, v42
	s_waitcnt lgkmcnt(0)
	v_cmp_lt_u16_e64 s[12:13], v44, v43
	v_cndmask_b32_e64 v41, v41, v42, s[12:13]
	v_cndmask_b32_e64 v40, v45, v40, s[12:13]
	v_cmp_ge_i32_e64 s[12:13], v40, v41
	s_or_b64 s[16:17], s[12:13], s[16:17]
	s_andn2_b64 exec, exec, s[16:17]
	s_cbranch_execnz .LBB91_24
; %bb.25:                               ;   in Loop: Header=BB91_2 Depth=1
	s_or_b64 exec, exec, s[16:17]
.LBB91_26:                              ;   in Loop: Header=BB91_2 Depth=1
	s_or_b64 exec, exec, s[14:15]
	v_add_u32_e32 v41, v40, v5
	v_sub_u32_e32 v40, v27, v40
	ds_read_u8 v42, v41
	ds_read_u8 v43, v40
	v_cmp_le_i32_e64 s[14:15], v17, v41
	v_cmp_gt_i32_e64 s[12:13], v18, v40
	s_waitcnt lgkmcnt(0)
	s_barrier
	v_cmp_lt_u16_sdwa s[16:17], v43, v42 src0_sel:BYTE_0 src1_sel:BYTE_0
	s_or_b64 s[14:15], s[14:15], s[16:17]
	s_and_b64 s[12:13], s[12:13], s[14:15]
	v_cndmask_b32_e64 v40, v41, v40, s[12:13]
	ds_write_b8 v0, v39
	s_waitcnt lgkmcnt(0)
	s_barrier
	ds_read_u8 v40, v40
	v_cndmask_b32_e64 v42, v42, v43, s[12:13]
	v_mov_b32_e32 v41, v7
	s_waitcnt lgkmcnt(0)
	s_barrier
	ds_write_b8 v0, v42
	s_waitcnt lgkmcnt(0)
	s_barrier
	s_and_saveexec_b64 s[14:15], vcc
	s_cbranch_execz .LBB91_1
; %bb.27:                               ;   in Loop: Header=BB91_2 Depth=1
	s_mov_b64 s[16:17], 0
	v_mov_b32_e32 v41, v7
	v_mov_b32_e32 v39, v8
.LBB91_28:                              ;   Parent Loop BB91_2 Depth=1
                                        ; =>  This Inner Loop Header: Depth=2
	v_sub_u32_e32 v42, v39, v41
	v_lshrrev_b32_e32 v42, 1, v42
	v_add_u32_e32 v42, v42, v41
	v_xad_u32 v43, v42, -1, v38
	ds_read_u8 v44, v42
	ds_read_u8 v43, v43
	v_add_u32_e32 v45, 1, v42
	s_waitcnt lgkmcnt(0)
	v_cmp_lt_u16_e64 s[12:13], v43, v44
	v_cndmask_b32_e64 v39, v39, v42, s[12:13]
	v_cndmask_b32_e64 v41, v45, v41, s[12:13]
	v_cmp_ge_i32_e64 s[12:13], v41, v39
	s_or_b64 s[16:17], s[12:13], s[16:17]
	s_andn2_b64 exec, exec, s[16:17]
	s_cbranch_execnz .LBB91_28
; %bb.29:                               ;   in Loop: Header=BB91_2 Depth=1
	s_or_b64 exec, exec, s[16:17]
	s_branch .LBB91_1
.LBB91_30:
	s_add_u32 s0, s18, s20
	s_addc_u32 s1, s19, 0
	v_mov_b32_e32 v1, s1
	v_add_co_u32_e32 v0, vcc, s0, v0
	s_waitcnt lgkmcnt(0)
	v_add_u16_e32 v2, v39, v40
	v_addc_co_u32_e32 v1, vcc, 0, v1, vcc
	global_store_byte v[0:1], v2, off
	s_endpgm
	.section	.rodata,"a",@progbits
	.p2align	6, 0x0
	.amdhsa_kernel _Z17sort_pairs_kernelIhLj128ELj1EN10test_utils4lessELj10EEvPKT_PS2_T2_
		.amdhsa_group_segment_fixed_size 129
		.amdhsa_private_segment_fixed_size 0
		.amdhsa_kernarg_size 20
		.amdhsa_user_sgpr_count 6
		.amdhsa_user_sgpr_private_segment_buffer 1
		.amdhsa_user_sgpr_dispatch_ptr 0
		.amdhsa_user_sgpr_queue_ptr 0
		.amdhsa_user_sgpr_kernarg_segment_ptr 1
		.amdhsa_user_sgpr_dispatch_id 0
		.amdhsa_user_sgpr_flat_scratch_init 0
		.amdhsa_user_sgpr_private_segment_size 0
		.amdhsa_uses_dynamic_stack 0
		.amdhsa_system_sgpr_private_segment_wavefront_offset 0
		.amdhsa_system_sgpr_workgroup_id_x 1
		.amdhsa_system_sgpr_workgroup_id_y 0
		.amdhsa_system_sgpr_workgroup_id_z 0
		.amdhsa_system_sgpr_workgroup_info 0
		.amdhsa_system_vgpr_workitem_id 0
		.amdhsa_next_free_vgpr 48
		.amdhsa_next_free_sgpr 23
		.amdhsa_reserve_vcc 1
		.amdhsa_reserve_flat_scratch 0
		.amdhsa_float_round_mode_32 0
		.amdhsa_float_round_mode_16_64 0
		.amdhsa_float_denorm_mode_32 3
		.amdhsa_float_denorm_mode_16_64 3
		.amdhsa_dx10_clamp 1
		.amdhsa_ieee_mode 1
		.amdhsa_fp16_overflow 0
		.amdhsa_exception_fp_ieee_invalid_op 0
		.amdhsa_exception_fp_denorm_src 0
		.amdhsa_exception_fp_ieee_div_zero 0
		.amdhsa_exception_fp_ieee_overflow 0
		.amdhsa_exception_fp_ieee_underflow 0
		.amdhsa_exception_fp_ieee_inexact 0
		.amdhsa_exception_int_div_zero 0
	.end_amdhsa_kernel
	.section	.text._Z17sort_pairs_kernelIhLj128ELj1EN10test_utils4lessELj10EEvPKT_PS2_T2_,"axG",@progbits,_Z17sort_pairs_kernelIhLj128ELj1EN10test_utils4lessELj10EEvPKT_PS2_T2_,comdat
.Lfunc_end91:
	.size	_Z17sort_pairs_kernelIhLj128ELj1EN10test_utils4lessELj10EEvPKT_PS2_T2_, .Lfunc_end91-_Z17sort_pairs_kernelIhLj128ELj1EN10test_utils4lessELj10EEvPKT_PS2_T2_
                                        ; -- End function
	.set _Z17sort_pairs_kernelIhLj128ELj1EN10test_utils4lessELj10EEvPKT_PS2_T2_.num_vgpr, 48
	.set _Z17sort_pairs_kernelIhLj128ELj1EN10test_utils4lessELj10EEvPKT_PS2_T2_.num_agpr, 0
	.set _Z17sort_pairs_kernelIhLj128ELj1EN10test_utils4lessELj10EEvPKT_PS2_T2_.numbered_sgpr, 23
	.set _Z17sort_pairs_kernelIhLj128ELj1EN10test_utils4lessELj10EEvPKT_PS2_T2_.num_named_barrier, 0
	.set _Z17sort_pairs_kernelIhLj128ELj1EN10test_utils4lessELj10EEvPKT_PS2_T2_.private_seg_size, 0
	.set _Z17sort_pairs_kernelIhLj128ELj1EN10test_utils4lessELj10EEvPKT_PS2_T2_.uses_vcc, 1
	.set _Z17sort_pairs_kernelIhLj128ELj1EN10test_utils4lessELj10EEvPKT_PS2_T2_.uses_flat_scratch, 0
	.set _Z17sort_pairs_kernelIhLj128ELj1EN10test_utils4lessELj10EEvPKT_PS2_T2_.has_dyn_sized_stack, 0
	.set _Z17sort_pairs_kernelIhLj128ELj1EN10test_utils4lessELj10EEvPKT_PS2_T2_.has_recursion, 0
	.set _Z17sort_pairs_kernelIhLj128ELj1EN10test_utils4lessELj10EEvPKT_PS2_T2_.has_indirect_call, 0
	.section	.AMDGPU.csdata,"",@progbits
; Kernel info:
; codeLenInByte = 2256
; TotalNumSgprs: 27
; NumVgprs: 48
; ScratchSize: 0
; MemoryBound: 0
; FloatMode: 240
; IeeeMode: 1
; LDSByteSize: 129 bytes/workgroup (compile time only)
; SGPRBlocks: 3
; VGPRBlocks: 11
; NumSGPRsForWavesPerEU: 27
; NumVGPRsForWavesPerEU: 48
; Occupancy: 5
; WaveLimiterHint : 0
; COMPUTE_PGM_RSRC2:SCRATCH_EN: 0
; COMPUTE_PGM_RSRC2:USER_SGPR: 6
; COMPUTE_PGM_RSRC2:TRAP_HANDLER: 0
; COMPUTE_PGM_RSRC2:TGID_X_EN: 1
; COMPUTE_PGM_RSRC2:TGID_Y_EN: 0
; COMPUTE_PGM_RSRC2:TGID_Z_EN: 0
; COMPUTE_PGM_RSRC2:TIDIG_COMP_CNT: 0
	.section	.text._Z16sort_keys_kernelIhLj128ELj2EN10test_utils4lessELj10EEvPKT_PS2_T2_,"axG",@progbits,_Z16sort_keys_kernelIhLj128ELj2EN10test_utils4lessELj10EEvPKT_PS2_T2_,comdat
	.protected	_Z16sort_keys_kernelIhLj128ELj2EN10test_utils4lessELj10EEvPKT_PS2_T2_ ; -- Begin function _Z16sort_keys_kernelIhLj128ELj2EN10test_utils4lessELj10EEvPKT_PS2_T2_
	.globl	_Z16sort_keys_kernelIhLj128ELj2EN10test_utils4lessELj10EEvPKT_PS2_T2_
	.p2align	8
	.type	_Z16sort_keys_kernelIhLj128ELj2EN10test_utils4lessELj10EEvPKT_PS2_T2_,@function
_Z16sort_keys_kernelIhLj128ELj2EN10test_utils4lessELj10EEvPKT_PS2_T2_: ; @_Z16sort_keys_kernelIhLj128ELj2EN10test_utils4lessELj10EEvPKT_PS2_T2_
; %bb.0:
	s_load_dwordx4 s[16:19], s[4:5], 0x0
	s_lshl_b32 s20, s6, 8
	v_lshlrev_b32_e32 v1, 1, v0
	v_and_b32_e32 v2, 0xfc, v1
	v_and_b32_e32 v5, 0xf8, v1
	s_waitcnt lgkmcnt(0)
	s_add_u32 s0, s16, s20
	s_addc_u32 s1, s17, 0
	global_load_ubyte v43, v0, s[0:1] offset:128
	global_load_ubyte v42, v0, s[0:1]
	v_and_b32_e32 v8, 0xf0, v1
	v_and_b32_e32 v11, 0xe0, v1
	;; [unrolled: 1-line block ×4, first 2 shown]
	v_or_b32_e32 v3, 2, v2
	v_add_u32_e32 v4, 4, v2
	v_or_b32_e32 v6, 4, v5
	v_add_u32_e32 v7, 8, v5
	;; [unrolled: 2-line block ×6, first 2 shown]
	v_and_b32_e32 v22, 2, v1
	v_sub_u32_e32 v20, v4, v3
	v_and_b32_e32 v25, 6, v1
	v_sub_u32_e32 v23, v7, v6
	;; [unrolled: 2-line block ×6, first 2 shown]
	v_sub_u32_e32 v21, v22, v20
	v_sub_u32_e32 v24, v25, v23
	;; [unrolled: 1-line block ×6, first 2 shown]
	v_cmp_ge_i32_e32 vcc, v22, v20
	v_cmp_ge_i32_e64 s[0:1], v25, v23
	v_cmp_ge_i32_e64 s[2:3], v28, v26
	;; [unrolled: 1-line block ×5, first 2 shown]
	v_cndmask_b32_e32 v20, 0, v21, vcc
	v_sub_u32_e32 v21, v3, v2
	v_cndmask_b32_e64 v23, 0, v24, s[0:1]
	v_sub_u32_e32 v24, v6, v5
	v_cndmask_b32_e64 v26, 0, v27, s[2:3]
	;; [unrolled: 2-line block ×5, first 2 shown]
	v_sub_u32_e32 v36, v18, v17
	v_mov_b32_e32 v38, 0x80
	v_min_i32_e32 v21, v22, v21
	v_min_i32_e32 v24, v25, v24
	;; [unrolled: 1-line block ×6, first 2 shown]
	v_sub_u32_e64 v39, v1, v38 clamp
	v_min_i32_e32 v40, 0x80, v1
	s_mov_b32 s21, 0
	v_cmp_lt_i32_e32 vcc, v20, v21
	v_add_u32_e32 v22, v3, v22
	v_cmp_lt_i32_e64 s[0:1], v23, v24
	v_add_u32_e32 v25, v6, v25
	v_cmp_lt_i32_e64 s[2:3], v26, v27
	;; [unrolled: 2-line block ×6, first 2 shown]
	s_mov_b32 s22, 0xc0c0004
	s_movk_i32 s23, 0x100
	v_add_u32_e32 v41, 0x80, v1
	s_branch .LBB92_2
.LBB92_1:                               ;   in Loop: Header=BB92_2 Depth=1
	s_or_b64 exec, exec, s[14:15]
	v_cmp_ge_i32_e64 s[14:15], v47, v38
	s_waitcnt lgkmcnt(0)
	v_cmp_lt_u16_sdwa s[16:17], v48, v46 src0_sel:BYTE_0 src1_sel:BYTE_0
	v_cndmask_b32_e64 v42, v43, v45, s[12:13]
	v_cmp_gt_i32_e64 s[12:13], s23, v44
	s_or_b64 s[14:15], s[14:15], s[16:17]
	s_and_b64 s[12:13], s[12:13], s[14:15]
	s_add_i32 s21, s21, 1
	s_cmp_eq_u32 s21, 10
	v_cndmask_b32_e64 v43, v46, v48, s[12:13]
	s_cbranch_scc1 .LBB92_58
.LBB92_2:                               ; =>This Loop Header: Depth=1
                                        ;     Child Loop BB92_4 Depth 2
                                        ;     Child Loop BB92_12 Depth 2
	;; [unrolled: 1-line block ×7, first 2 shown]
	s_waitcnt vmcnt(0)
	v_perm_b32 v44, v43, v42, s22
	v_perm_b32 v45, v42, v43, s22
	v_cmp_lt_u16_sdwa s[12:13], v43, v42 src0_sel:BYTE_0 src1_sel:BYTE_0
	v_cndmask_b32_e64 v42, v45, v44, s[12:13]
	s_barrier
	ds_write_b8 v1, v42
	v_lshrrev_b16_e32 v42, 8, v42
	v_mov_b32_e32 v43, v20
	ds_write_b8 v1, v42 offset:1
	s_waitcnt lgkmcnt(0)
	s_barrier
	s_and_saveexec_b64 s[14:15], vcc
	s_cbranch_execz .LBB92_6
; %bb.3:                                ;   in Loop: Header=BB92_2 Depth=1
	s_mov_b64 s[16:17], 0
	v_mov_b32_e32 v43, v20
	v_mov_b32_e32 v42, v21
.LBB92_4:                               ;   Parent Loop BB92_2 Depth=1
                                        ; =>  This Inner Loop Header: Depth=2
	v_sub_u32_e32 v44, v42, v43
	v_lshrrev_b32_e32 v44, 1, v44
	v_add_u32_e32 v44, v44, v43
	v_add_u32_e32 v45, v2, v44
	v_xad_u32 v46, v44, -1, v22
	ds_read_u8 v45, v45
	ds_read_u8 v46, v46
	v_add_u32_e32 v47, 1, v44
	s_waitcnt lgkmcnt(0)
	v_cmp_lt_u16_e64 s[12:13], v46, v45
	v_cndmask_b32_e64 v42, v42, v44, s[12:13]
	v_cndmask_b32_e64 v43, v47, v43, s[12:13]
	v_cmp_ge_i32_e64 s[12:13], v43, v42
	s_or_b64 s[16:17], s[12:13], s[16:17]
	s_andn2_b64 exec, exec, s[16:17]
	s_cbranch_execnz .LBB92_4
; %bb.5:                                ;   in Loop: Header=BB92_2 Depth=1
	s_or_b64 exec, exec, s[16:17]
.LBB92_6:                               ;   in Loop: Header=BB92_2 Depth=1
	s_or_b64 exec, exec, s[14:15]
	v_add_u32_e32 v42, v43, v2
	v_sub_u32_e32 v43, v22, v43
	ds_read_u8 v44, v42
	ds_read_u8 v45, v43
	v_cmp_le_i32_e64 s[14:15], v3, v42
	v_cmp_gt_i32_e64 s[12:13], v4, v43
                                        ; implicit-def: $vgpr46
	s_waitcnt lgkmcnt(0)
	v_cmp_lt_u16_sdwa s[16:17], v45, v44 src0_sel:BYTE_0 src1_sel:BYTE_0
	s_or_b64 s[14:15], s[14:15], s[16:17]
	s_and_b64 s[12:13], s[12:13], s[14:15]
	s_xor_b64 s[14:15], s[12:13], -1
	s_and_saveexec_b64 s[16:17], s[14:15]
	s_xor_b64 s[14:15], exec, s[16:17]
; %bb.7:                                ;   in Loop: Header=BB92_2 Depth=1
	ds_read_u8 v46, v42 offset:1
; %bb.8:                                ;   in Loop: Header=BB92_2 Depth=1
	s_or_saveexec_b64 s[14:15], s[14:15]
	v_mov_b32_e32 v47, v45
	s_xor_b64 exec, exec, s[14:15]
	s_cbranch_execz .LBB92_10
; %bb.9:                                ;   in Loop: Header=BB92_2 Depth=1
	ds_read_u8 v47, v43 offset:1
	s_waitcnt lgkmcnt(1)
	v_mov_b32_e32 v46, v44
.LBB92_10:                              ;   in Loop: Header=BB92_2 Depth=1
	s_or_b64 exec, exec, s[14:15]
	v_add_u32_e32 v48, 1, v42
	v_cndmask_b32_e64 v44, v44, v45, s[12:13]
	v_add_u32_e32 v45, 1, v43
	v_cndmask_b32_e64 v42, v48, v42, s[12:13]
	v_cndmask_b32_e64 v43, v43, v45, s[12:13]
	v_cmp_ge_i32_e64 s[14:15], v42, v3
	s_waitcnt lgkmcnt(0)
	v_cmp_lt_u16_sdwa s[16:17], v47, v46 src0_sel:BYTE_0 src1_sel:BYTE_0
	v_cmp_lt_i32_e64 s[12:13], v43, v4
	s_or_b64 s[14:15], s[14:15], s[16:17]
	s_and_b64 s[12:13], s[12:13], s[14:15]
	v_mov_b32_e32 v43, v23
	v_cndmask_b32_e64 v42, v46, v47, s[12:13]
	s_barrier
	ds_write_b8 v1, v44
	ds_write_b8 v1, v42 offset:1
	s_waitcnt lgkmcnt(0)
	s_barrier
	s_and_saveexec_b64 s[14:15], s[0:1]
	s_cbranch_execz .LBB92_14
; %bb.11:                               ;   in Loop: Header=BB92_2 Depth=1
	s_mov_b64 s[16:17], 0
	v_mov_b32_e32 v43, v23
	v_mov_b32_e32 v42, v24
.LBB92_12:                              ;   Parent Loop BB92_2 Depth=1
                                        ; =>  This Inner Loop Header: Depth=2
	v_sub_u32_e32 v44, v42, v43
	v_lshrrev_b32_e32 v44, 1, v44
	v_add_u32_e32 v44, v44, v43
	v_add_u32_e32 v45, v5, v44
	v_xad_u32 v46, v44, -1, v25
	ds_read_u8 v45, v45
	ds_read_u8 v46, v46
	v_add_u32_e32 v47, 1, v44
	s_waitcnt lgkmcnt(0)
	v_cmp_lt_u16_e64 s[12:13], v46, v45
	v_cndmask_b32_e64 v42, v42, v44, s[12:13]
	v_cndmask_b32_e64 v43, v47, v43, s[12:13]
	v_cmp_ge_i32_e64 s[12:13], v43, v42
	s_or_b64 s[16:17], s[12:13], s[16:17]
	s_andn2_b64 exec, exec, s[16:17]
	s_cbranch_execnz .LBB92_12
; %bb.13:                               ;   in Loop: Header=BB92_2 Depth=1
	s_or_b64 exec, exec, s[16:17]
.LBB92_14:                              ;   in Loop: Header=BB92_2 Depth=1
	s_or_b64 exec, exec, s[14:15]
	v_add_u32_e32 v42, v43, v5
	v_sub_u32_e32 v43, v25, v43
	ds_read_u8 v44, v42
	ds_read_u8 v45, v43
	v_cmp_le_i32_e64 s[14:15], v6, v42
	v_cmp_gt_i32_e64 s[12:13], v7, v43
                                        ; implicit-def: $vgpr46
	s_waitcnt lgkmcnt(0)
	v_cmp_lt_u16_sdwa s[16:17], v45, v44 src0_sel:BYTE_0 src1_sel:BYTE_0
	s_or_b64 s[14:15], s[14:15], s[16:17]
	s_and_b64 s[12:13], s[12:13], s[14:15]
	s_xor_b64 s[14:15], s[12:13], -1
	s_and_saveexec_b64 s[16:17], s[14:15]
	s_xor_b64 s[14:15], exec, s[16:17]
; %bb.15:                               ;   in Loop: Header=BB92_2 Depth=1
	ds_read_u8 v46, v42 offset:1
; %bb.16:                               ;   in Loop: Header=BB92_2 Depth=1
	s_or_saveexec_b64 s[14:15], s[14:15]
	v_mov_b32_e32 v47, v45
	s_xor_b64 exec, exec, s[14:15]
	s_cbranch_execz .LBB92_18
; %bb.17:                               ;   in Loop: Header=BB92_2 Depth=1
	ds_read_u8 v47, v43 offset:1
	s_waitcnt lgkmcnt(1)
	v_mov_b32_e32 v46, v44
.LBB92_18:                              ;   in Loop: Header=BB92_2 Depth=1
	s_or_b64 exec, exec, s[14:15]
	v_add_u32_e32 v48, 1, v42
	v_cndmask_b32_e64 v44, v44, v45, s[12:13]
	v_add_u32_e32 v45, 1, v43
	v_cndmask_b32_e64 v42, v48, v42, s[12:13]
	v_cndmask_b32_e64 v43, v43, v45, s[12:13]
	v_cmp_ge_i32_e64 s[14:15], v42, v6
	s_waitcnt lgkmcnt(0)
	v_cmp_lt_u16_sdwa s[16:17], v47, v46 src0_sel:BYTE_0 src1_sel:BYTE_0
	v_cmp_lt_i32_e64 s[12:13], v43, v7
	s_or_b64 s[14:15], s[14:15], s[16:17]
	s_and_b64 s[12:13], s[12:13], s[14:15]
	v_mov_b32_e32 v43, v26
	v_cndmask_b32_e64 v42, v46, v47, s[12:13]
	s_barrier
	ds_write_b8 v1, v44
	ds_write_b8 v1, v42 offset:1
	s_waitcnt lgkmcnt(0)
	s_barrier
	s_and_saveexec_b64 s[14:15], s[2:3]
	s_cbranch_execz .LBB92_22
; %bb.19:                               ;   in Loop: Header=BB92_2 Depth=1
	s_mov_b64 s[16:17], 0
	v_mov_b32_e32 v43, v26
	v_mov_b32_e32 v42, v27
.LBB92_20:                              ;   Parent Loop BB92_2 Depth=1
                                        ; =>  This Inner Loop Header: Depth=2
	v_sub_u32_e32 v44, v42, v43
	v_lshrrev_b32_e32 v44, 1, v44
	v_add_u32_e32 v44, v44, v43
	v_add_u32_e32 v45, v8, v44
	v_xad_u32 v46, v44, -1, v28
	ds_read_u8 v45, v45
	ds_read_u8 v46, v46
	v_add_u32_e32 v47, 1, v44
	s_waitcnt lgkmcnt(0)
	v_cmp_lt_u16_e64 s[12:13], v46, v45
	v_cndmask_b32_e64 v42, v42, v44, s[12:13]
	v_cndmask_b32_e64 v43, v47, v43, s[12:13]
	v_cmp_ge_i32_e64 s[12:13], v43, v42
	s_or_b64 s[16:17], s[12:13], s[16:17]
	s_andn2_b64 exec, exec, s[16:17]
	s_cbranch_execnz .LBB92_20
; %bb.21:                               ;   in Loop: Header=BB92_2 Depth=1
	s_or_b64 exec, exec, s[16:17]
.LBB92_22:                              ;   in Loop: Header=BB92_2 Depth=1
	s_or_b64 exec, exec, s[14:15]
	v_add_u32_e32 v42, v43, v8
	v_sub_u32_e32 v43, v28, v43
	ds_read_u8 v44, v42
	ds_read_u8 v45, v43
	v_cmp_le_i32_e64 s[14:15], v9, v42
	v_cmp_gt_i32_e64 s[12:13], v10, v43
                                        ; implicit-def: $vgpr46
	s_waitcnt lgkmcnt(0)
	v_cmp_lt_u16_sdwa s[16:17], v45, v44 src0_sel:BYTE_0 src1_sel:BYTE_0
	s_or_b64 s[14:15], s[14:15], s[16:17]
	s_and_b64 s[12:13], s[12:13], s[14:15]
	s_xor_b64 s[14:15], s[12:13], -1
	s_and_saveexec_b64 s[16:17], s[14:15]
	s_xor_b64 s[14:15], exec, s[16:17]
; %bb.23:                               ;   in Loop: Header=BB92_2 Depth=1
	ds_read_u8 v46, v42 offset:1
; %bb.24:                               ;   in Loop: Header=BB92_2 Depth=1
	s_or_saveexec_b64 s[14:15], s[14:15]
	v_mov_b32_e32 v47, v45
	s_xor_b64 exec, exec, s[14:15]
	s_cbranch_execz .LBB92_26
; %bb.25:                               ;   in Loop: Header=BB92_2 Depth=1
	ds_read_u8 v47, v43 offset:1
	s_waitcnt lgkmcnt(1)
	v_mov_b32_e32 v46, v44
.LBB92_26:                              ;   in Loop: Header=BB92_2 Depth=1
	s_or_b64 exec, exec, s[14:15]
	v_add_u32_e32 v48, 1, v42
	v_cndmask_b32_e64 v44, v44, v45, s[12:13]
	v_add_u32_e32 v45, 1, v43
	v_cndmask_b32_e64 v42, v48, v42, s[12:13]
	v_cndmask_b32_e64 v43, v43, v45, s[12:13]
	v_cmp_ge_i32_e64 s[14:15], v42, v9
	s_waitcnt lgkmcnt(0)
	v_cmp_lt_u16_sdwa s[16:17], v47, v46 src0_sel:BYTE_0 src1_sel:BYTE_0
	v_cmp_lt_i32_e64 s[12:13], v43, v10
	s_or_b64 s[14:15], s[14:15], s[16:17]
	s_and_b64 s[12:13], s[12:13], s[14:15]
	v_mov_b32_e32 v43, v29
	v_cndmask_b32_e64 v42, v46, v47, s[12:13]
	s_barrier
	ds_write_b8 v1, v44
	ds_write_b8 v1, v42 offset:1
	s_waitcnt lgkmcnt(0)
	s_barrier
	s_and_saveexec_b64 s[14:15], s[4:5]
	s_cbranch_execz .LBB92_30
; %bb.27:                               ;   in Loop: Header=BB92_2 Depth=1
	s_mov_b64 s[16:17], 0
	v_mov_b32_e32 v43, v29
	v_mov_b32_e32 v42, v30
.LBB92_28:                              ;   Parent Loop BB92_2 Depth=1
                                        ; =>  This Inner Loop Header: Depth=2
	v_sub_u32_e32 v44, v42, v43
	v_lshrrev_b32_e32 v44, 1, v44
	v_add_u32_e32 v44, v44, v43
	v_add_u32_e32 v45, v11, v44
	v_xad_u32 v46, v44, -1, v31
	ds_read_u8 v45, v45
	ds_read_u8 v46, v46
	v_add_u32_e32 v47, 1, v44
	s_waitcnt lgkmcnt(0)
	v_cmp_lt_u16_e64 s[12:13], v46, v45
	v_cndmask_b32_e64 v42, v42, v44, s[12:13]
	v_cndmask_b32_e64 v43, v47, v43, s[12:13]
	v_cmp_ge_i32_e64 s[12:13], v43, v42
	s_or_b64 s[16:17], s[12:13], s[16:17]
	s_andn2_b64 exec, exec, s[16:17]
	s_cbranch_execnz .LBB92_28
; %bb.29:                               ;   in Loop: Header=BB92_2 Depth=1
	s_or_b64 exec, exec, s[16:17]
.LBB92_30:                              ;   in Loop: Header=BB92_2 Depth=1
	s_or_b64 exec, exec, s[14:15]
	v_add_u32_e32 v42, v43, v11
	v_sub_u32_e32 v43, v31, v43
	ds_read_u8 v44, v42
	ds_read_u8 v45, v43
	v_cmp_le_i32_e64 s[14:15], v12, v42
	v_cmp_gt_i32_e64 s[12:13], v13, v43
                                        ; implicit-def: $vgpr46
	s_waitcnt lgkmcnt(0)
	v_cmp_lt_u16_sdwa s[16:17], v45, v44 src0_sel:BYTE_0 src1_sel:BYTE_0
	s_or_b64 s[14:15], s[14:15], s[16:17]
	s_and_b64 s[12:13], s[12:13], s[14:15]
	s_xor_b64 s[14:15], s[12:13], -1
	s_and_saveexec_b64 s[16:17], s[14:15]
	s_xor_b64 s[14:15], exec, s[16:17]
; %bb.31:                               ;   in Loop: Header=BB92_2 Depth=1
	ds_read_u8 v46, v42 offset:1
; %bb.32:                               ;   in Loop: Header=BB92_2 Depth=1
	s_or_saveexec_b64 s[14:15], s[14:15]
	v_mov_b32_e32 v47, v45
	s_xor_b64 exec, exec, s[14:15]
	s_cbranch_execz .LBB92_34
; %bb.33:                               ;   in Loop: Header=BB92_2 Depth=1
	ds_read_u8 v47, v43 offset:1
	s_waitcnt lgkmcnt(1)
	v_mov_b32_e32 v46, v44
.LBB92_34:                              ;   in Loop: Header=BB92_2 Depth=1
	s_or_b64 exec, exec, s[14:15]
	v_add_u32_e32 v48, 1, v42
	v_cndmask_b32_e64 v44, v44, v45, s[12:13]
	v_add_u32_e32 v45, 1, v43
	v_cndmask_b32_e64 v42, v48, v42, s[12:13]
	v_cndmask_b32_e64 v43, v43, v45, s[12:13]
	v_cmp_ge_i32_e64 s[14:15], v42, v12
	s_waitcnt lgkmcnt(0)
	v_cmp_lt_u16_sdwa s[16:17], v47, v46 src0_sel:BYTE_0 src1_sel:BYTE_0
	v_cmp_lt_i32_e64 s[12:13], v43, v13
	s_or_b64 s[14:15], s[14:15], s[16:17]
	s_and_b64 s[12:13], s[12:13], s[14:15]
	v_mov_b32_e32 v43, v32
	v_cndmask_b32_e64 v42, v46, v47, s[12:13]
	s_barrier
	ds_write_b8 v1, v44
	ds_write_b8 v1, v42 offset:1
	s_waitcnt lgkmcnt(0)
	s_barrier
	s_and_saveexec_b64 s[14:15], s[6:7]
	s_cbranch_execz .LBB92_38
; %bb.35:                               ;   in Loop: Header=BB92_2 Depth=1
	s_mov_b64 s[16:17], 0
	v_mov_b32_e32 v43, v32
	v_mov_b32_e32 v42, v33
.LBB92_36:                              ;   Parent Loop BB92_2 Depth=1
                                        ; =>  This Inner Loop Header: Depth=2
	v_sub_u32_e32 v44, v42, v43
	v_lshrrev_b32_e32 v44, 1, v44
	v_add_u32_e32 v44, v44, v43
	v_add_u32_e32 v45, v14, v44
	v_xad_u32 v46, v44, -1, v34
	ds_read_u8 v45, v45
	ds_read_u8 v46, v46
	v_add_u32_e32 v47, 1, v44
	s_waitcnt lgkmcnt(0)
	v_cmp_lt_u16_e64 s[12:13], v46, v45
	v_cndmask_b32_e64 v42, v42, v44, s[12:13]
	v_cndmask_b32_e64 v43, v47, v43, s[12:13]
	v_cmp_ge_i32_e64 s[12:13], v43, v42
	s_or_b64 s[16:17], s[12:13], s[16:17]
	s_andn2_b64 exec, exec, s[16:17]
	s_cbranch_execnz .LBB92_36
; %bb.37:                               ;   in Loop: Header=BB92_2 Depth=1
	s_or_b64 exec, exec, s[16:17]
.LBB92_38:                              ;   in Loop: Header=BB92_2 Depth=1
	s_or_b64 exec, exec, s[14:15]
	v_add_u32_e32 v42, v43, v14
	v_sub_u32_e32 v43, v34, v43
	ds_read_u8 v44, v42
	ds_read_u8 v45, v43
	v_cmp_le_i32_e64 s[14:15], v15, v42
	v_cmp_gt_i32_e64 s[12:13], v16, v43
                                        ; implicit-def: $vgpr46
	s_waitcnt lgkmcnt(0)
	v_cmp_lt_u16_sdwa s[16:17], v45, v44 src0_sel:BYTE_0 src1_sel:BYTE_0
	s_or_b64 s[14:15], s[14:15], s[16:17]
	s_and_b64 s[12:13], s[12:13], s[14:15]
	s_xor_b64 s[14:15], s[12:13], -1
	s_and_saveexec_b64 s[16:17], s[14:15]
	s_xor_b64 s[14:15], exec, s[16:17]
; %bb.39:                               ;   in Loop: Header=BB92_2 Depth=1
	ds_read_u8 v46, v42 offset:1
; %bb.40:                               ;   in Loop: Header=BB92_2 Depth=1
	s_or_saveexec_b64 s[14:15], s[14:15]
	v_mov_b32_e32 v47, v45
	s_xor_b64 exec, exec, s[14:15]
	s_cbranch_execz .LBB92_42
; %bb.41:                               ;   in Loop: Header=BB92_2 Depth=1
	ds_read_u8 v47, v43 offset:1
	s_waitcnt lgkmcnt(1)
	v_mov_b32_e32 v46, v44
.LBB92_42:                              ;   in Loop: Header=BB92_2 Depth=1
	s_or_b64 exec, exec, s[14:15]
	v_add_u32_e32 v48, 1, v42
	v_cndmask_b32_e64 v44, v44, v45, s[12:13]
	v_add_u32_e32 v45, 1, v43
	v_cndmask_b32_e64 v42, v48, v42, s[12:13]
	v_cndmask_b32_e64 v43, v43, v45, s[12:13]
	v_cmp_ge_i32_e64 s[14:15], v42, v15
	s_waitcnt lgkmcnt(0)
	v_cmp_lt_u16_sdwa s[16:17], v47, v46 src0_sel:BYTE_0 src1_sel:BYTE_0
	v_cmp_lt_i32_e64 s[12:13], v43, v16
	s_or_b64 s[14:15], s[14:15], s[16:17]
	s_and_b64 s[12:13], s[12:13], s[14:15]
	v_mov_b32_e32 v43, v35
	v_cndmask_b32_e64 v42, v46, v47, s[12:13]
	s_barrier
	ds_write_b8 v1, v44
	ds_write_b8 v1, v42 offset:1
	s_waitcnt lgkmcnt(0)
	s_barrier
	s_and_saveexec_b64 s[14:15], s[8:9]
	s_cbranch_execz .LBB92_46
; %bb.43:                               ;   in Loop: Header=BB92_2 Depth=1
	s_mov_b64 s[16:17], 0
	v_mov_b32_e32 v43, v35
	v_mov_b32_e32 v42, v36
.LBB92_44:                              ;   Parent Loop BB92_2 Depth=1
                                        ; =>  This Inner Loop Header: Depth=2
	v_sub_u32_e32 v44, v42, v43
	v_lshrrev_b32_e32 v44, 1, v44
	v_add_u32_e32 v44, v44, v43
	v_add_u32_e32 v45, v17, v44
	v_xad_u32 v46, v44, -1, v37
	ds_read_u8 v45, v45
	ds_read_u8 v46, v46
	v_add_u32_e32 v47, 1, v44
	s_waitcnt lgkmcnt(0)
	v_cmp_lt_u16_e64 s[12:13], v46, v45
	v_cndmask_b32_e64 v42, v42, v44, s[12:13]
	v_cndmask_b32_e64 v43, v47, v43, s[12:13]
	v_cmp_ge_i32_e64 s[12:13], v43, v42
	s_or_b64 s[16:17], s[12:13], s[16:17]
	s_andn2_b64 exec, exec, s[16:17]
	s_cbranch_execnz .LBB92_44
; %bb.45:                               ;   in Loop: Header=BB92_2 Depth=1
	s_or_b64 exec, exec, s[16:17]
.LBB92_46:                              ;   in Loop: Header=BB92_2 Depth=1
	s_or_b64 exec, exec, s[14:15]
	v_add_u32_e32 v42, v43, v17
	v_sub_u32_e32 v43, v37, v43
	ds_read_u8 v44, v42
	ds_read_u8 v45, v43
	v_cmp_le_i32_e64 s[14:15], v18, v42
	v_cmp_gt_i32_e64 s[12:13], v19, v43
                                        ; implicit-def: $vgpr46
	s_waitcnt lgkmcnt(0)
	v_cmp_lt_u16_sdwa s[16:17], v45, v44 src0_sel:BYTE_0 src1_sel:BYTE_0
	s_or_b64 s[14:15], s[14:15], s[16:17]
	s_and_b64 s[12:13], s[12:13], s[14:15]
	s_xor_b64 s[14:15], s[12:13], -1
	s_and_saveexec_b64 s[16:17], s[14:15]
	s_xor_b64 s[14:15], exec, s[16:17]
; %bb.47:                               ;   in Loop: Header=BB92_2 Depth=1
	ds_read_u8 v46, v42 offset:1
; %bb.48:                               ;   in Loop: Header=BB92_2 Depth=1
	s_or_saveexec_b64 s[14:15], s[14:15]
	v_mov_b32_e32 v47, v45
	s_xor_b64 exec, exec, s[14:15]
	s_cbranch_execz .LBB92_50
; %bb.49:                               ;   in Loop: Header=BB92_2 Depth=1
	ds_read_u8 v47, v43 offset:1
	s_waitcnt lgkmcnt(1)
	v_mov_b32_e32 v46, v44
.LBB92_50:                              ;   in Loop: Header=BB92_2 Depth=1
	s_or_b64 exec, exec, s[14:15]
	v_add_u32_e32 v48, 1, v42
	v_cndmask_b32_e64 v44, v44, v45, s[12:13]
	v_add_u32_e32 v45, 1, v43
	v_cndmask_b32_e64 v42, v48, v42, s[12:13]
	v_cndmask_b32_e64 v43, v43, v45, s[12:13]
	v_cmp_ge_i32_e64 s[14:15], v42, v18
	s_waitcnt lgkmcnt(0)
	v_cmp_lt_u16_sdwa s[16:17], v47, v46 src0_sel:BYTE_0 src1_sel:BYTE_0
	v_cmp_lt_i32_e64 s[12:13], v43, v19
	s_or_b64 s[14:15], s[14:15], s[16:17]
	s_and_b64 s[12:13], s[12:13], s[14:15]
	v_cndmask_b32_e64 v42, v46, v47, s[12:13]
	s_barrier
	ds_write_b8 v1, v44
	ds_write_b8 v1, v42 offset:1
	v_mov_b32_e32 v42, v39
	s_waitcnt lgkmcnt(0)
	s_barrier
	s_and_saveexec_b64 s[14:15], s[10:11]
	s_cbranch_execz .LBB92_54
; %bb.51:                               ;   in Loop: Header=BB92_2 Depth=1
	s_mov_b64 s[16:17], 0
	v_mov_b32_e32 v42, v39
	v_mov_b32_e32 v43, v40
.LBB92_52:                              ;   Parent Loop BB92_2 Depth=1
                                        ; =>  This Inner Loop Header: Depth=2
	v_sub_u32_e32 v44, v43, v42
	v_lshrrev_b32_e32 v44, 1, v44
	v_add_u32_e32 v44, v44, v42
	v_xad_u32 v45, v44, -1, v41
	ds_read_u8 v46, v44
	ds_read_u8 v45, v45
	v_add_u32_e32 v47, 1, v44
	s_waitcnt lgkmcnt(0)
	v_cmp_lt_u16_e64 s[12:13], v45, v46
	v_cndmask_b32_e64 v43, v43, v44, s[12:13]
	v_cndmask_b32_e64 v42, v47, v42, s[12:13]
	v_cmp_ge_i32_e64 s[12:13], v42, v43
	s_or_b64 s[16:17], s[12:13], s[16:17]
	s_andn2_b64 exec, exec, s[16:17]
	s_cbranch_execnz .LBB92_52
; %bb.53:                               ;   in Loop: Header=BB92_2 Depth=1
	s_or_b64 exec, exec, s[16:17]
.LBB92_54:                              ;   in Loop: Header=BB92_2 Depth=1
	s_or_b64 exec, exec, s[14:15]
	v_sub_u32_e32 v44, v41, v42
	ds_read_u8 v43, v42
	ds_read_u8 v45, v44
	v_cmp_le_i32_e64 s[14:15], v38, v42
	v_cmp_gt_i32_e64 s[12:13], s23, v44
                                        ; implicit-def: $vgpr46
                                        ; implicit-def: $vgpr47
	s_waitcnt lgkmcnt(0)
	v_cmp_lt_u16_sdwa s[16:17], v45, v43 src0_sel:BYTE_0 src1_sel:BYTE_0
	s_or_b64 s[14:15], s[14:15], s[16:17]
	s_and_b64 s[12:13], s[12:13], s[14:15]
	s_xor_b64 s[14:15], s[12:13], -1
	s_and_saveexec_b64 s[16:17], s[14:15]
	s_xor_b64 s[14:15], exec, s[16:17]
; %bb.55:                               ;   in Loop: Header=BB92_2 Depth=1
	ds_read_u8 v46, v42 offset:1
	v_add_u32_e32 v47, 1, v42
                                        ; implicit-def: $vgpr42
; %bb.56:                               ;   in Loop: Header=BB92_2 Depth=1
	s_or_saveexec_b64 s[14:15], s[14:15]
	v_mov_b32_e32 v48, v45
	s_xor_b64 exec, exec, s[14:15]
	s_cbranch_execz .LBB92_1
; %bb.57:                               ;   in Loop: Header=BB92_2 Depth=1
	ds_read_u8 v48, v44 offset:1
	v_add_u32_e32 v44, 1, v44
	v_mov_b32_e32 v47, v42
	s_waitcnt lgkmcnt(1)
	v_mov_b32_e32 v46, v43
	s_branch .LBB92_1
.LBB92_58:
	s_add_u32 s0, s18, s20
	s_addc_u32 s1, s19, 0
	v_mov_b32_e32 v1, s1
	v_add_co_u32_e32 v0, vcc, s0, v0
	v_addc_co_u32_e32 v1, vcc, 0, v1, vcc
	global_store_byte v[0:1], v42, off
	global_store_byte v[0:1], v43, off offset:128
	s_endpgm
	.section	.rodata,"a",@progbits
	.p2align	6, 0x0
	.amdhsa_kernel _Z16sort_keys_kernelIhLj128ELj2EN10test_utils4lessELj10EEvPKT_PS2_T2_
		.amdhsa_group_segment_fixed_size 257
		.amdhsa_private_segment_fixed_size 0
		.amdhsa_kernarg_size 20
		.amdhsa_user_sgpr_count 6
		.amdhsa_user_sgpr_private_segment_buffer 1
		.amdhsa_user_sgpr_dispatch_ptr 0
		.amdhsa_user_sgpr_queue_ptr 0
		.amdhsa_user_sgpr_kernarg_segment_ptr 1
		.amdhsa_user_sgpr_dispatch_id 0
		.amdhsa_user_sgpr_flat_scratch_init 0
		.amdhsa_user_sgpr_private_segment_size 0
		.amdhsa_uses_dynamic_stack 0
		.amdhsa_system_sgpr_private_segment_wavefront_offset 0
		.amdhsa_system_sgpr_workgroup_id_x 1
		.amdhsa_system_sgpr_workgroup_id_y 0
		.amdhsa_system_sgpr_workgroup_id_z 0
		.amdhsa_system_sgpr_workgroup_info 0
		.amdhsa_system_vgpr_workitem_id 0
		.amdhsa_next_free_vgpr 49
		.amdhsa_next_free_sgpr 24
		.amdhsa_reserve_vcc 1
		.amdhsa_reserve_flat_scratch 0
		.amdhsa_float_round_mode_32 0
		.amdhsa_float_round_mode_16_64 0
		.amdhsa_float_denorm_mode_32 3
		.amdhsa_float_denorm_mode_16_64 3
		.amdhsa_dx10_clamp 1
		.amdhsa_ieee_mode 1
		.amdhsa_fp16_overflow 0
		.amdhsa_exception_fp_ieee_invalid_op 0
		.amdhsa_exception_fp_denorm_src 0
		.amdhsa_exception_fp_ieee_div_zero 0
		.amdhsa_exception_fp_ieee_overflow 0
		.amdhsa_exception_fp_ieee_underflow 0
		.amdhsa_exception_fp_ieee_inexact 0
		.amdhsa_exception_int_div_zero 0
	.end_amdhsa_kernel
	.section	.text._Z16sort_keys_kernelIhLj128ELj2EN10test_utils4lessELj10EEvPKT_PS2_T2_,"axG",@progbits,_Z16sort_keys_kernelIhLj128ELj2EN10test_utils4lessELj10EEvPKT_PS2_T2_,comdat
.Lfunc_end92:
	.size	_Z16sort_keys_kernelIhLj128ELj2EN10test_utils4lessELj10EEvPKT_PS2_T2_, .Lfunc_end92-_Z16sort_keys_kernelIhLj128ELj2EN10test_utils4lessELj10EEvPKT_PS2_T2_
                                        ; -- End function
	.set _Z16sort_keys_kernelIhLj128ELj2EN10test_utils4lessELj10EEvPKT_PS2_T2_.num_vgpr, 49
	.set _Z16sort_keys_kernelIhLj128ELj2EN10test_utils4lessELj10EEvPKT_PS2_T2_.num_agpr, 0
	.set _Z16sort_keys_kernelIhLj128ELj2EN10test_utils4lessELj10EEvPKT_PS2_T2_.numbered_sgpr, 24
	.set _Z16sort_keys_kernelIhLj128ELj2EN10test_utils4lessELj10EEvPKT_PS2_T2_.num_named_barrier, 0
	.set _Z16sort_keys_kernelIhLj128ELj2EN10test_utils4lessELj10EEvPKT_PS2_T2_.private_seg_size, 0
	.set _Z16sort_keys_kernelIhLj128ELj2EN10test_utils4lessELj10EEvPKT_PS2_T2_.uses_vcc, 1
	.set _Z16sort_keys_kernelIhLj128ELj2EN10test_utils4lessELj10EEvPKT_PS2_T2_.uses_flat_scratch, 0
	.set _Z16sort_keys_kernelIhLj128ELj2EN10test_utils4lessELj10EEvPKT_PS2_T2_.has_dyn_sized_stack, 0
	.set _Z16sort_keys_kernelIhLj128ELj2EN10test_utils4lessELj10EEvPKT_PS2_T2_.has_recursion, 0
	.set _Z16sort_keys_kernelIhLj128ELj2EN10test_utils4lessELj10EEvPKT_PS2_T2_.has_indirect_call, 0
	.section	.AMDGPU.csdata,"",@progbits
; Kernel info:
; codeLenInByte = 2968
; TotalNumSgprs: 28
; NumVgprs: 49
; ScratchSize: 0
; MemoryBound: 0
; FloatMode: 240
; IeeeMode: 1
; LDSByteSize: 257 bytes/workgroup (compile time only)
; SGPRBlocks: 3
; VGPRBlocks: 12
; NumSGPRsForWavesPerEU: 28
; NumVGPRsForWavesPerEU: 49
; Occupancy: 4
; WaveLimiterHint : 1
; COMPUTE_PGM_RSRC2:SCRATCH_EN: 0
; COMPUTE_PGM_RSRC2:USER_SGPR: 6
; COMPUTE_PGM_RSRC2:TRAP_HANDLER: 0
; COMPUTE_PGM_RSRC2:TGID_X_EN: 1
; COMPUTE_PGM_RSRC2:TGID_Y_EN: 0
; COMPUTE_PGM_RSRC2:TGID_Z_EN: 0
; COMPUTE_PGM_RSRC2:TIDIG_COMP_CNT: 0
	.section	.text._Z17sort_pairs_kernelIhLj128ELj2EN10test_utils4lessELj10EEvPKT_PS2_T2_,"axG",@progbits,_Z17sort_pairs_kernelIhLj128ELj2EN10test_utils4lessELj10EEvPKT_PS2_T2_,comdat
	.protected	_Z17sort_pairs_kernelIhLj128ELj2EN10test_utils4lessELj10EEvPKT_PS2_T2_ ; -- Begin function _Z17sort_pairs_kernelIhLj128ELj2EN10test_utils4lessELj10EEvPKT_PS2_T2_
	.globl	_Z17sort_pairs_kernelIhLj128ELj2EN10test_utils4lessELj10EEvPKT_PS2_T2_
	.p2align	8
	.type	_Z17sort_pairs_kernelIhLj128ELj2EN10test_utils4lessELj10EEvPKT_PS2_T2_,@function
_Z17sort_pairs_kernelIhLj128ELj2EN10test_utils4lessELj10EEvPKT_PS2_T2_: ; @_Z17sort_pairs_kernelIhLj128ELj2EN10test_utils4lessELj10EEvPKT_PS2_T2_
; %bb.0:
	s_load_dwordx4 s[16:19], s[4:5], 0x0
	s_lshl_b32 s22, s6, 8
	v_lshlrev_b32_e32 v1, 1, v0
	v_and_b32_e32 v2, 0xfc, v1
	v_and_b32_e32 v5, 0xf8, v1
	s_waitcnt lgkmcnt(0)
	s_add_u32 s0, s16, s22
	s_addc_u32 s1, s17, 0
	global_load_ubyte v45, v0, s[0:1]
	global_load_ubyte v44, v0, s[0:1] offset:128
	v_and_b32_e32 v8, 0xf0, v1
	v_and_b32_e32 v11, 0xe0, v1
	;; [unrolled: 1-line block ×4, first 2 shown]
	v_or_b32_e32 v3, 2, v2
	v_add_u32_e32 v4, 4, v2
	v_or_b32_e32 v6, 4, v5
	v_add_u32_e32 v7, 8, v5
	;; [unrolled: 2-line block ×6, first 2 shown]
	v_and_b32_e32 v22, 2, v1
	v_sub_u32_e32 v20, v4, v3
	v_and_b32_e32 v25, 6, v1
	v_sub_u32_e32 v23, v7, v6
	;; [unrolled: 2-line block ×6, first 2 shown]
	v_sub_u32_e32 v21, v22, v20
	v_sub_u32_e32 v24, v25, v23
	;; [unrolled: 1-line block ×6, first 2 shown]
	v_cmp_ge_i32_e32 vcc, v22, v20
	v_cmp_ge_i32_e64 s[0:1], v25, v23
	v_cmp_ge_i32_e64 s[2:3], v28, v26
	;; [unrolled: 1-line block ×5, first 2 shown]
	v_cndmask_b32_e32 v20, 0, v21, vcc
	v_sub_u32_e32 v21, v3, v2
	v_cndmask_b32_e64 v23, 0, v24, s[0:1]
	v_sub_u32_e32 v24, v6, v5
	v_cndmask_b32_e64 v26, 0, v27, s[2:3]
	;; [unrolled: 2-line block ×5, first 2 shown]
	v_sub_u32_e32 v36, v18, v17
	v_mov_b32_e32 v38, 0x80
	v_min_i32_e32 v21, v22, v21
	v_min_i32_e32 v24, v25, v24
	;; [unrolled: 1-line block ×6, first 2 shown]
	v_sub_u32_e64 v39, v1, v38 clamp
	v_min_i32_e32 v40, 0x80, v1
	s_mov_b32 s23, 0
	v_cmp_lt_i32_e32 vcc, v20, v21
	v_add_u32_e32 v22, v3, v22
	v_cmp_lt_i32_e64 s[0:1], v23, v24
	v_add_u32_e32 v25, v6, v25
	v_cmp_lt_i32_e64 s[2:3], v26, v27
	;; [unrolled: 2-line block ×6, first 2 shown]
	s_mov_b32 s24, 0xc0c0004
	s_movk_i32 s25, 0x100
	v_add_u32_e32 v41, 0x80, v1
	s_waitcnt vmcnt(1)
	v_add_u16_e32 v42, 1, v45
	s_waitcnt vmcnt(0)
	v_add_u16_e32 v43, 1, v44
	s_branch .LBB93_2
.LBB93_1:                               ;   in Loop: Header=BB93_2 Depth=1
	s_or_b64 exec, exec, s[14:15]
	v_cmp_ge_i32_e64 s[16:17], v48, v38
	s_waitcnt lgkmcnt(0)
	v_cmp_lt_u16_sdwa s[20:21], v51, v49 src0_sel:BYTE_0 src1_sel:BYTE_0
	v_cmp_gt_i32_e64 s[14:15], s25, v47
	s_or_b64 s[16:17], s[16:17], s[20:21]
	s_and_b64 s[14:15], s[14:15], s[16:17]
	v_cndmask_b32_e64 v47, v48, v47, s[14:15]
	s_barrier
	ds_write_b8 v1, v42
	ds_write_b8 v1, v43 offset:1
	s_waitcnt lgkmcnt(0)
	s_barrier
	ds_read_u8 v42, v50
	ds_read_u8 v43, v47
	s_add_i32 s23, s23, 1
	v_cndmask_b32_e64 v44, v49, v51, s[14:15]
	s_cmp_eq_u32 s23, 10
	v_cndmask_b32_e64 v45, v45, v46, s[12:13]
	s_cbranch_scc1 .LBB93_58
.LBB93_2:                               ; =>This Loop Header: Depth=1
                                        ;     Child Loop BB93_4 Depth 2
                                        ;     Child Loop BB93_12 Depth 2
	;; [unrolled: 1-line block ×7, first 2 shown]
	v_perm_b32 v46, v44, v45, s24
	v_perm_b32 v47, v45, v44, s24
	v_cmp_lt_u16_sdwa s[12:13], v44, v45 src0_sel:BYTE_0 src1_sel:BYTE_0
	v_cndmask_b32_e64 v44, v47, v46, s[12:13]
	s_waitcnt lgkmcnt(0)
	s_barrier
	ds_write_b8 v1, v44
	v_lshrrev_b16_e32 v44, 8, v44
	v_mov_b32_e32 v45, v20
	ds_write_b8 v1, v44 offset:1
	s_waitcnt lgkmcnt(0)
	s_barrier
	s_and_saveexec_b64 s[16:17], vcc
	s_cbranch_execz .LBB93_6
; %bb.3:                                ;   in Loop: Header=BB93_2 Depth=1
	s_mov_b64 s[20:21], 0
	v_mov_b32_e32 v45, v20
	v_mov_b32_e32 v44, v21
.LBB93_4:                               ;   Parent Loop BB93_2 Depth=1
                                        ; =>  This Inner Loop Header: Depth=2
	v_sub_u32_e32 v46, v44, v45
	v_lshrrev_b32_e32 v46, 1, v46
	v_add_u32_e32 v46, v46, v45
	v_add_u32_e32 v47, v2, v46
	v_xad_u32 v48, v46, -1, v22
	ds_read_u8 v47, v47
	ds_read_u8 v48, v48
	v_add_u32_e32 v49, 1, v46
	s_waitcnt lgkmcnt(0)
	v_cmp_lt_u16_e64 s[14:15], v48, v47
	v_cndmask_b32_e64 v44, v44, v46, s[14:15]
	v_cndmask_b32_e64 v45, v49, v45, s[14:15]
	v_cmp_ge_i32_e64 s[14:15], v45, v44
	s_or_b64 s[20:21], s[14:15], s[20:21]
	s_andn2_b64 exec, exec, s[20:21]
	s_cbranch_execnz .LBB93_4
; %bb.5:                                ;   in Loop: Header=BB93_2 Depth=1
	s_or_b64 exec, exec, s[20:21]
.LBB93_6:                               ;   in Loop: Header=BB93_2 Depth=1
	s_or_b64 exec, exec, s[16:17]
	v_add_u32_e32 v44, v45, v2
	v_sub_u32_e32 v45, v22, v45
	ds_read_u8 v47, v44
	ds_read_u8 v48, v45
	v_cmp_le_i32_e64 s[16:17], v3, v44
	v_cmp_gt_i32_e64 s[14:15], v4, v45
                                        ; implicit-def: $vgpr46
	s_waitcnt lgkmcnt(0)
	v_cmp_lt_u16_sdwa s[20:21], v48, v47 src0_sel:BYTE_0 src1_sel:BYTE_0
	s_or_b64 s[16:17], s[16:17], s[20:21]
	s_and_b64 s[14:15], s[14:15], s[16:17]
	s_xor_b64 s[16:17], s[14:15], -1
	s_and_saveexec_b64 s[20:21], s[16:17]
	s_xor_b64 s[16:17], exec, s[20:21]
; %bb.7:                                ;   in Loop: Header=BB93_2 Depth=1
	ds_read_u8 v46, v44 offset:1
; %bb.8:                                ;   in Loop: Header=BB93_2 Depth=1
	s_or_saveexec_b64 s[16:17], s[16:17]
	v_mov_b32_e32 v49, v48
	s_xor_b64 exec, exec, s[16:17]
	s_cbranch_execz .LBB93_10
; %bb.9:                                ;   in Loop: Header=BB93_2 Depth=1
	ds_read_u8 v49, v45 offset:1
	s_waitcnt lgkmcnt(1)
	v_mov_b32_e32 v46, v47
.LBB93_10:                              ;   in Loop: Header=BB93_2 Depth=1
	s_or_b64 exec, exec, s[16:17]
	v_add_u32_e32 v50, 1, v44
	v_cndmask_b32_e64 v47, v47, v48, s[14:15]
	v_add_u32_e32 v48, 1, v45
	v_cndmask_b32_e64 v50, v50, v44, s[14:15]
	v_cndmask_b32_e64 v48, v45, v48, s[14:15]
	v_cndmask_b32_e64 v44, v44, v45, s[14:15]
	v_perm_b32 v45, v43, v42, s24
	v_perm_b32 v42, v42, v43, s24
	v_cmp_ge_i32_e64 s[14:15], v50, v3
	s_waitcnt lgkmcnt(0)
	v_cmp_lt_u16_sdwa s[16:17], v49, v46 src0_sel:BYTE_0 src1_sel:BYTE_0
	v_cndmask_b32_e64 v42, v42, v45, s[12:13]
	v_cmp_lt_i32_e64 s[12:13], v48, v4
	s_or_b64 s[14:15], s[14:15], s[16:17]
	s_and_b64 s[12:13], s[12:13], s[14:15]
	v_cndmask_b32_e64 v43, v50, v48, s[12:13]
	s_barrier
	ds_write_b8 v1, v42
	v_lshrrev_b16_e32 v42, 8, v42
	ds_write_b8 v1, v42 offset:1
	s_waitcnt lgkmcnt(0)
	s_barrier
	ds_read_u8 v42, v44
	ds_read_u8 v43, v43
	v_cndmask_b32_e64 v45, v46, v49, s[12:13]
	s_waitcnt lgkmcnt(0)
	s_barrier
	ds_write_b8 v1, v47
	ds_write_b8 v1, v45 offset:1
	v_mov_b32_e32 v45, v23
	s_waitcnt lgkmcnt(0)
	s_barrier
	s_and_saveexec_b64 s[14:15], s[0:1]
	s_cbranch_execz .LBB93_14
; %bb.11:                               ;   in Loop: Header=BB93_2 Depth=1
	s_mov_b64 s[16:17], 0
	v_mov_b32_e32 v45, v23
	v_mov_b32_e32 v44, v24
.LBB93_12:                              ;   Parent Loop BB93_2 Depth=1
                                        ; =>  This Inner Loop Header: Depth=2
	v_sub_u32_e32 v46, v44, v45
	v_lshrrev_b32_e32 v46, 1, v46
	v_add_u32_e32 v46, v46, v45
	v_add_u32_e32 v47, v5, v46
	v_xad_u32 v48, v46, -1, v25
	ds_read_u8 v47, v47
	ds_read_u8 v48, v48
	v_add_u32_e32 v49, 1, v46
	s_waitcnt lgkmcnt(0)
	v_cmp_lt_u16_e64 s[12:13], v48, v47
	v_cndmask_b32_e64 v44, v44, v46, s[12:13]
	v_cndmask_b32_e64 v45, v49, v45, s[12:13]
	v_cmp_ge_i32_e64 s[12:13], v45, v44
	s_or_b64 s[16:17], s[12:13], s[16:17]
	s_andn2_b64 exec, exec, s[16:17]
	s_cbranch_execnz .LBB93_12
; %bb.13:                               ;   in Loop: Header=BB93_2 Depth=1
	s_or_b64 exec, exec, s[16:17]
.LBB93_14:                              ;   in Loop: Header=BB93_2 Depth=1
	s_or_b64 exec, exec, s[14:15]
	v_add_u32_e32 v44, v45, v5
	v_sub_u32_e32 v45, v25, v45
	ds_read_u8 v46, v44
	ds_read_u8 v47, v45
	v_cmp_le_i32_e64 s[14:15], v6, v44
	v_cmp_gt_i32_e64 s[12:13], v7, v45
                                        ; implicit-def: $vgpr48
	s_waitcnt lgkmcnt(0)
	v_cmp_lt_u16_sdwa s[16:17], v47, v46 src0_sel:BYTE_0 src1_sel:BYTE_0
	s_or_b64 s[14:15], s[14:15], s[16:17]
	s_and_b64 s[12:13], s[12:13], s[14:15]
	s_xor_b64 s[14:15], s[12:13], -1
	s_and_saveexec_b64 s[16:17], s[14:15]
	s_xor_b64 s[14:15], exec, s[16:17]
; %bb.15:                               ;   in Loop: Header=BB93_2 Depth=1
	ds_read_u8 v48, v44 offset:1
; %bb.16:                               ;   in Loop: Header=BB93_2 Depth=1
	s_or_saveexec_b64 s[14:15], s[14:15]
	v_mov_b32_e32 v49, v47
	s_xor_b64 exec, exec, s[14:15]
	s_cbranch_execz .LBB93_18
; %bb.17:                               ;   in Loop: Header=BB93_2 Depth=1
	ds_read_u8 v49, v45 offset:1
	s_waitcnt lgkmcnt(1)
	v_mov_b32_e32 v48, v46
.LBB93_18:                              ;   in Loop: Header=BB93_2 Depth=1
	s_or_b64 exec, exec, s[14:15]
	v_add_u32_e32 v50, 1, v44
	v_cndmask_b32_e64 v46, v46, v47, s[12:13]
	v_add_u32_e32 v47, 1, v45
	v_cndmask_b32_e64 v50, v50, v44, s[12:13]
	v_cndmask_b32_e64 v47, v45, v47, s[12:13]
	v_cmp_ge_i32_e64 s[14:15], v50, v6
	s_waitcnt lgkmcnt(0)
	v_cmp_lt_u16_sdwa s[16:17], v49, v48 src0_sel:BYTE_0 src1_sel:BYTE_0
	v_cndmask_b32_e64 v44, v44, v45, s[12:13]
	v_cmp_lt_i32_e64 s[12:13], v47, v7
	s_or_b64 s[14:15], s[14:15], s[16:17]
	s_and_b64 s[12:13], s[12:13], s[14:15]
	v_cndmask_b32_e64 v47, v50, v47, s[12:13]
	s_barrier
	ds_write_b8 v1, v42
	ds_write_b8 v1, v43 offset:1
	s_waitcnt lgkmcnt(0)
	s_barrier
	ds_read_u8 v42, v44
	ds_read_u8 v43, v47
	v_cndmask_b32_e64 v45, v48, v49, s[12:13]
	s_waitcnt lgkmcnt(0)
	s_barrier
	ds_write_b8 v1, v46
	ds_write_b8 v1, v45 offset:1
	v_mov_b32_e32 v45, v26
	s_waitcnt lgkmcnt(0)
	s_barrier
	s_and_saveexec_b64 s[14:15], s[2:3]
	s_cbranch_execz .LBB93_22
; %bb.19:                               ;   in Loop: Header=BB93_2 Depth=1
	s_mov_b64 s[16:17], 0
	v_mov_b32_e32 v45, v26
	v_mov_b32_e32 v44, v27
.LBB93_20:                              ;   Parent Loop BB93_2 Depth=1
                                        ; =>  This Inner Loop Header: Depth=2
	v_sub_u32_e32 v46, v44, v45
	v_lshrrev_b32_e32 v46, 1, v46
	v_add_u32_e32 v46, v46, v45
	v_add_u32_e32 v47, v8, v46
	v_xad_u32 v48, v46, -1, v28
	ds_read_u8 v47, v47
	ds_read_u8 v48, v48
	v_add_u32_e32 v49, 1, v46
	s_waitcnt lgkmcnt(0)
	v_cmp_lt_u16_e64 s[12:13], v48, v47
	v_cndmask_b32_e64 v44, v44, v46, s[12:13]
	v_cndmask_b32_e64 v45, v49, v45, s[12:13]
	v_cmp_ge_i32_e64 s[12:13], v45, v44
	s_or_b64 s[16:17], s[12:13], s[16:17]
	s_andn2_b64 exec, exec, s[16:17]
	s_cbranch_execnz .LBB93_20
; %bb.21:                               ;   in Loop: Header=BB93_2 Depth=1
	s_or_b64 exec, exec, s[16:17]
.LBB93_22:                              ;   in Loop: Header=BB93_2 Depth=1
	s_or_b64 exec, exec, s[14:15]
	v_add_u32_e32 v44, v45, v8
	v_sub_u32_e32 v45, v28, v45
	ds_read_u8 v46, v44
	ds_read_u8 v47, v45
	v_cmp_le_i32_e64 s[14:15], v9, v44
	v_cmp_gt_i32_e64 s[12:13], v10, v45
                                        ; implicit-def: $vgpr48
	s_waitcnt lgkmcnt(0)
	v_cmp_lt_u16_sdwa s[16:17], v47, v46 src0_sel:BYTE_0 src1_sel:BYTE_0
	s_or_b64 s[14:15], s[14:15], s[16:17]
	s_and_b64 s[12:13], s[12:13], s[14:15]
	s_xor_b64 s[14:15], s[12:13], -1
	s_and_saveexec_b64 s[16:17], s[14:15]
	s_xor_b64 s[14:15], exec, s[16:17]
; %bb.23:                               ;   in Loop: Header=BB93_2 Depth=1
	ds_read_u8 v48, v44 offset:1
; %bb.24:                               ;   in Loop: Header=BB93_2 Depth=1
	s_or_saveexec_b64 s[14:15], s[14:15]
	v_mov_b32_e32 v49, v47
	s_xor_b64 exec, exec, s[14:15]
	s_cbranch_execz .LBB93_26
; %bb.25:                               ;   in Loop: Header=BB93_2 Depth=1
	ds_read_u8 v49, v45 offset:1
	s_waitcnt lgkmcnt(1)
	v_mov_b32_e32 v48, v46
.LBB93_26:                              ;   in Loop: Header=BB93_2 Depth=1
	s_or_b64 exec, exec, s[14:15]
	v_add_u32_e32 v50, 1, v44
	v_cndmask_b32_e64 v46, v46, v47, s[12:13]
	v_add_u32_e32 v47, 1, v45
	v_cndmask_b32_e64 v50, v50, v44, s[12:13]
	v_cndmask_b32_e64 v47, v45, v47, s[12:13]
	v_cmp_ge_i32_e64 s[14:15], v50, v9
	s_waitcnt lgkmcnt(0)
	v_cmp_lt_u16_sdwa s[16:17], v49, v48 src0_sel:BYTE_0 src1_sel:BYTE_0
	v_cndmask_b32_e64 v44, v44, v45, s[12:13]
	v_cmp_lt_i32_e64 s[12:13], v47, v10
	s_or_b64 s[14:15], s[14:15], s[16:17]
	s_and_b64 s[12:13], s[12:13], s[14:15]
	v_cndmask_b32_e64 v47, v50, v47, s[12:13]
	s_barrier
	ds_write_b8 v1, v42
	ds_write_b8 v1, v43 offset:1
	s_waitcnt lgkmcnt(0)
	s_barrier
	ds_read_u8 v42, v44
	ds_read_u8 v43, v47
	v_cndmask_b32_e64 v45, v48, v49, s[12:13]
	s_waitcnt lgkmcnt(0)
	s_barrier
	ds_write_b8 v1, v46
	ds_write_b8 v1, v45 offset:1
	v_mov_b32_e32 v45, v29
	s_waitcnt lgkmcnt(0)
	s_barrier
	s_and_saveexec_b64 s[14:15], s[4:5]
	s_cbranch_execz .LBB93_30
; %bb.27:                               ;   in Loop: Header=BB93_2 Depth=1
	s_mov_b64 s[16:17], 0
	v_mov_b32_e32 v45, v29
	v_mov_b32_e32 v44, v30
.LBB93_28:                              ;   Parent Loop BB93_2 Depth=1
                                        ; =>  This Inner Loop Header: Depth=2
	v_sub_u32_e32 v46, v44, v45
	v_lshrrev_b32_e32 v46, 1, v46
	v_add_u32_e32 v46, v46, v45
	v_add_u32_e32 v47, v11, v46
	v_xad_u32 v48, v46, -1, v31
	ds_read_u8 v47, v47
	ds_read_u8 v48, v48
	v_add_u32_e32 v49, 1, v46
	s_waitcnt lgkmcnt(0)
	v_cmp_lt_u16_e64 s[12:13], v48, v47
	v_cndmask_b32_e64 v44, v44, v46, s[12:13]
	v_cndmask_b32_e64 v45, v49, v45, s[12:13]
	v_cmp_ge_i32_e64 s[12:13], v45, v44
	s_or_b64 s[16:17], s[12:13], s[16:17]
	s_andn2_b64 exec, exec, s[16:17]
	s_cbranch_execnz .LBB93_28
; %bb.29:                               ;   in Loop: Header=BB93_2 Depth=1
	s_or_b64 exec, exec, s[16:17]
.LBB93_30:                              ;   in Loop: Header=BB93_2 Depth=1
	s_or_b64 exec, exec, s[14:15]
	v_add_u32_e32 v44, v45, v11
	v_sub_u32_e32 v45, v31, v45
	ds_read_u8 v46, v44
	ds_read_u8 v47, v45
	v_cmp_le_i32_e64 s[14:15], v12, v44
	v_cmp_gt_i32_e64 s[12:13], v13, v45
                                        ; implicit-def: $vgpr48
	s_waitcnt lgkmcnt(0)
	v_cmp_lt_u16_sdwa s[16:17], v47, v46 src0_sel:BYTE_0 src1_sel:BYTE_0
	s_or_b64 s[14:15], s[14:15], s[16:17]
	s_and_b64 s[12:13], s[12:13], s[14:15]
	s_xor_b64 s[14:15], s[12:13], -1
	s_and_saveexec_b64 s[16:17], s[14:15]
	s_xor_b64 s[14:15], exec, s[16:17]
; %bb.31:                               ;   in Loop: Header=BB93_2 Depth=1
	ds_read_u8 v48, v44 offset:1
; %bb.32:                               ;   in Loop: Header=BB93_2 Depth=1
	s_or_saveexec_b64 s[14:15], s[14:15]
	v_mov_b32_e32 v49, v47
	s_xor_b64 exec, exec, s[14:15]
	s_cbranch_execz .LBB93_34
; %bb.33:                               ;   in Loop: Header=BB93_2 Depth=1
	ds_read_u8 v49, v45 offset:1
	s_waitcnt lgkmcnt(1)
	v_mov_b32_e32 v48, v46
.LBB93_34:                              ;   in Loop: Header=BB93_2 Depth=1
	s_or_b64 exec, exec, s[14:15]
	v_add_u32_e32 v50, 1, v44
	v_cndmask_b32_e64 v46, v46, v47, s[12:13]
	v_add_u32_e32 v47, 1, v45
	v_cndmask_b32_e64 v50, v50, v44, s[12:13]
	v_cndmask_b32_e64 v47, v45, v47, s[12:13]
	v_cmp_ge_i32_e64 s[14:15], v50, v12
	s_waitcnt lgkmcnt(0)
	v_cmp_lt_u16_sdwa s[16:17], v49, v48 src0_sel:BYTE_0 src1_sel:BYTE_0
	v_cndmask_b32_e64 v44, v44, v45, s[12:13]
	v_cmp_lt_i32_e64 s[12:13], v47, v13
	s_or_b64 s[14:15], s[14:15], s[16:17]
	s_and_b64 s[12:13], s[12:13], s[14:15]
	v_cndmask_b32_e64 v47, v50, v47, s[12:13]
	s_barrier
	ds_write_b8 v1, v42
	ds_write_b8 v1, v43 offset:1
	s_waitcnt lgkmcnt(0)
	s_barrier
	ds_read_u8 v42, v44
	ds_read_u8 v43, v47
	v_cndmask_b32_e64 v45, v48, v49, s[12:13]
	s_waitcnt lgkmcnt(0)
	s_barrier
	ds_write_b8 v1, v46
	ds_write_b8 v1, v45 offset:1
	v_mov_b32_e32 v45, v32
	s_waitcnt lgkmcnt(0)
	s_barrier
	s_and_saveexec_b64 s[14:15], s[6:7]
	s_cbranch_execz .LBB93_38
; %bb.35:                               ;   in Loop: Header=BB93_2 Depth=1
	s_mov_b64 s[16:17], 0
	v_mov_b32_e32 v45, v32
	v_mov_b32_e32 v44, v33
.LBB93_36:                              ;   Parent Loop BB93_2 Depth=1
                                        ; =>  This Inner Loop Header: Depth=2
	v_sub_u32_e32 v46, v44, v45
	v_lshrrev_b32_e32 v46, 1, v46
	v_add_u32_e32 v46, v46, v45
	v_add_u32_e32 v47, v14, v46
	v_xad_u32 v48, v46, -1, v34
	ds_read_u8 v47, v47
	ds_read_u8 v48, v48
	v_add_u32_e32 v49, 1, v46
	s_waitcnt lgkmcnt(0)
	v_cmp_lt_u16_e64 s[12:13], v48, v47
	v_cndmask_b32_e64 v44, v44, v46, s[12:13]
	v_cndmask_b32_e64 v45, v49, v45, s[12:13]
	v_cmp_ge_i32_e64 s[12:13], v45, v44
	s_or_b64 s[16:17], s[12:13], s[16:17]
	s_andn2_b64 exec, exec, s[16:17]
	s_cbranch_execnz .LBB93_36
; %bb.37:                               ;   in Loop: Header=BB93_2 Depth=1
	s_or_b64 exec, exec, s[16:17]
.LBB93_38:                              ;   in Loop: Header=BB93_2 Depth=1
	s_or_b64 exec, exec, s[14:15]
	v_add_u32_e32 v44, v45, v14
	v_sub_u32_e32 v45, v34, v45
	ds_read_u8 v46, v44
	ds_read_u8 v47, v45
	v_cmp_le_i32_e64 s[14:15], v15, v44
	v_cmp_gt_i32_e64 s[12:13], v16, v45
                                        ; implicit-def: $vgpr48
	s_waitcnt lgkmcnt(0)
	v_cmp_lt_u16_sdwa s[16:17], v47, v46 src0_sel:BYTE_0 src1_sel:BYTE_0
	s_or_b64 s[14:15], s[14:15], s[16:17]
	s_and_b64 s[12:13], s[12:13], s[14:15]
	s_xor_b64 s[14:15], s[12:13], -1
	s_and_saveexec_b64 s[16:17], s[14:15]
	s_xor_b64 s[14:15], exec, s[16:17]
; %bb.39:                               ;   in Loop: Header=BB93_2 Depth=1
	ds_read_u8 v48, v44 offset:1
; %bb.40:                               ;   in Loop: Header=BB93_2 Depth=1
	s_or_saveexec_b64 s[14:15], s[14:15]
	v_mov_b32_e32 v49, v47
	s_xor_b64 exec, exec, s[14:15]
	s_cbranch_execz .LBB93_42
; %bb.41:                               ;   in Loop: Header=BB93_2 Depth=1
	ds_read_u8 v49, v45 offset:1
	s_waitcnt lgkmcnt(1)
	v_mov_b32_e32 v48, v46
.LBB93_42:                              ;   in Loop: Header=BB93_2 Depth=1
	s_or_b64 exec, exec, s[14:15]
	v_add_u32_e32 v50, 1, v44
	v_cndmask_b32_e64 v46, v46, v47, s[12:13]
	v_add_u32_e32 v47, 1, v45
	v_cndmask_b32_e64 v50, v50, v44, s[12:13]
	v_cndmask_b32_e64 v47, v45, v47, s[12:13]
	v_cmp_ge_i32_e64 s[14:15], v50, v15
	s_waitcnt lgkmcnt(0)
	v_cmp_lt_u16_sdwa s[16:17], v49, v48 src0_sel:BYTE_0 src1_sel:BYTE_0
	v_cndmask_b32_e64 v44, v44, v45, s[12:13]
	v_cmp_lt_i32_e64 s[12:13], v47, v16
	s_or_b64 s[14:15], s[14:15], s[16:17]
	s_and_b64 s[12:13], s[12:13], s[14:15]
	v_cndmask_b32_e64 v47, v50, v47, s[12:13]
	s_barrier
	ds_write_b8 v1, v42
	ds_write_b8 v1, v43 offset:1
	s_waitcnt lgkmcnt(0)
	s_barrier
	ds_read_u8 v42, v44
	ds_read_u8 v43, v47
	v_cndmask_b32_e64 v45, v48, v49, s[12:13]
	s_waitcnt lgkmcnt(0)
	s_barrier
	ds_write_b8 v1, v46
	ds_write_b8 v1, v45 offset:1
	v_mov_b32_e32 v45, v35
	s_waitcnt lgkmcnt(0)
	s_barrier
	s_and_saveexec_b64 s[14:15], s[8:9]
	s_cbranch_execz .LBB93_46
; %bb.43:                               ;   in Loop: Header=BB93_2 Depth=1
	s_mov_b64 s[16:17], 0
	v_mov_b32_e32 v45, v35
	v_mov_b32_e32 v44, v36
.LBB93_44:                              ;   Parent Loop BB93_2 Depth=1
                                        ; =>  This Inner Loop Header: Depth=2
	v_sub_u32_e32 v46, v44, v45
	v_lshrrev_b32_e32 v46, 1, v46
	v_add_u32_e32 v46, v46, v45
	v_add_u32_e32 v47, v17, v46
	v_xad_u32 v48, v46, -1, v37
	ds_read_u8 v47, v47
	ds_read_u8 v48, v48
	v_add_u32_e32 v49, 1, v46
	s_waitcnt lgkmcnt(0)
	v_cmp_lt_u16_e64 s[12:13], v48, v47
	v_cndmask_b32_e64 v44, v44, v46, s[12:13]
	v_cndmask_b32_e64 v45, v49, v45, s[12:13]
	v_cmp_ge_i32_e64 s[12:13], v45, v44
	s_or_b64 s[16:17], s[12:13], s[16:17]
	s_andn2_b64 exec, exec, s[16:17]
	s_cbranch_execnz .LBB93_44
; %bb.45:                               ;   in Loop: Header=BB93_2 Depth=1
	s_or_b64 exec, exec, s[16:17]
.LBB93_46:                              ;   in Loop: Header=BB93_2 Depth=1
	s_or_b64 exec, exec, s[14:15]
	v_add_u32_e32 v44, v45, v17
	v_sub_u32_e32 v45, v37, v45
	ds_read_u8 v46, v44
	ds_read_u8 v47, v45
	v_cmp_le_i32_e64 s[14:15], v18, v44
	v_cmp_gt_i32_e64 s[12:13], v19, v45
                                        ; implicit-def: $vgpr48
	s_waitcnt lgkmcnt(0)
	v_cmp_lt_u16_sdwa s[16:17], v47, v46 src0_sel:BYTE_0 src1_sel:BYTE_0
	s_or_b64 s[14:15], s[14:15], s[16:17]
	s_and_b64 s[12:13], s[12:13], s[14:15]
	s_xor_b64 s[14:15], s[12:13], -1
	s_and_saveexec_b64 s[16:17], s[14:15]
	s_xor_b64 s[14:15], exec, s[16:17]
; %bb.47:                               ;   in Loop: Header=BB93_2 Depth=1
	ds_read_u8 v48, v44 offset:1
; %bb.48:                               ;   in Loop: Header=BB93_2 Depth=1
	s_or_saveexec_b64 s[14:15], s[14:15]
	v_mov_b32_e32 v49, v47
	s_xor_b64 exec, exec, s[14:15]
	s_cbranch_execz .LBB93_50
; %bb.49:                               ;   in Loop: Header=BB93_2 Depth=1
	ds_read_u8 v49, v45 offset:1
	s_waitcnt lgkmcnt(1)
	v_mov_b32_e32 v48, v46
.LBB93_50:                              ;   in Loop: Header=BB93_2 Depth=1
	s_or_b64 exec, exec, s[14:15]
	v_add_u32_e32 v50, 1, v44
	v_cndmask_b32_e64 v46, v46, v47, s[12:13]
	v_add_u32_e32 v47, 1, v45
	v_cndmask_b32_e64 v50, v50, v44, s[12:13]
	v_cndmask_b32_e64 v47, v45, v47, s[12:13]
	v_cmp_ge_i32_e64 s[14:15], v50, v18
	s_waitcnt lgkmcnt(0)
	v_cmp_lt_u16_sdwa s[16:17], v49, v48 src0_sel:BYTE_0 src1_sel:BYTE_0
	v_cndmask_b32_e64 v44, v44, v45, s[12:13]
	v_cmp_lt_i32_e64 s[12:13], v47, v19
	s_or_b64 s[14:15], s[14:15], s[16:17]
	s_and_b64 s[12:13], s[12:13], s[14:15]
	v_cndmask_b32_e64 v47, v50, v47, s[12:13]
	s_barrier
	ds_write_b8 v1, v42
	ds_write_b8 v1, v43 offset:1
	s_waitcnt lgkmcnt(0)
	s_barrier
	ds_read_u8 v42, v44
	ds_read_u8 v43, v47
	v_mov_b32_e32 v44, v39
	v_cndmask_b32_e64 v45, v48, v49, s[12:13]
	s_waitcnt lgkmcnt(0)
	s_barrier
	ds_write_b8 v1, v46
	ds_write_b8 v1, v45 offset:1
	s_waitcnt lgkmcnt(0)
	s_barrier
	s_and_saveexec_b64 s[14:15], s[10:11]
	s_cbranch_execz .LBB93_54
; %bb.51:                               ;   in Loop: Header=BB93_2 Depth=1
	s_mov_b64 s[16:17], 0
	v_mov_b32_e32 v44, v39
	v_mov_b32_e32 v45, v40
.LBB93_52:                              ;   Parent Loop BB93_2 Depth=1
                                        ; =>  This Inner Loop Header: Depth=2
	v_sub_u32_e32 v46, v45, v44
	v_lshrrev_b32_e32 v46, 1, v46
	v_add_u32_e32 v46, v46, v44
	v_xad_u32 v47, v46, -1, v41
	ds_read_u8 v48, v46
	ds_read_u8 v47, v47
	v_add_u32_e32 v49, 1, v46
	s_waitcnt lgkmcnt(0)
	v_cmp_lt_u16_e64 s[12:13], v47, v48
	v_cndmask_b32_e64 v45, v45, v46, s[12:13]
	v_cndmask_b32_e64 v44, v49, v44, s[12:13]
	v_cmp_ge_i32_e64 s[12:13], v44, v45
	s_or_b64 s[16:17], s[12:13], s[16:17]
	s_andn2_b64 exec, exec, s[16:17]
	s_cbranch_execnz .LBB93_52
; %bb.53:                               ;   in Loop: Header=BB93_2 Depth=1
	s_or_b64 exec, exec, s[16:17]
.LBB93_54:                              ;   in Loop: Header=BB93_2 Depth=1
	s_or_b64 exec, exec, s[14:15]
	v_sub_u32_e32 v47, v41, v44
	ds_read_u8 v45, v44
	ds_read_u8 v46, v47
	v_cmp_le_i32_e64 s[14:15], v38, v44
	v_cmp_gt_i32_e64 s[12:13], s25, v47
                                        ; implicit-def: $vgpr49
                                        ; implicit-def: $vgpr48
	s_waitcnt lgkmcnt(0)
	v_cmp_lt_u16_sdwa s[16:17], v46, v45 src0_sel:BYTE_0 src1_sel:BYTE_0
	s_or_b64 s[14:15], s[14:15], s[16:17]
	s_and_b64 s[12:13], s[12:13], s[14:15]
	s_xor_b64 s[14:15], s[12:13], -1
	s_and_saveexec_b64 s[16:17], s[14:15]
	s_xor_b64 s[14:15], exec, s[16:17]
; %bb.55:                               ;   in Loop: Header=BB93_2 Depth=1
	ds_read_u8 v49, v44 offset:1
	v_add_u32_e32 v48, 1, v44
; %bb.56:                               ;   in Loop: Header=BB93_2 Depth=1
	s_or_saveexec_b64 s[14:15], s[14:15]
	v_mov_b32_e32 v50, v44
	v_mov_b32_e32 v51, v46
	s_xor_b64 exec, exec, s[14:15]
	s_cbranch_execz .LBB93_1
; %bb.57:                               ;   in Loop: Header=BB93_2 Depth=1
	ds_read_u8 v51, v47 offset:1
	s_waitcnt lgkmcnt(1)
	v_add_u32_e32 v49, 1, v47
	v_mov_b32_e32 v50, v47
	v_mov_b32_e32 v48, v44
	;; [unrolled: 1-line block ×4, first 2 shown]
	s_branch .LBB93_1
.LBB93_58:
	s_add_u32 s0, s18, s22
	s_addc_u32 s1, s19, 0
	v_mov_b32_e32 v1, s1
	v_add_co_u32_e32 v0, vcc, s0, v0
	s_waitcnt lgkmcnt(1)
	v_add_u16_e32 v2, v45, v42
	v_addc_co_u32_e32 v1, vcc, 0, v1, vcc
	s_waitcnt lgkmcnt(0)
	v_add_u16_e32 v3, v44, v43
	global_store_byte v[0:1], v2, off
	global_store_byte v[0:1], v3, off offset:128
	s_endpgm
	.section	.rodata,"a",@progbits
	.p2align	6, 0x0
	.amdhsa_kernel _Z17sort_pairs_kernelIhLj128ELj2EN10test_utils4lessELj10EEvPKT_PS2_T2_
		.amdhsa_group_segment_fixed_size 257
		.amdhsa_private_segment_fixed_size 0
		.amdhsa_kernarg_size 20
		.amdhsa_user_sgpr_count 6
		.amdhsa_user_sgpr_private_segment_buffer 1
		.amdhsa_user_sgpr_dispatch_ptr 0
		.amdhsa_user_sgpr_queue_ptr 0
		.amdhsa_user_sgpr_kernarg_segment_ptr 1
		.amdhsa_user_sgpr_dispatch_id 0
		.amdhsa_user_sgpr_flat_scratch_init 0
		.amdhsa_user_sgpr_private_segment_size 0
		.amdhsa_uses_dynamic_stack 0
		.amdhsa_system_sgpr_private_segment_wavefront_offset 0
		.amdhsa_system_sgpr_workgroup_id_x 1
		.amdhsa_system_sgpr_workgroup_id_y 0
		.amdhsa_system_sgpr_workgroup_id_z 0
		.amdhsa_system_sgpr_workgroup_info 0
		.amdhsa_system_vgpr_workitem_id 0
		.amdhsa_next_free_vgpr 52
		.amdhsa_next_free_sgpr 26
		.amdhsa_reserve_vcc 1
		.amdhsa_reserve_flat_scratch 0
		.amdhsa_float_round_mode_32 0
		.amdhsa_float_round_mode_16_64 0
		.amdhsa_float_denorm_mode_32 3
		.amdhsa_float_denorm_mode_16_64 3
		.amdhsa_dx10_clamp 1
		.amdhsa_ieee_mode 1
		.amdhsa_fp16_overflow 0
		.amdhsa_exception_fp_ieee_invalid_op 0
		.amdhsa_exception_fp_denorm_src 0
		.amdhsa_exception_fp_ieee_div_zero 0
		.amdhsa_exception_fp_ieee_overflow 0
		.amdhsa_exception_fp_ieee_underflow 0
		.amdhsa_exception_fp_ieee_inexact 0
		.amdhsa_exception_int_div_zero 0
	.end_amdhsa_kernel
	.section	.text._Z17sort_pairs_kernelIhLj128ELj2EN10test_utils4lessELj10EEvPKT_PS2_T2_,"axG",@progbits,_Z17sort_pairs_kernelIhLj128ELj2EN10test_utils4lessELj10EEvPKT_PS2_T2_,comdat
.Lfunc_end93:
	.size	_Z17sort_pairs_kernelIhLj128ELj2EN10test_utils4lessELj10EEvPKT_PS2_T2_, .Lfunc_end93-_Z17sort_pairs_kernelIhLj128ELj2EN10test_utils4lessELj10EEvPKT_PS2_T2_
                                        ; -- End function
	.set _Z17sort_pairs_kernelIhLj128ELj2EN10test_utils4lessELj10EEvPKT_PS2_T2_.num_vgpr, 52
	.set _Z17sort_pairs_kernelIhLj128ELj2EN10test_utils4lessELj10EEvPKT_PS2_T2_.num_agpr, 0
	.set _Z17sort_pairs_kernelIhLj128ELj2EN10test_utils4lessELj10EEvPKT_PS2_T2_.numbered_sgpr, 26
	.set _Z17sort_pairs_kernelIhLj128ELj2EN10test_utils4lessELj10EEvPKT_PS2_T2_.num_named_barrier, 0
	.set _Z17sort_pairs_kernelIhLj128ELj2EN10test_utils4lessELj10EEvPKT_PS2_T2_.private_seg_size, 0
	.set _Z17sort_pairs_kernelIhLj128ELj2EN10test_utils4lessELj10EEvPKT_PS2_T2_.uses_vcc, 1
	.set _Z17sort_pairs_kernelIhLj128ELj2EN10test_utils4lessELj10EEvPKT_PS2_T2_.uses_flat_scratch, 0
	.set _Z17sort_pairs_kernelIhLj128ELj2EN10test_utils4lessELj10EEvPKT_PS2_T2_.has_dyn_sized_stack, 0
	.set _Z17sort_pairs_kernelIhLj128ELj2EN10test_utils4lessELj10EEvPKT_PS2_T2_.has_recursion, 0
	.set _Z17sort_pairs_kernelIhLj128ELj2EN10test_utils4lessELj10EEvPKT_PS2_T2_.has_indirect_call, 0
	.section	.AMDGPU.csdata,"",@progbits
; Kernel info:
; codeLenInByte = 3476
; TotalNumSgprs: 30
; NumVgprs: 52
; ScratchSize: 0
; MemoryBound: 0
; FloatMode: 240
; IeeeMode: 1
; LDSByteSize: 257 bytes/workgroup (compile time only)
; SGPRBlocks: 3
; VGPRBlocks: 12
; NumSGPRsForWavesPerEU: 30
; NumVGPRsForWavesPerEU: 52
; Occupancy: 4
; WaveLimiterHint : 1
; COMPUTE_PGM_RSRC2:SCRATCH_EN: 0
; COMPUTE_PGM_RSRC2:USER_SGPR: 6
; COMPUTE_PGM_RSRC2:TRAP_HANDLER: 0
; COMPUTE_PGM_RSRC2:TGID_X_EN: 1
; COMPUTE_PGM_RSRC2:TGID_Y_EN: 0
; COMPUTE_PGM_RSRC2:TGID_Z_EN: 0
; COMPUTE_PGM_RSRC2:TIDIG_COMP_CNT: 0
	.section	.text._Z16sort_keys_kernelIhLj128ELj3EN10test_utils4lessELj10EEvPKT_PS2_T2_,"axG",@progbits,_Z16sort_keys_kernelIhLj128ELj3EN10test_utils4lessELj10EEvPKT_PS2_T2_,comdat
	.protected	_Z16sort_keys_kernelIhLj128ELj3EN10test_utils4lessELj10EEvPKT_PS2_T2_ ; -- Begin function _Z16sort_keys_kernelIhLj128ELj3EN10test_utils4lessELj10EEvPKT_PS2_T2_
	.globl	_Z16sort_keys_kernelIhLj128ELj3EN10test_utils4lessELj10EEvPKT_PS2_T2_
	.p2align	8
	.type	_Z16sort_keys_kernelIhLj128ELj3EN10test_utils4lessELj10EEvPKT_PS2_T2_,@function
_Z16sort_keys_kernelIhLj128ELj3EN10test_utils4lessELj10EEvPKT_PS2_T2_: ; @_Z16sort_keys_kernelIhLj128ELj3EN10test_utils4lessELj10EEvPKT_PS2_T2_
; %bb.0:
	s_load_dwordx4 s[16:19], s[4:5], 0x0
	s_mul_i32 s20, s6, 0x180
	v_and_b32_e32 v1, 0x7e, v0
	v_and_b32_e32 v2, 1, v0
	;; [unrolled: 1-line block ×3, first 2 shown]
	s_waitcnt lgkmcnt(0)
	s_add_u32 s0, s16, s20
	s_addc_u32 s1, s17, 0
	global_load_ubyte v23, v0, s[0:1] offset:128
	global_load_ubyte v24, v0, s[0:1] offset:256
	global_load_ubyte v25, v0, s[0:1]
	v_and_b32_e32 v4, 0x78, v0
	v_and_b32_e32 v5, 0x70, v0
	;; [unrolled: 1-line block ×4, first 2 shown]
	v_mul_u32_u24_e32 v26, 3, v1
	v_cmp_eq_u32_e32 vcc, 1, v2
	v_mul_u32_u24_e32 v2, 3, v3
	v_mul_u32_u24_e32 v3, 3, v4
	;; [unrolled: 1-line block ×5, first 2 shown]
	s_mov_b32 s0, 0xc0c0004
	v_min_u32_e32 v29, 0x17d, v26
	v_min_u32_e32 v7, 0x17a, v26
	;; [unrolled: 1-line block ×12, first 2 shown]
	v_and_b32_e32 v30, 3, v0
	v_and_b32_e32 v33, 7, v0
	v_and_b32_e32 v36, 15, v0
	v_and_b32_e32 v39, 31, v0
	v_and_b32_e32 v42, 63, v0
	v_min_u32_e32 v1, 0x180, v2
	v_min_u32_e32 v2, 0x180, v3
	;; [unrolled: 1-line block ×5, first 2 shown]
	v_add_u32_e32 v6, 3, v29
	v_add_u32_e32 v7, 6, v7
	;; [unrolled: 1-line block ×12, first 2 shown]
	v_cndmask_b32_e64 v27, 0, 3, vcc
	v_mul_u32_u24_e32 v28, 3, v30
	v_mul_u32_u24_e32 v31, 3, v33
	;; [unrolled: 1-line block ×5, first 2 shown]
	v_sub_u32_e32 v44, v7, v6
	v_sub_u32_e32 v45, v9, v8
	;; [unrolled: 1-line block ×17, first 2 shown]
	v_cmp_ge_i32_e32 vcc, v27, v44
	v_cmp_ge_i32_e64 s[2:3], v31, v46
	v_cmp_ge_i32_e64 s[4:5], v34, v47
	;; [unrolled: 1-line block ×4, first 2 shown]
	v_mov_b32_e32 v44, 0xc0
	v_min_i32_e32 v18, v28, v18
	v_min_i32_e32 v19, v31, v19
	;; [unrolled: 1-line block ×4, first 2 shown]
	s_waitcnt vmcnt(0)
	v_perm_b32 v23, v25, v23, s0
	v_lshl_or_b32 v49, v24, 16, v23
	v_min_u32_e32 v23, 0x180, v26
	v_sub_u32_e32 v25, v6, v23
	v_add_u32_e32 v26, v29, v27
	v_cmp_ge_i32_e64 s[0:1], v28, v45
	v_mad_u32_u24 v29, v30, 3, v32
	v_mad_u32_u24 v32, v33, 3, v35
	;; [unrolled: 1-line block ×5, first 2 shown]
	v_mul_u32_u24_e32 v43, 3, v0
	v_min_i32_e32 v22, v40, v22
	v_cndmask_b32_e32 v24, 0, v51, vcc
	v_min_i32_e32 v25, v27, v25
	v_cndmask_b32_e64 v28, 0, v52, s[0:1]
	v_cndmask_b32_e64 v31, 0, v53, s[2:3]
	;; [unrolled: 1-line block ×5, first 2 shown]
	v_sub_u32_e64 v45, v43, v44 clamp
	v_min_i32_e32 v46, 0xc0, v43
	s_movk_i32 s21, 0x180
	s_mov_b32 s22, 0
	v_cmp_lt_i32_e32 vcc, v24, v25
	v_add_u32_e32 v27, v6, v27
	v_cmp_lt_i32_e64 s[0:1], v28, v18
	v_mad_u32_u24 v30, v30, 3, v8
	v_cmp_lt_i32_e64 s[2:3], v31, v19
	v_mad_u32_u24 v33, v33, 3, v10
	;; [unrolled: 2-line block ×5, first 2 shown]
	v_cmp_lt_i32_e64 s[10:11], v45, v46
	s_mov_b32 s23, 0x7060405
	s_movk_i32 s24, 0xff
	s_movk_i32 s25, 0xff00
	s_mov_b32 s26, 0xffff0000
	v_mad_u32_u24 v47, v0, 3, v44
	v_mov_b32_e32 v48, 8
	s_branch .LBB94_2
.LBB94_1:                               ;   in Loop: Header=BB94_2 Depth=1
	s_or_b64 exec, exec, s[16:17]
	v_cndmask_b32_e64 v52, v52, v53, s[14:15]
	v_cmp_ge_i32_e64 s[14:15], v55, v44
	s_waitcnt lgkmcnt(0)
	v_cmp_lt_u16_sdwa s[16:17], v57, v51 src0_sel:BYTE_0 src1_sel:BYTE_0
	v_cndmask_b32_e64 v50, v49, v50, s[12:13]
	v_cmp_gt_i32_e64 s[12:13], s21, v54
	s_or_b64 s[14:15], s[14:15], s[16:17]
	s_and_b64 s[12:13], s[12:13], s[14:15]
	v_cndmask_b32_e64 v51, v51, v57, s[12:13]
	v_lshlrev_b16_e32 v49, 8, v52
	v_and_b32_e32 v53, 0xff, v51
	v_or_b32_sdwa v49, v50, v49 dst_sel:DWORD dst_unused:UNUSED_PAD src0_sel:BYTE_0 src1_sel:DWORD
	v_lshlrev_b32_e32 v53, 16, v53
	s_add_i32 s22, s22, 1
	s_cmp_eq_u32 s22, 10
	v_or_b32_sdwa v49, v49, v53 dst_sel:DWORD dst_unused:UNUSED_PAD src0_sel:WORD_0 src1_sel:DWORD
	s_cbranch_scc1 .LBB94_86
.LBB94_2:                               ; =>This Loop Header: Depth=1
                                        ;     Child Loop BB94_4 Depth 2
                                        ;     Child Loop BB94_16 Depth 2
	;; [unrolled: 1-line block ×7, first 2 shown]
	v_lshrrev_b32_e32 v51, 8, v49
	v_perm_b32 v50, v49, v49, s23
	v_cmp_lt_u16_sdwa s[12:13], v51, v49 src0_sel:BYTE_0 src1_sel:BYTE_0
	v_cndmask_b32_e64 v50, v49, v50, s[12:13]
	v_and_b32_sdwa v52, v50, s25 dst_sel:DWORD dst_unused:UNUSED_PAD src0_sel:WORD_1 src1_sel:DWORD
	v_max_u16_sdwa v53, v51, v49 dst_sel:DWORD dst_unused:UNUSED_PAD src0_sel:BYTE_0 src1_sel:BYTE_0
	v_lshlrev_b16_sdwa v54, v48, v50 dst_sel:DWORD dst_unused:UNUSED_PAD src0_sel:DWORD src1_sel:WORD_1
	v_or_b32_sdwa v52, v53, v52 dst_sel:WORD_1 dst_unused:UNUSED_PAD src0_sel:DWORD src1_sel:DWORD
	v_min_u16_sdwa v49, v51, v49 dst_sel:DWORD dst_unused:UNUSED_PAD src0_sel:BYTE_0 src1_sel:BYTE_0
	v_and_b32_sdwa v51, v50, s24 dst_sel:DWORD dst_unused:UNUSED_PAD src0_sel:WORD_1 src1_sel:DWORD
	v_or_b32_sdwa v54, v50, v54 dst_sel:DWORD dst_unused:UNUSED_PAD src0_sel:BYTE_0 src1_sel:DWORD
	v_or_b32_sdwa v52, v54, v52 dst_sel:DWORD dst_unused:UNUSED_PAD src0_sel:WORD_0 src1_sel:DWORD
	v_cmp_lt_u16_e64 s[12:13], v51, v53
	v_cndmask_b32_e64 v50, v50, v52, s[12:13]
	v_min_u16_e32 v52, v51, v53
	v_lshlrev_b16_e32 v53, 8, v49
	v_or_b32_e32 v52, v52, v53
	v_and_b32_e32 v52, 0xffff, v52
	v_and_or_b32 v52, v50, s26, v52
	v_cmp_lt_u16_e64 s[12:13], v51, v49
	v_cndmask_b32_e64 v49, v50, v52, s[12:13]
	v_lshrrev_b32_e32 v50, 8, v49
	v_mov_b32_e32 v51, v24
	s_barrier
	ds_write_b8 v43, v49
	ds_write_b8 v43, v50 offset:1
	ds_write_b8_d16_hi v43, v49 offset:2
	s_waitcnt lgkmcnt(0)
	s_barrier
	s_and_saveexec_b64 s[14:15], vcc
	s_cbranch_execz .LBB94_6
; %bb.3:                                ;   in Loop: Header=BB94_2 Depth=1
	s_mov_b64 s[16:17], 0
	v_mov_b32_e32 v51, v24
	v_mov_b32_e32 v49, v25
.LBB94_4:                               ;   Parent Loop BB94_2 Depth=1
                                        ; =>  This Inner Loop Header: Depth=2
	v_sub_u32_e32 v50, v49, v51
	v_lshrrev_b32_e32 v50, 1, v50
	v_add_u32_e32 v50, v50, v51
	v_add_u32_e32 v52, v23, v50
	v_xad_u32 v53, v50, -1, v26
	ds_read_u8 v52, v52
	ds_read_u8 v53, v53 offset:3
	v_add_u32_e32 v54, 1, v50
	s_waitcnt lgkmcnt(0)
	v_cmp_lt_u16_e64 s[12:13], v53, v52
	v_cndmask_b32_e64 v49, v49, v50, s[12:13]
	v_cndmask_b32_e64 v51, v54, v51, s[12:13]
	v_cmp_ge_i32_e64 s[12:13], v51, v49
	s_or_b64 s[16:17], s[12:13], s[16:17]
	s_andn2_b64 exec, exec, s[16:17]
	s_cbranch_execnz .LBB94_4
; %bb.5:                                ;   in Loop: Header=BB94_2 Depth=1
	s_or_b64 exec, exec, s[16:17]
.LBB94_6:                               ;   in Loop: Header=BB94_2 Depth=1
	s_or_b64 exec, exec, s[14:15]
	v_add_u32_e32 v52, v51, v23
	v_sub_u32_e32 v55, v26, v51
	ds_read_u8 v49, v52
	ds_read_u8 v50, v55 offset:3
	v_sub_u32_e32 v54, v27, v51
	v_cmp_le_i32_e64 s[14:15], v6, v52
	v_cmp_gt_i32_e64 s[12:13], v7, v54
                                        ; implicit-def: $vgpr51
	s_waitcnt lgkmcnt(0)
	v_cmp_lt_u16_sdwa s[16:17], v50, v49 src0_sel:BYTE_0 src1_sel:BYTE_0
	s_or_b64 s[14:15], s[14:15], s[16:17]
	s_and_b64 s[12:13], s[12:13], s[14:15]
	s_xor_b64 s[14:15], s[12:13], -1
	s_and_saveexec_b64 s[16:17], s[14:15]
	s_xor_b64 s[14:15], exec, s[16:17]
; %bb.7:                                ;   in Loop: Header=BB94_2 Depth=1
	ds_read_u8 v51, v52 offset:1
                                        ; implicit-def: $vgpr55
; %bb.8:                                ;   in Loop: Header=BB94_2 Depth=1
	s_or_saveexec_b64 s[14:15], s[14:15]
	v_mov_b32_e32 v53, v50
	s_xor_b64 exec, exec, s[14:15]
	s_cbranch_execz .LBB94_10
; %bb.9:                                ;   in Loop: Header=BB94_2 Depth=1
	ds_read_u8 v53, v55 offset:4
	s_waitcnt lgkmcnt(1)
	v_mov_b32_e32 v51, v49
.LBB94_10:                              ;   in Loop: Header=BB94_2 Depth=1
	s_or_b64 exec, exec, s[14:15]
	v_add_u32_e32 v56, 1, v52
	v_add_u32_e32 v55, 1, v54
	v_cndmask_b32_e64 v52, v56, v52, s[12:13]
	v_cndmask_b32_e64 v54, v54, v55, s[12:13]
	v_cmp_ge_i32_e64 s[16:17], v52, v6
	s_waitcnt lgkmcnt(0)
	v_cmp_lt_u16_sdwa s[28:29], v53, v51 src0_sel:BYTE_0 src1_sel:BYTE_0
	v_cmp_lt_i32_e64 s[14:15], v54, v7
	s_or_b64 s[16:17], s[16:17], s[28:29]
	s_and_b64 s[14:15], s[14:15], s[16:17]
	s_xor_b64 s[16:17], s[14:15], -1
                                        ; implicit-def: $vgpr55
	s_and_saveexec_b64 s[28:29], s[16:17]
	s_xor_b64 s[16:17], exec, s[28:29]
; %bb.11:                               ;   in Loop: Header=BB94_2 Depth=1
	ds_read_u8 v55, v52 offset:1
; %bb.12:                               ;   in Loop: Header=BB94_2 Depth=1
	s_or_saveexec_b64 s[16:17], s[16:17]
	v_mov_b32_e32 v56, v53
	s_xor_b64 exec, exec, s[16:17]
	s_cbranch_execz .LBB94_14
; %bb.13:                               ;   in Loop: Header=BB94_2 Depth=1
	ds_read_u8 v56, v54 offset:1
	s_waitcnt lgkmcnt(1)
	v_mov_b32_e32 v55, v51
.LBB94_14:                              ;   in Loop: Header=BB94_2 Depth=1
	s_or_b64 exec, exec, s[16:17]
	v_add_u32_e32 v57, 1, v52
	v_cndmask_b32_e64 v51, v51, v53, s[14:15]
	v_add_u32_e32 v53, 1, v54
	v_cndmask_b32_e64 v52, v57, v52, s[14:15]
	v_cndmask_b32_e64 v53, v54, v53, s[14:15]
	v_cmp_ge_i32_e64 s[14:15], v52, v6
	s_waitcnt lgkmcnt(0)
	v_cmp_lt_u16_sdwa s[16:17], v56, v55 src0_sel:BYTE_0 src1_sel:BYTE_0
	v_cndmask_b32_e64 v49, v49, v50, s[12:13]
	v_cmp_lt_i32_e64 s[12:13], v53, v7
	s_or_b64 s[14:15], s[14:15], s[16:17]
	s_and_b64 s[12:13], s[12:13], s[14:15]
	v_cndmask_b32_e64 v50, v55, v56, s[12:13]
	s_barrier
	ds_write_b8 v43, v49
	ds_write_b8 v43, v51 offset:1
	ds_write_b8 v43, v50 offset:2
	v_mov_b32_e32 v51, v28
	s_waitcnt lgkmcnt(0)
	s_barrier
	s_and_saveexec_b64 s[14:15], s[0:1]
	s_cbranch_execz .LBB94_18
; %bb.15:                               ;   in Loop: Header=BB94_2 Depth=1
	s_mov_b64 s[16:17], 0
	v_mov_b32_e32 v51, v28
	v_mov_b32_e32 v49, v18
.LBB94_16:                              ;   Parent Loop BB94_2 Depth=1
                                        ; =>  This Inner Loop Header: Depth=2
	v_sub_u32_e32 v50, v49, v51
	v_lshrrev_b32_e32 v50, 1, v50
	v_add_u32_e32 v50, v50, v51
	v_add_u32_e32 v52, v1, v50
	v_xad_u32 v53, v50, -1, v29
	ds_read_u8 v52, v52
	ds_read_u8 v53, v53 offset:6
	v_add_u32_e32 v54, 1, v50
	s_waitcnt lgkmcnt(0)
	v_cmp_lt_u16_e64 s[12:13], v53, v52
	v_cndmask_b32_e64 v49, v49, v50, s[12:13]
	v_cndmask_b32_e64 v51, v54, v51, s[12:13]
	v_cmp_ge_i32_e64 s[12:13], v51, v49
	s_or_b64 s[16:17], s[12:13], s[16:17]
	s_andn2_b64 exec, exec, s[16:17]
	s_cbranch_execnz .LBB94_16
; %bb.17:                               ;   in Loop: Header=BB94_2 Depth=1
	s_or_b64 exec, exec, s[16:17]
.LBB94_18:                              ;   in Loop: Header=BB94_2 Depth=1
	s_or_b64 exec, exec, s[14:15]
	v_add_u32_e32 v52, v51, v1
	v_sub_u32_e32 v55, v29, v51
	ds_read_u8 v49, v52
	ds_read_u8 v50, v55 offset:6
	v_sub_u32_e32 v54, v30, v51
	v_cmp_le_i32_e64 s[14:15], v8, v52
	v_cmp_gt_i32_e64 s[12:13], v9, v54
                                        ; implicit-def: $vgpr51
	s_waitcnt lgkmcnt(0)
	v_cmp_lt_u16_sdwa s[16:17], v50, v49 src0_sel:BYTE_0 src1_sel:BYTE_0
	s_or_b64 s[14:15], s[14:15], s[16:17]
	s_and_b64 s[12:13], s[12:13], s[14:15]
	s_xor_b64 s[14:15], s[12:13], -1
	s_and_saveexec_b64 s[16:17], s[14:15]
	s_xor_b64 s[14:15], exec, s[16:17]
; %bb.19:                               ;   in Loop: Header=BB94_2 Depth=1
	ds_read_u8 v51, v52 offset:1
                                        ; implicit-def: $vgpr55
; %bb.20:                               ;   in Loop: Header=BB94_2 Depth=1
	s_or_saveexec_b64 s[14:15], s[14:15]
	v_mov_b32_e32 v53, v50
	s_xor_b64 exec, exec, s[14:15]
	s_cbranch_execz .LBB94_22
; %bb.21:                               ;   in Loop: Header=BB94_2 Depth=1
	ds_read_u8 v53, v55 offset:7
	s_waitcnt lgkmcnt(1)
	v_mov_b32_e32 v51, v49
.LBB94_22:                              ;   in Loop: Header=BB94_2 Depth=1
	s_or_b64 exec, exec, s[14:15]
	v_add_u32_e32 v56, 1, v52
	v_add_u32_e32 v55, 1, v54
	v_cndmask_b32_e64 v52, v56, v52, s[12:13]
	v_cndmask_b32_e64 v54, v54, v55, s[12:13]
	v_cmp_ge_i32_e64 s[16:17], v52, v8
	s_waitcnt lgkmcnt(0)
	v_cmp_lt_u16_sdwa s[28:29], v53, v51 src0_sel:BYTE_0 src1_sel:BYTE_0
	v_cmp_lt_i32_e64 s[14:15], v54, v9
	s_or_b64 s[16:17], s[16:17], s[28:29]
	s_and_b64 s[14:15], s[14:15], s[16:17]
	s_xor_b64 s[16:17], s[14:15], -1
                                        ; implicit-def: $vgpr55
	s_and_saveexec_b64 s[28:29], s[16:17]
	s_xor_b64 s[16:17], exec, s[28:29]
; %bb.23:                               ;   in Loop: Header=BB94_2 Depth=1
	ds_read_u8 v55, v52 offset:1
; %bb.24:                               ;   in Loop: Header=BB94_2 Depth=1
	s_or_saveexec_b64 s[16:17], s[16:17]
	v_mov_b32_e32 v56, v53
	s_xor_b64 exec, exec, s[16:17]
	s_cbranch_execz .LBB94_26
; %bb.25:                               ;   in Loop: Header=BB94_2 Depth=1
	ds_read_u8 v56, v54 offset:1
	s_waitcnt lgkmcnt(1)
	v_mov_b32_e32 v55, v51
.LBB94_26:                              ;   in Loop: Header=BB94_2 Depth=1
	s_or_b64 exec, exec, s[16:17]
	v_add_u32_e32 v57, 1, v52
	v_cndmask_b32_e64 v51, v51, v53, s[14:15]
	v_add_u32_e32 v53, 1, v54
	v_cndmask_b32_e64 v52, v57, v52, s[14:15]
	v_cndmask_b32_e64 v53, v54, v53, s[14:15]
	v_cmp_ge_i32_e64 s[14:15], v52, v8
	s_waitcnt lgkmcnt(0)
	v_cmp_lt_u16_sdwa s[16:17], v56, v55 src0_sel:BYTE_0 src1_sel:BYTE_0
	v_cndmask_b32_e64 v49, v49, v50, s[12:13]
	v_cmp_lt_i32_e64 s[12:13], v53, v9
	s_or_b64 s[14:15], s[14:15], s[16:17]
	s_and_b64 s[12:13], s[12:13], s[14:15]
	v_cndmask_b32_e64 v50, v55, v56, s[12:13]
	s_barrier
	ds_write_b8 v43, v49
	ds_write_b8 v43, v51 offset:1
	ds_write_b8 v43, v50 offset:2
	v_mov_b32_e32 v51, v31
	s_waitcnt lgkmcnt(0)
	s_barrier
	s_and_saveexec_b64 s[14:15], s[2:3]
	s_cbranch_execz .LBB94_30
; %bb.27:                               ;   in Loop: Header=BB94_2 Depth=1
	s_mov_b64 s[16:17], 0
	v_mov_b32_e32 v51, v31
	v_mov_b32_e32 v49, v19
.LBB94_28:                              ;   Parent Loop BB94_2 Depth=1
                                        ; =>  This Inner Loop Header: Depth=2
	v_sub_u32_e32 v50, v49, v51
	v_lshrrev_b32_e32 v50, 1, v50
	v_add_u32_e32 v50, v50, v51
	v_add_u32_e32 v52, v2, v50
	v_xad_u32 v53, v50, -1, v32
	ds_read_u8 v52, v52
	ds_read_u8 v53, v53 offset:12
	v_add_u32_e32 v54, 1, v50
	s_waitcnt lgkmcnt(0)
	v_cmp_lt_u16_e64 s[12:13], v53, v52
	v_cndmask_b32_e64 v49, v49, v50, s[12:13]
	v_cndmask_b32_e64 v51, v54, v51, s[12:13]
	v_cmp_ge_i32_e64 s[12:13], v51, v49
	s_or_b64 s[16:17], s[12:13], s[16:17]
	s_andn2_b64 exec, exec, s[16:17]
	s_cbranch_execnz .LBB94_28
; %bb.29:                               ;   in Loop: Header=BB94_2 Depth=1
	s_or_b64 exec, exec, s[16:17]
.LBB94_30:                              ;   in Loop: Header=BB94_2 Depth=1
	s_or_b64 exec, exec, s[14:15]
	v_add_u32_e32 v52, v51, v2
	v_sub_u32_e32 v55, v32, v51
	ds_read_u8 v49, v52
	ds_read_u8 v50, v55 offset:12
	v_sub_u32_e32 v54, v33, v51
	v_cmp_le_i32_e64 s[14:15], v10, v52
	v_cmp_gt_i32_e64 s[12:13], v11, v54
                                        ; implicit-def: $vgpr51
	s_waitcnt lgkmcnt(0)
	v_cmp_lt_u16_sdwa s[16:17], v50, v49 src0_sel:BYTE_0 src1_sel:BYTE_0
	s_or_b64 s[14:15], s[14:15], s[16:17]
	s_and_b64 s[12:13], s[12:13], s[14:15]
	s_xor_b64 s[14:15], s[12:13], -1
	s_and_saveexec_b64 s[16:17], s[14:15]
	s_xor_b64 s[14:15], exec, s[16:17]
; %bb.31:                               ;   in Loop: Header=BB94_2 Depth=1
	ds_read_u8 v51, v52 offset:1
                                        ; implicit-def: $vgpr55
; %bb.32:                               ;   in Loop: Header=BB94_2 Depth=1
	s_or_saveexec_b64 s[14:15], s[14:15]
	v_mov_b32_e32 v53, v50
	s_xor_b64 exec, exec, s[14:15]
	s_cbranch_execz .LBB94_34
; %bb.33:                               ;   in Loop: Header=BB94_2 Depth=1
	ds_read_u8 v53, v55 offset:13
	s_waitcnt lgkmcnt(1)
	v_mov_b32_e32 v51, v49
.LBB94_34:                              ;   in Loop: Header=BB94_2 Depth=1
	s_or_b64 exec, exec, s[14:15]
	v_add_u32_e32 v56, 1, v52
	v_add_u32_e32 v55, 1, v54
	v_cndmask_b32_e64 v52, v56, v52, s[12:13]
	v_cndmask_b32_e64 v54, v54, v55, s[12:13]
	v_cmp_ge_i32_e64 s[16:17], v52, v10
	s_waitcnt lgkmcnt(0)
	v_cmp_lt_u16_sdwa s[28:29], v53, v51 src0_sel:BYTE_0 src1_sel:BYTE_0
	v_cmp_lt_i32_e64 s[14:15], v54, v11
	s_or_b64 s[16:17], s[16:17], s[28:29]
	s_and_b64 s[14:15], s[14:15], s[16:17]
	s_xor_b64 s[16:17], s[14:15], -1
                                        ; implicit-def: $vgpr55
	s_and_saveexec_b64 s[28:29], s[16:17]
	s_xor_b64 s[16:17], exec, s[28:29]
; %bb.35:                               ;   in Loop: Header=BB94_2 Depth=1
	ds_read_u8 v55, v52 offset:1
; %bb.36:                               ;   in Loop: Header=BB94_2 Depth=1
	s_or_saveexec_b64 s[16:17], s[16:17]
	v_mov_b32_e32 v56, v53
	s_xor_b64 exec, exec, s[16:17]
	s_cbranch_execz .LBB94_38
; %bb.37:                               ;   in Loop: Header=BB94_2 Depth=1
	ds_read_u8 v56, v54 offset:1
	s_waitcnt lgkmcnt(1)
	v_mov_b32_e32 v55, v51
.LBB94_38:                              ;   in Loop: Header=BB94_2 Depth=1
	s_or_b64 exec, exec, s[16:17]
	v_add_u32_e32 v57, 1, v52
	v_cndmask_b32_e64 v51, v51, v53, s[14:15]
	v_add_u32_e32 v53, 1, v54
	v_cndmask_b32_e64 v52, v57, v52, s[14:15]
	v_cndmask_b32_e64 v53, v54, v53, s[14:15]
	v_cmp_ge_i32_e64 s[14:15], v52, v10
	s_waitcnt lgkmcnt(0)
	v_cmp_lt_u16_sdwa s[16:17], v56, v55 src0_sel:BYTE_0 src1_sel:BYTE_0
	v_cndmask_b32_e64 v49, v49, v50, s[12:13]
	v_cmp_lt_i32_e64 s[12:13], v53, v11
	s_or_b64 s[14:15], s[14:15], s[16:17]
	s_and_b64 s[12:13], s[12:13], s[14:15]
	v_cndmask_b32_e64 v50, v55, v56, s[12:13]
	s_barrier
	ds_write_b8 v43, v49
	ds_write_b8 v43, v51 offset:1
	ds_write_b8 v43, v50 offset:2
	v_mov_b32_e32 v51, v34
	s_waitcnt lgkmcnt(0)
	s_barrier
	s_and_saveexec_b64 s[14:15], s[4:5]
	s_cbranch_execz .LBB94_42
; %bb.39:                               ;   in Loop: Header=BB94_2 Depth=1
	s_mov_b64 s[16:17], 0
	v_mov_b32_e32 v51, v34
	v_mov_b32_e32 v49, v20
.LBB94_40:                              ;   Parent Loop BB94_2 Depth=1
                                        ; =>  This Inner Loop Header: Depth=2
	v_sub_u32_e32 v50, v49, v51
	v_lshrrev_b32_e32 v50, 1, v50
	v_add_u32_e32 v50, v50, v51
	v_add_u32_e32 v52, v3, v50
	v_xad_u32 v53, v50, -1, v35
	ds_read_u8 v52, v52
	ds_read_u8 v53, v53 offset:24
	v_add_u32_e32 v54, 1, v50
	s_waitcnt lgkmcnt(0)
	v_cmp_lt_u16_e64 s[12:13], v53, v52
	v_cndmask_b32_e64 v49, v49, v50, s[12:13]
	v_cndmask_b32_e64 v51, v54, v51, s[12:13]
	v_cmp_ge_i32_e64 s[12:13], v51, v49
	s_or_b64 s[16:17], s[12:13], s[16:17]
	s_andn2_b64 exec, exec, s[16:17]
	s_cbranch_execnz .LBB94_40
; %bb.41:                               ;   in Loop: Header=BB94_2 Depth=1
	s_or_b64 exec, exec, s[16:17]
.LBB94_42:                              ;   in Loop: Header=BB94_2 Depth=1
	s_or_b64 exec, exec, s[14:15]
	v_add_u32_e32 v52, v51, v3
	v_sub_u32_e32 v55, v35, v51
	ds_read_u8 v49, v52
	ds_read_u8 v50, v55 offset:24
	v_sub_u32_e32 v54, v36, v51
	v_cmp_le_i32_e64 s[14:15], v13, v52
	v_cmp_gt_i32_e64 s[12:13], v12, v54
                                        ; implicit-def: $vgpr51
	s_waitcnt lgkmcnt(0)
	v_cmp_lt_u16_sdwa s[16:17], v50, v49 src0_sel:BYTE_0 src1_sel:BYTE_0
	s_or_b64 s[14:15], s[14:15], s[16:17]
	s_and_b64 s[12:13], s[12:13], s[14:15]
	s_xor_b64 s[14:15], s[12:13], -1
	s_and_saveexec_b64 s[16:17], s[14:15]
	s_xor_b64 s[14:15], exec, s[16:17]
; %bb.43:                               ;   in Loop: Header=BB94_2 Depth=1
	ds_read_u8 v51, v52 offset:1
                                        ; implicit-def: $vgpr55
; %bb.44:                               ;   in Loop: Header=BB94_2 Depth=1
	s_or_saveexec_b64 s[14:15], s[14:15]
	v_mov_b32_e32 v53, v50
	s_xor_b64 exec, exec, s[14:15]
	s_cbranch_execz .LBB94_46
; %bb.45:                               ;   in Loop: Header=BB94_2 Depth=1
	ds_read_u8 v53, v55 offset:25
	s_waitcnt lgkmcnt(1)
	v_mov_b32_e32 v51, v49
.LBB94_46:                              ;   in Loop: Header=BB94_2 Depth=1
	s_or_b64 exec, exec, s[14:15]
	v_add_u32_e32 v56, 1, v52
	v_add_u32_e32 v55, 1, v54
	v_cndmask_b32_e64 v52, v56, v52, s[12:13]
	v_cndmask_b32_e64 v54, v54, v55, s[12:13]
	v_cmp_ge_i32_e64 s[16:17], v52, v13
	s_waitcnt lgkmcnt(0)
	v_cmp_lt_u16_sdwa s[28:29], v53, v51 src0_sel:BYTE_0 src1_sel:BYTE_0
	v_cmp_lt_i32_e64 s[14:15], v54, v12
	s_or_b64 s[16:17], s[16:17], s[28:29]
	s_and_b64 s[14:15], s[14:15], s[16:17]
	s_xor_b64 s[16:17], s[14:15], -1
                                        ; implicit-def: $vgpr55
	s_and_saveexec_b64 s[28:29], s[16:17]
	s_xor_b64 s[16:17], exec, s[28:29]
; %bb.47:                               ;   in Loop: Header=BB94_2 Depth=1
	ds_read_u8 v55, v52 offset:1
; %bb.48:                               ;   in Loop: Header=BB94_2 Depth=1
	s_or_saveexec_b64 s[16:17], s[16:17]
	v_mov_b32_e32 v56, v53
	s_xor_b64 exec, exec, s[16:17]
	s_cbranch_execz .LBB94_50
; %bb.49:                               ;   in Loop: Header=BB94_2 Depth=1
	ds_read_u8 v56, v54 offset:1
	s_waitcnt lgkmcnt(1)
	v_mov_b32_e32 v55, v51
.LBB94_50:                              ;   in Loop: Header=BB94_2 Depth=1
	s_or_b64 exec, exec, s[16:17]
	v_add_u32_e32 v57, 1, v52
	v_cndmask_b32_e64 v51, v51, v53, s[14:15]
	v_add_u32_e32 v53, 1, v54
	v_cndmask_b32_e64 v52, v57, v52, s[14:15]
	v_cndmask_b32_e64 v53, v54, v53, s[14:15]
	v_cmp_ge_i32_e64 s[14:15], v52, v13
	s_waitcnt lgkmcnt(0)
	v_cmp_lt_u16_sdwa s[16:17], v56, v55 src0_sel:BYTE_0 src1_sel:BYTE_0
	v_cndmask_b32_e64 v49, v49, v50, s[12:13]
	v_cmp_lt_i32_e64 s[12:13], v53, v12
	s_or_b64 s[14:15], s[14:15], s[16:17]
	s_and_b64 s[12:13], s[12:13], s[14:15]
	v_cndmask_b32_e64 v50, v55, v56, s[12:13]
	s_barrier
	ds_write_b8 v43, v49
	ds_write_b8 v43, v51 offset:1
	ds_write_b8 v43, v50 offset:2
	v_mov_b32_e32 v51, v37
	s_waitcnt lgkmcnt(0)
	s_barrier
	s_and_saveexec_b64 s[14:15], s[6:7]
	s_cbranch_execz .LBB94_54
; %bb.51:                               ;   in Loop: Header=BB94_2 Depth=1
	s_mov_b64 s[16:17], 0
	v_mov_b32_e32 v51, v37
	v_mov_b32_e32 v49, v21
.LBB94_52:                              ;   Parent Loop BB94_2 Depth=1
                                        ; =>  This Inner Loop Header: Depth=2
	v_sub_u32_e32 v50, v49, v51
	v_lshrrev_b32_e32 v50, 1, v50
	v_add_u32_e32 v50, v50, v51
	v_add_u32_e32 v52, v4, v50
	v_xad_u32 v53, v50, -1, v38
	ds_read_u8 v52, v52
	ds_read_u8 v53, v53 offset:48
	v_add_u32_e32 v54, 1, v50
	s_waitcnt lgkmcnt(0)
	v_cmp_lt_u16_e64 s[12:13], v53, v52
	v_cndmask_b32_e64 v49, v49, v50, s[12:13]
	v_cndmask_b32_e64 v51, v54, v51, s[12:13]
	v_cmp_ge_i32_e64 s[12:13], v51, v49
	s_or_b64 s[16:17], s[12:13], s[16:17]
	s_andn2_b64 exec, exec, s[16:17]
	s_cbranch_execnz .LBB94_52
; %bb.53:                               ;   in Loop: Header=BB94_2 Depth=1
	s_or_b64 exec, exec, s[16:17]
.LBB94_54:                              ;   in Loop: Header=BB94_2 Depth=1
	s_or_b64 exec, exec, s[14:15]
	v_add_u32_e32 v52, v51, v4
	v_sub_u32_e32 v55, v38, v51
	ds_read_u8 v49, v52
	ds_read_u8 v50, v55 offset:48
	v_sub_u32_e32 v54, v39, v51
	v_cmp_le_i32_e64 s[14:15], v15, v52
	v_cmp_gt_i32_e64 s[12:13], v14, v54
                                        ; implicit-def: $vgpr51
	s_waitcnt lgkmcnt(0)
	v_cmp_lt_u16_sdwa s[16:17], v50, v49 src0_sel:BYTE_0 src1_sel:BYTE_0
	s_or_b64 s[14:15], s[14:15], s[16:17]
	s_and_b64 s[12:13], s[12:13], s[14:15]
	s_xor_b64 s[14:15], s[12:13], -1
	s_and_saveexec_b64 s[16:17], s[14:15]
	s_xor_b64 s[14:15], exec, s[16:17]
; %bb.55:                               ;   in Loop: Header=BB94_2 Depth=1
	ds_read_u8 v51, v52 offset:1
                                        ; implicit-def: $vgpr55
; %bb.56:                               ;   in Loop: Header=BB94_2 Depth=1
	s_or_saveexec_b64 s[14:15], s[14:15]
	v_mov_b32_e32 v53, v50
	s_xor_b64 exec, exec, s[14:15]
	s_cbranch_execz .LBB94_58
; %bb.57:                               ;   in Loop: Header=BB94_2 Depth=1
	ds_read_u8 v53, v55 offset:49
	s_waitcnt lgkmcnt(1)
	v_mov_b32_e32 v51, v49
.LBB94_58:                              ;   in Loop: Header=BB94_2 Depth=1
	s_or_b64 exec, exec, s[14:15]
	v_add_u32_e32 v56, 1, v52
	v_add_u32_e32 v55, 1, v54
	v_cndmask_b32_e64 v52, v56, v52, s[12:13]
	v_cndmask_b32_e64 v54, v54, v55, s[12:13]
	v_cmp_ge_i32_e64 s[16:17], v52, v15
	s_waitcnt lgkmcnt(0)
	v_cmp_lt_u16_sdwa s[28:29], v53, v51 src0_sel:BYTE_0 src1_sel:BYTE_0
	v_cmp_lt_i32_e64 s[14:15], v54, v14
	s_or_b64 s[16:17], s[16:17], s[28:29]
	s_and_b64 s[14:15], s[14:15], s[16:17]
	s_xor_b64 s[16:17], s[14:15], -1
                                        ; implicit-def: $vgpr55
	s_and_saveexec_b64 s[28:29], s[16:17]
	s_xor_b64 s[16:17], exec, s[28:29]
; %bb.59:                               ;   in Loop: Header=BB94_2 Depth=1
	ds_read_u8 v55, v52 offset:1
; %bb.60:                               ;   in Loop: Header=BB94_2 Depth=1
	s_or_saveexec_b64 s[16:17], s[16:17]
	v_mov_b32_e32 v56, v53
	s_xor_b64 exec, exec, s[16:17]
	s_cbranch_execz .LBB94_62
; %bb.61:                               ;   in Loop: Header=BB94_2 Depth=1
	ds_read_u8 v56, v54 offset:1
	s_waitcnt lgkmcnt(1)
	v_mov_b32_e32 v55, v51
.LBB94_62:                              ;   in Loop: Header=BB94_2 Depth=1
	s_or_b64 exec, exec, s[16:17]
	v_add_u32_e32 v57, 1, v52
	v_cndmask_b32_e64 v51, v51, v53, s[14:15]
	v_add_u32_e32 v53, 1, v54
	v_cndmask_b32_e64 v52, v57, v52, s[14:15]
	v_cndmask_b32_e64 v53, v54, v53, s[14:15]
	v_cmp_ge_i32_e64 s[14:15], v52, v15
	s_waitcnt lgkmcnt(0)
	v_cmp_lt_u16_sdwa s[16:17], v56, v55 src0_sel:BYTE_0 src1_sel:BYTE_0
	v_cndmask_b32_e64 v49, v49, v50, s[12:13]
	v_cmp_lt_i32_e64 s[12:13], v53, v14
	s_or_b64 s[14:15], s[14:15], s[16:17]
	s_and_b64 s[12:13], s[12:13], s[14:15]
	v_cndmask_b32_e64 v50, v55, v56, s[12:13]
	s_barrier
	ds_write_b8 v43, v49
	ds_write_b8 v43, v51 offset:1
	ds_write_b8 v43, v50 offset:2
	v_mov_b32_e32 v51, v40
	s_waitcnt lgkmcnt(0)
	s_barrier
	s_and_saveexec_b64 s[14:15], s[8:9]
	s_cbranch_execz .LBB94_66
; %bb.63:                               ;   in Loop: Header=BB94_2 Depth=1
	s_mov_b64 s[16:17], 0
	v_mov_b32_e32 v51, v40
	v_mov_b32_e32 v49, v22
.LBB94_64:                              ;   Parent Loop BB94_2 Depth=1
                                        ; =>  This Inner Loop Header: Depth=2
	v_sub_u32_e32 v50, v49, v51
	v_lshrrev_b32_e32 v50, 1, v50
	v_add_u32_e32 v50, v50, v51
	v_add_u32_e32 v52, v5, v50
	v_xad_u32 v53, v50, -1, v41
	ds_read_u8 v52, v52
	ds_read_u8 v53, v53 offset:96
	v_add_u32_e32 v54, 1, v50
	s_waitcnt lgkmcnt(0)
	v_cmp_lt_u16_e64 s[12:13], v53, v52
	v_cndmask_b32_e64 v49, v49, v50, s[12:13]
	v_cndmask_b32_e64 v51, v54, v51, s[12:13]
	v_cmp_ge_i32_e64 s[12:13], v51, v49
	s_or_b64 s[16:17], s[12:13], s[16:17]
	s_andn2_b64 exec, exec, s[16:17]
	s_cbranch_execnz .LBB94_64
; %bb.65:                               ;   in Loop: Header=BB94_2 Depth=1
	s_or_b64 exec, exec, s[16:17]
.LBB94_66:                              ;   in Loop: Header=BB94_2 Depth=1
	s_or_b64 exec, exec, s[14:15]
	v_add_u32_e32 v52, v51, v5
	v_sub_u32_e32 v55, v41, v51
	ds_read_u8 v49, v52
	ds_read_u8 v50, v55 offset:96
	v_sub_u32_e32 v54, v42, v51
	v_cmp_le_i32_e64 s[14:15], v17, v52
	v_cmp_gt_i32_e64 s[12:13], v16, v54
                                        ; implicit-def: $vgpr51
	s_waitcnt lgkmcnt(0)
	v_cmp_lt_u16_sdwa s[16:17], v50, v49 src0_sel:BYTE_0 src1_sel:BYTE_0
	s_or_b64 s[14:15], s[14:15], s[16:17]
	s_and_b64 s[12:13], s[12:13], s[14:15]
	s_xor_b64 s[14:15], s[12:13], -1
	s_and_saveexec_b64 s[16:17], s[14:15]
	s_xor_b64 s[14:15], exec, s[16:17]
; %bb.67:                               ;   in Loop: Header=BB94_2 Depth=1
	ds_read_u8 v51, v52 offset:1
                                        ; implicit-def: $vgpr55
; %bb.68:                               ;   in Loop: Header=BB94_2 Depth=1
	s_or_saveexec_b64 s[14:15], s[14:15]
	v_mov_b32_e32 v53, v50
	s_xor_b64 exec, exec, s[14:15]
	s_cbranch_execz .LBB94_70
; %bb.69:                               ;   in Loop: Header=BB94_2 Depth=1
	ds_read_u8 v53, v55 offset:97
	s_waitcnt lgkmcnt(1)
	v_mov_b32_e32 v51, v49
.LBB94_70:                              ;   in Loop: Header=BB94_2 Depth=1
	s_or_b64 exec, exec, s[14:15]
	v_add_u32_e32 v56, 1, v52
	v_add_u32_e32 v55, 1, v54
	v_cndmask_b32_e64 v52, v56, v52, s[12:13]
	v_cndmask_b32_e64 v54, v54, v55, s[12:13]
	v_cmp_ge_i32_e64 s[16:17], v52, v17
	s_waitcnt lgkmcnt(0)
	v_cmp_lt_u16_sdwa s[28:29], v53, v51 src0_sel:BYTE_0 src1_sel:BYTE_0
	v_cmp_lt_i32_e64 s[14:15], v54, v16
	s_or_b64 s[16:17], s[16:17], s[28:29]
	s_and_b64 s[14:15], s[14:15], s[16:17]
	s_xor_b64 s[16:17], s[14:15], -1
                                        ; implicit-def: $vgpr55
	s_and_saveexec_b64 s[28:29], s[16:17]
	s_xor_b64 s[16:17], exec, s[28:29]
; %bb.71:                               ;   in Loop: Header=BB94_2 Depth=1
	ds_read_u8 v55, v52 offset:1
; %bb.72:                               ;   in Loop: Header=BB94_2 Depth=1
	s_or_saveexec_b64 s[16:17], s[16:17]
	v_mov_b32_e32 v56, v53
	s_xor_b64 exec, exec, s[16:17]
	s_cbranch_execz .LBB94_74
; %bb.73:                               ;   in Loop: Header=BB94_2 Depth=1
	ds_read_u8 v56, v54 offset:1
	s_waitcnt lgkmcnt(1)
	v_mov_b32_e32 v55, v51
.LBB94_74:                              ;   in Loop: Header=BB94_2 Depth=1
	s_or_b64 exec, exec, s[16:17]
	v_add_u32_e32 v57, 1, v52
	v_cndmask_b32_e64 v51, v51, v53, s[14:15]
	v_add_u32_e32 v53, 1, v54
	v_cndmask_b32_e64 v52, v57, v52, s[14:15]
	v_cndmask_b32_e64 v53, v54, v53, s[14:15]
	v_cmp_ge_i32_e64 s[14:15], v52, v17
	s_waitcnt lgkmcnt(0)
	v_cmp_lt_u16_sdwa s[16:17], v56, v55 src0_sel:BYTE_0 src1_sel:BYTE_0
	v_cndmask_b32_e64 v49, v49, v50, s[12:13]
	v_cmp_lt_i32_e64 s[12:13], v53, v16
	s_or_b64 s[14:15], s[14:15], s[16:17]
	s_and_b64 s[12:13], s[12:13], s[14:15]
	v_cndmask_b32_e64 v50, v55, v56, s[12:13]
	s_barrier
	ds_write_b8 v43, v49
	ds_write_b8 v43, v51 offset:1
	ds_write_b8 v43, v50 offset:2
	v_mov_b32_e32 v51, v45
	s_waitcnt lgkmcnt(0)
	s_barrier
	s_and_saveexec_b64 s[14:15], s[10:11]
	s_cbranch_execz .LBB94_78
; %bb.75:                               ;   in Loop: Header=BB94_2 Depth=1
	s_mov_b64 s[16:17], 0
	v_mov_b32_e32 v51, v45
	v_mov_b32_e32 v49, v46
.LBB94_76:                              ;   Parent Loop BB94_2 Depth=1
                                        ; =>  This Inner Loop Header: Depth=2
	v_sub_u32_e32 v50, v49, v51
	v_lshrrev_b32_e32 v50, 1, v50
	v_add_u32_e32 v50, v50, v51
	v_xad_u32 v52, v50, -1, v43
	ds_read_u8 v53, v50
	ds_read_u8 v52, v52 offset:192
	v_add_u32_e32 v54, 1, v50
	s_waitcnt lgkmcnt(0)
	v_cmp_lt_u16_e64 s[12:13], v52, v53
	v_cndmask_b32_e64 v49, v49, v50, s[12:13]
	v_cndmask_b32_e64 v51, v54, v51, s[12:13]
	v_cmp_ge_i32_e64 s[12:13], v51, v49
	s_or_b64 s[16:17], s[12:13], s[16:17]
	s_andn2_b64 exec, exec, s[16:17]
	s_cbranch_execnz .LBB94_76
; %bb.77:                               ;   in Loop: Header=BB94_2 Depth=1
	s_or_b64 exec, exec, s[16:17]
.LBB94_78:                              ;   in Loop: Header=BB94_2 Depth=1
	s_or_b64 exec, exec, s[14:15]
	v_sub_u32_e32 v55, v43, v51
	ds_read_u8 v49, v51
	ds_read_u8 v50, v55 offset:192
	v_sub_u32_e32 v54, v47, v51
	v_cmp_le_i32_e64 s[14:15], v44, v51
	v_cmp_gt_i32_e64 s[12:13], s21, v54
                                        ; implicit-def: $vgpr52
	s_waitcnt lgkmcnt(0)
	v_cmp_lt_u16_sdwa s[16:17], v50, v49 src0_sel:BYTE_0 src1_sel:BYTE_0
	s_or_b64 s[14:15], s[14:15], s[16:17]
	s_and_b64 s[12:13], s[12:13], s[14:15]
	s_xor_b64 s[14:15], s[12:13], -1
	s_and_saveexec_b64 s[16:17], s[14:15]
	s_xor_b64 s[14:15], exec, s[16:17]
; %bb.79:                               ;   in Loop: Header=BB94_2 Depth=1
	ds_read_u8 v52, v51 offset:1
                                        ; implicit-def: $vgpr55
; %bb.80:                               ;   in Loop: Header=BB94_2 Depth=1
	s_or_saveexec_b64 s[14:15], s[14:15]
	v_mov_b32_e32 v53, v50
	s_xor_b64 exec, exec, s[14:15]
	s_cbranch_execz .LBB94_82
; %bb.81:                               ;   in Loop: Header=BB94_2 Depth=1
	ds_read_u8 v53, v55 offset:193
	s_waitcnt lgkmcnt(1)
	v_mov_b32_e32 v52, v49
.LBB94_82:                              ;   in Loop: Header=BB94_2 Depth=1
	s_or_b64 exec, exec, s[14:15]
	v_add_u32_e32 v56, 1, v51
	v_add_u32_e32 v55, 1, v54
	v_cndmask_b32_e64 v56, v56, v51, s[12:13]
	v_cndmask_b32_e64 v54, v54, v55, s[12:13]
	v_cmp_ge_i32_e64 s[16:17], v56, v44
	s_waitcnt lgkmcnt(0)
	v_cmp_lt_u16_sdwa s[28:29], v53, v52 src0_sel:BYTE_0 src1_sel:BYTE_0
	v_cmp_gt_i32_e64 s[14:15], s21, v54
	s_or_b64 s[16:17], s[16:17], s[28:29]
	s_and_b64 s[14:15], s[14:15], s[16:17]
	s_xor_b64 s[16:17], s[14:15], -1
                                        ; implicit-def: $vgpr51
                                        ; implicit-def: $vgpr55
	s_and_saveexec_b64 s[28:29], s[16:17]
	s_xor_b64 s[16:17], exec, s[28:29]
; %bb.83:                               ;   in Loop: Header=BB94_2 Depth=1
	ds_read_u8 v51, v56 offset:1
	v_add_u32_e32 v55, 1, v56
                                        ; implicit-def: $vgpr56
; %bb.84:                               ;   in Loop: Header=BB94_2 Depth=1
	s_or_saveexec_b64 s[16:17], s[16:17]
	v_mov_b32_e32 v57, v53
	s_xor_b64 exec, exec, s[16:17]
	s_cbranch_execz .LBB94_1
; %bb.85:                               ;   in Loop: Header=BB94_2 Depth=1
	ds_read_u8 v57, v54 offset:1
	v_add_u32_e32 v54, 1, v54
	v_mov_b32_e32 v55, v56
	s_waitcnt lgkmcnt(1)
	v_mov_b32_e32 v51, v52
	s_branch .LBB94_1
.LBB94_86:
	s_add_u32 s0, s18, s20
	s_addc_u32 s1, s19, 0
	v_mov_b32_e32 v1, s1
	v_add_co_u32_e32 v0, vcc, s0, v0
	v_addc_co_u32_e32 v1, vcc, 0, v1, vcc
	global_store_byte v[0:1], v50, off
	global_store_byte v[0:1], v52, off offset:128
	global_store_byte v[0:1], v51, off offset:256
	s_endpgm
	.section	.rodata,"a",@progbits
	.p2align	6, 0x0
	.amdhsa_kernel _Z16sort_keys_kernelIhLj128ELj3EN10test_utils4lessELj10EEvPKT_PS2_T2_
		.amdhsa_group_segment_fixed_size 385
		.amdhsa_private_segment_fixed_size 0
		.amdhsa_kernarg_size 20
		.amdhsa_user_sgpr_count 6
		.amdhsa_user_sgpr_private_segment_buffer 1
		.amdhsa_user_sgpr_dispatch_ptr 0
		.amdhsa_user_sgpr_queue_ptr 0
		.amdhsa_user_sgpr_kernarg_segment_ptr 1
		.amdhsa_user_sgpr_dispatch_id 0
		.amdhsa_user_sgpr_flat_scratch_init 0
		.amdhsa_user_sgpr_private_segment_size 0
		.amdhsa_uses_dynamic_stack 0
		.amdhsa_system_sgpr_private_segment_wavefront_offset 0
		.amdhsa_system_sgpr_workgroup_id_x 1
		.amdhsa_system_sgpr_workgroup_id_y 0
		.amdhsa_system_sgpr_workgroup_id_z 0
		.amdhsa_system_sgpr_workgroup_info 0
		.amdhsa_system_vgpr_workitem_id 0
		.amdhsa_next_free_vgpr 58
		.amdhsa_next_free_sgpr 30
		.amdhsa_reserve_vcc 1
		.amdhsa_reserve_flat_scratch 0
		.amdhsa_float_round_mode_32 0
		.amdhsa_float_round_mode_16_64 0
		.amdhsa_float_denorm_mode_32 3
		.amdhsa_float_denorm_mode_16_64 3
		.amdhsa_dx10_clamp 1
		.amdhsa_ieee_mode 1
		.amdhsa_fp16_overflow 0
		.amdhsa_exception_fp_ieee_invalid_op 0
		.amdhsa_exception_fp_denorm_src 0
		.amdhsa_exception_fp_ieee_div_zero 0
		.amdhsa_exception_fp_ieee_overflow 0
		.amdhsa_exception_fp_ieee_underflow 0
		.amdhsa_exception_fp_ieee_inexact 0
		.amdhsa_exception_int_div_zero 0
	.end_amdhsa_kernel
	.section	.text._Z16sort_keys_kernelIhLj128ELj3EN10test_utils4lessELj10EEvPKT_PS2_T2_,"axG",@progbits,_Z16sort_keys_kernelIhLj128ELj3EN10test_utils4lessELj10EEvPKT_PS2_T2_,comdat
.Lfunc_end94:
	.size	_Z16sort_keys_kernelIhLj128ELj3EN10test_utils4lessELj10EEvPKT_PS2_T2_, .Lfunc_end94-_Z16sort_keys_kernelIhLj128ELj3EN10test_utils4lessELj10EEvPKT_PS2_T2_
                                        ; -- End function
	.set _Z16sort_keys_kernelIhLj128ELj3EN10test_utils4lessELj10EEvPKT_PS2_T2_.num_vgpr, 58
	.set _Z16sort_keys_kernelIhLj128ELj3EN10test_utils4lessELj10EEvPKT_PS2_T2_.num_agpr, 0
	.set _Z16sort_keys_kernelIhLj128ELj3EN10test_utils4lessELj10EEvPKT_PS2_T2_.numbered_sgpr, 30
	.set _Z16sort_keys_kernelIhLj128ELj3EN10test_utils4lessELj10EEvPKT_PS2_T2_.num_named_barrier, 0
	.set _Z16sort_keys_kernelIhLj128ELj3EN10test_utils4lessELj10EEvPKT_PS2_T2_.private_seg_size, 0
	.set _Z16sort_keys_kernelIhLj128ELj3EN10test_utils4lessELj10EEvPKT_PS2_T2_.uses_vcc, 1
	.set _Z16sort_keys_kernelIhLj128ELj3EN10test_utils4lessELj10EEvPKT_PS2_T2_.uses_flat_scratch, 0
	.set _Z16sort_keys_kernelIhLj128ELj3EN10test_utils4lessELj10EEvPKT_PS2_T2_.has_dyn_sized_stack, 0
	.set _Z16sort_keys_kernelIhLj128ELj3EN10test_utils4lessELj10EEvPKT_PS2_T2_.has_recursion, 0
	.set _Z16sort_keys_kernelIhLj128ELj3EN10test_utils4lessELj10EEvPKT_PS2_T2_.has_indirect_call, 0
	.section	.AMDGPU.csdata,"",@progbits
; Kernel info:
; codeLenInByte = 4400
; TotalNumSgprs: 34
; NumVgprs: 58
; ScratchSize: 0
; MemoryBound: 0
; FloatMode: 240
; IeeeMode: 1
; LDSByteSize: 385 bytes/workgroup (compile time only)
; SGPRBlocks: 4
; VGPRBlocks: 14
; NumSGPRsForWavesPerEU: 34
; NumVGPRsForWavesPerEU: 58
; Occupancy: 4
; WaveLimiterHint : 1
; COMPUTE_PGM_RSRC2:SCRATCH_EN: 0
; COMPUTE_PGM_RSRC2:USER_SGPR: 6
; COMPUTE_PGM_RSRC2:TRAP_HANDLER: 0
; COMPUTE_PGM_RSRC2:TGID_X_EN: 1
; COMPUTE_PGM_RSRC2:TGID_Y_EN: 0
; COMPUTE_PGM_RSRC2:TGID_Z_EN: 0
; COMPUTE_PGM_RSRC2:TIDIG_COMP_CNT: 0
	.section	.text._Z17sort_pairs_kernelIhLj128ELj3EN10test_utils4lessELj10EEvPKT_PS2_T2_,"axG",@progbits,_Z17sort_pairs_kernelIhLj128ELj3EN10test_utils4lessELj10EEvPKT_PS2_T2_,comdat
	.protected	_Z17sort_pairs_kernelIhLj128ELj3EN10test_utils4lessELj10EEvPKT_PS2_T2_ ; -- Begin function _Z17sort_pairs_kernelIhLj128ELj3EN10test_utils4lessELj10EEvPKT_PS2_T2_
	.globl	_Z17sort_pairs_kernelIhLj128ELj3EN10test_utils4lessELj10EEvPKT_PS2_T2_
	.p2align	8
	.type	_Z17sort_pairs_kernelIhLj128ELj3EN10test_utils4lessELj10EEvPKT_PS2_T2_,@function
_Z17sort_pairs_kernelIhLj128ELj3EN10test_utils4lessELj10EEvPKT_PS2_T2_: ; @_Z17sort_pairs_kernelIhLj128ELj3EN10test_utils4lessELj10EEvPKT_PS2_T2_
; %bb.0:
	s_load_dwordx4 s[24:27], s[4:5], 0x0
	s_mul_i32 s28, s6, 0x180
	v_and_b32_e32 v2, 0x7c, v0
	v_and_b32_e32 v3, 0x78, v0
	v_and_b32_e32 v4, 0x70, v0
	s_waitcnt lgkmcnt(0)
	s_add_u32 s0, s24, s28
	s_addc_u32 s1, s25, 0
	global_load_ubyte v23, v0, s[0:1]
	global_load_ubyte v24, v0, s[0:1] offset:128
	global_load_ubyte v25, v0, s[0:1] offset:256
	v_and_b32_e32 v5, 0x60, v0
	v_and_b32_e32 v6, 64, v0
	;; [unrolled: 1-line block ×3, first 2 shown]
	v_mul_u32_u24_e32 v2, 3, v2
	v_mul_u32_u24_e32 v3, 3, v3
	;; [unrolled: 1-line block ×6, first 2 shown]
	s_mov_b32 s24, 0xc0c0004
	v_and_b32_e32 v1, 1, v0
	v_min_u32_e32 v29, 0x17a, v2
	v_min_u32_e32 v7, 0x174, v2
	;; [unrolled: 1-line block ×12, first 2 shown]
	v_and_b32_e32 v30, 3, v0
	v_and_b32_e32 v33, 7, v0
	;; [unrolled: 1-line block ×5, first 2 shown]
	v_cmp_eq_u32_e32 vcc, 1, v1
	v_min_u32_e32 v1, 0x180, v2
	v_min_u32_e32 v2, 0x180, v3
	;; [unrolled: 1-line block ×5, first 2 shown]
	v_add_u32_e32 v6, 6, v29
	v_add_u32_e32 v7, 12, v7
	;; [unrolled: 1-line block ×12, first 2 shown]
	v_mul_u32_u24_e32 v28, 3, v30
	v_mul_u32_u24_e32 v31, 3, v33
	;; [unrolled: 1-line block ×5, first 2 shown]
	v_cndmask_b32_e64 v27, 0, 3, vcc
	v_sub_u32_e32 v44, v7, v6
	v_sub_u32_e32 v45, v9, v8
	;; [unrolled: 1-line block ×17, first 2 shown]
	v_cmp_ge_i32_e32 vcc, v27, v53
	v_cmp_ge_i32_e64 s[0:1], v28, v44
	v_cmp_ge_i32_e64 s[2:3], v31, v45
	;; [unrolled: 1-line block ×5, first 2 shown]
	v_mov_b32_e32 v44, 0xc0
	v_min_i32_e32 v18, v28, v18
	v_min_i32_e32 v19, v31, v19
	s_waitcnt vmcnt(1)
	v_perm_b32 v49, v23, v24, s24
	s_waitcnt vmcnt(0)
	v_lshlrev_b32_e32 v50, 16, v25
	v_or_b32_e32 v52, v49, v50
	v_add_u16_e32 v50, 1, v23
	v_min_u32_e32 v23, 0x180, v26
	v_add_u16_e32 v49, 1, v25
	v_sub_u32_e32 v25, v17, v23
	v_add_u32_e32 v26, v43, v27
	v_mul_u32_u24_e32 v43, 3, v0
	v_min_i32_e32 v20, v34, v20
	v_min_i32_e32 v21, v37, v21
	;; [unrolled: 1-line block ×3, first 2 shown]
	v_add_u16_e32 v51, 1, v24
	v_cndmask_b32_e32 v24, 0, v59, vcc
	v_min_i32_e32 v25, v27, v25
	v_cndmask_b32_e64 v28, 0, v54, s[0:1]
	v_cndmask_b32_e64 v31, 0, v55, s[2:3]
	;; [unrolled: 1-line block ×5, first 2 shown]
	v_sub_u32_e64 v45, v43, v44 clamp
	v_min_i32_e32 v46, 0xc0, v43
	s_movk_i32 s25, 0x180
	s_mov_b32 s29, 0
	v_cmp_lt_i32_e32 vcc, v24, v25
	v_add_u32_e32 v27, v17, v27
	v_cmp_lt_i32_e64 s[0:1], v28, v18
	v_mad_u32_u24 v29, v30, 3, v29
	v_mad_u32_u24 v30, v30, 3, v6
	v_cmp_lt_i32_e64 s[2:3], v31, v19
	v_mad_u32_u24 v32, v33, 3, v32
	v_mad_u32_u24 v33, v33, 3, v8
	;; [unrolled: 3-line block ×5, first 2 shown]
	v_cmp_lt_i32_e64 s[10:11], v45, v46
	s_mov_b32 s30, 0x7060405
	s_movk_i32 s31, 0xff
	s_movk_i32 s33, 0xff00
	s_mov_b32 s34, 0xffff0000
	s_mov_b32 s35, 0xc0c0001
	;; [unrolled: 1-line block ×3, first 2 shown]
	v_mad_u32_u24 v47, v0, 3, v44
	v_mov_b32_e32 v48, 8
	s_branch .LBB95_2
.LBB95_1:                               ;   in Loop: Header=BB95_2 Depth=1
	s_or_b64 exec, exec, s[16:17]
	v_cndmask_b32_e64 v54, v54, v55, s[12:13]
	v_cndmask_b32_e64 v55, v56, v57, s[14:15]
	v_cmp_ge_i32_e64 s[14:15], v59, v44
	s_waitcnt lgkmcnt(0)
	v_cmp_lt_u16_sdwa s[16:17], v63, v61 src0_sel:BYTE_0 src1_sel:BYTE_0
	v_cndmask_b32_e64 v52, v52, v53, s[12:13]
	v_cmp_gt_i32_e64 s[12:13], s25, v58
	s_or_b64 s[14:15], s[14:15], s[16:17]
	s_and_b64 s[12:13], s[12:13], s[14:15]
	v_cndmask_b32_e64 v58, v59, v58, s[12:13]
	s_barrier
	ds_write_b8 v43, v49
	ds_write_b8 v43, v51 offset:1
	ds_write_b8 v43, v50 offset:2
	s_waitcnt lgkmcnt(0)
	s_barrier
	ds_read_u8 v50, v52
	ds_read_u8 v51, v60
	;; [unrolled: 1-line block ×3, first 2 shown]
	v_cndmask_b32_e64 v53, v61, v63, s[12:13]
	v_lshlrev_b16_e32 v56, 8, v55
	v_and_b32_e32 v57, 0xff, v53
	v_or_b32_sdwa v56, v54, v56 dst_sel:DWORD dst_unused:UNUSED_PAD src0_sel:BYTE_0 src1_sel:DWORD
	v_lshlrev_b32_e32 v52, 16, v57
	s_add_i32 s29, s29, 1
	s_cmp_eq_u32 s29, 10
	v_or_b32_sdwa v52, v56, v52 dst_sel:DWORD dst_unused:UNUSED_PAD src0_sel:WORD_0 src1_sel:DWORD
	s_cbranch_scc1 .LBB95_86
.LBB95_2:                               ; =>This Loop Header: Depth=1
                                        ;     Child Loop BB95_4 Depth 2
                                        ;     Child Loop BB95_16 Depth 2
	;; [unrolled: 1-line block ×7, first 2 shown]
	v_lshrrev_b32_e32 v54, 8, v52
	v_perm_b32 v53, v52, v52, s30
	v_cmp_lt_u16_sdwa s[12:13], v54, v52 src0_sel:BYTE_0 src1_sel:BYTE_0
	v_cndmask_b32_e64 v53, v52, v53, s[12:13]
	v_and_b32_sdwa v55, v53, s33 dst_sel:DWORD dst_unused:UNUSED_PAD src0_sel:WORD_1 src1_sel:DWORD
	v_max_u16_sdwa v52, v54, v52 dst_sel:DWORD dst_unused:UNUSED_PAD src0_sel:BYTE_0 src1_sel:BYTE_0
	v_lshlrev_b16_sdwa v56, v48, v53 dst_sel:DWORD dst_unused:UNUSED_PAD src0_sel:DWORD src1_sel:WORD_1
	v_or_b32_sdwa v54, v52, v55 dst_sel:WORD_1 dst_unused:UNUSED_PAD src0_sel:DWORD src1_sel:DWORD
	v_and_b32_sdwa v55, v53, s31 dst_sel:DWORD dst_unused:UNUSED_PAD src0_sel:WORD_1 src1_sel:DWORD
	v_or_b32_sdwa v56, v53, v56 dst_sel:DWORD dst_unused:UNUSED_PAD src0_sel:BYTE_0 src1_sel:DWORD
	v_or_b32_sdwa v54, v56, v54 dst_sel:DWORD dst_unused:UNUSED_PAD src0_sel:WORD_0 src1_sel:DWORD
	v_cmp_lt_u16_e64 s[14:15], v55, v52
	v_cndmask_b32_e64 v53, v53, v54, s[14:15]
	v_lshlrev_b16_e32 v54, 8, v53
	v_min_u16_e32 v52, v55, v52
	v_or_b32_e32 v54, v52, v54
	v_and_b32_e32 v54, 0xffff, v54
	v_and_or_b32 v54, v53, s34, v54
	v_cmp_lt_u16_sdwa s[16:17], v52, v53 src0_sel:DWORD src1_sel:BYTE_0
	v_cndmask_b32_e64 v52, v53, v54, s[16:17]
	v_lshrrev_b32_e32 v53, 8, v52
	v_mov_b32_e32 v54, v24
	s_waitcnt lgkmcnt(0)
	s_barrier
	ds_write_b8 v43, v52
	ds_write_b8 v43, v53 offset:1
	ds_write_b8_d16_hi v43, v52 offset:2
	s_waitcnt lgkmcnt(0)
	s_barrier
	s_and_saveexec_b64 s[20:21], vcc
	s_cbranch_execz .LBB95_6
; %bb.3:                                ;   in Loop: Header=BB95_2 Depth=1
	s_mov_b64 s[22:23], 0
	v_mov_b32_e32 v54, v24
	v_mov_b32_e32 v52, v25
.LBB95_4:                               ;   Parent Loop BB95_2 Depth=1
                                        ; =>  This Inner Loop Header: Depth=2
	v_sub_u32_e32 v53, v52, v54
	v_lshrrev_b32_e32 v53, 1, v53
	v_add_u32_e32 v53, v53, v54
	v_add_u32_e32 v55, v23, v53
	v_xad_u32 v56, v53, -1, v26
	ds_read_u8 v55, v55
	ds_read_u8 v56, v56 offset:3
	v_add_u32_e32 v57, 1, v53
	s_waitcnt lgkmcnt(0)
	v_cmp_lt_u16_e64 s[18:19], v56, v55
	v_cndmask_b32_e64 v52, v52, v53, s[18:19]
	v_cndmask_b32_e64 v54, v57, v54, s[18:19]
	v_cmp_ge_i32_e64 s[18:19], v54, v52
	s_or_b64 s[22:23], s[18:19], s[22:23]
	s_andn2_b64 exec, exec, s[22:23]
	s_cbranch_execnz .LBB95_4
; %bb.5:                                ;   in Loop: Header=BB95_2 Depth=1
	s_or_b64 exec, exec, s[22:23]
.LBB95_6:                               ;   in Loop: Header=BB95_2 Depth=1
	s_or_b64 exec, exec, s[20:21]
	v_add_u32_e32 v52, v54, v23
	v_sub_u32_e32 v57, v26, v54
	ds_read_u8 v53, v52
	ds_read_u8 v55, v57 offset:3
	v_sub_u32_e32 v54, v27, v54
	v_cmp_le_i32_e64 s[20:21], v17, v52
	v_cmp_gt_i32_e64 s[18:19], v16, v54
                                        ; implicit-def: $vgpr56
	s_waitcnt lgkmcnt(0)
	v_cmp_lt_u16_sdwa s[22:23], v55, v53 src0_sel:BYTE_0 src1_sel:BYTE_0
	s_or_b64 s[20:21], s[20:21], s[22:23]
	s_and_b64 s[18:19], s[18:19], s[20:21]
	s_xor_b64 s[20:21], s[18:19], -1
	s_and_saveexec_b64 s[22:23], s[20:21]
	s_xor_b64 s[20:21], exec, s[22:23]
; %bb.7:                                ;   in Loop: Header=BB95_2 Depth=1
	ds_read_u8 v56, v52 offset:1
                                        ; implicit-def: $vgpr57
; %bb.8:                                ;   in Loop: Header=BB95_2 Depth=1
	s_or_saveexec_b64 s[20:21], s[20:21]
	v_mov_b32_e32 v58, v55
	s_xor_b64 exec, exec, s[20:21]
	s_cbranch_execz .LBB95_10
; %bb.9:                                ;   in Loop: Header=BB95_2 Depth=1
	ds_read_u8 v58, v57 offset:4
	s_waitcnt lgkmcnt(1)
	v_mov_b32_e32 v56, v53
.LBB95_10:                              ;   in Loop: Header=BB95_2 Depth=1
	s_or_b64 exec, exec, s[20:21]
	v_add_u32_e32 v60, 1, v52
	v_add_u32_e32 v57, 1, v54
	v_cndmask_b32_e64 v60, v60, v52, s[18:19]
	v_cndmask_b32_e64 v59, v54, v57, s[18:19]
	v_cmp_ge_i32_e64 s[22:23], v60, v17
	s_waitcnt lgkmcnt(0)
	v_cmp_lt_u16_sdwa s[38:39], v58, v56 src0_sel:BYTE_0 src1_sel:BYTE_0
	v_cmp_lt_i32_e64 s[20:21], v59, v16
	s_or_b64 s[22:23], s[22:23], s[38:39]
	s_and_b64 s[20:21], s[20:21], s[22:23]
	s_xor_b64 s[22:23], s[20:21], -1
                                        ; implicit-def: $vgpr57
	s_and_saveexec_b64 s[38:39], s[22:23]
	s_xor_b64 s[22:23], exec, s[38:39]
; %bb.11:                               ;   in Loop: Header=BB95_2 Depth=1
	ds_read_u8 v57, v60 offset:1
; %bb.12:                               ;   in Loop: Header=BB95_2 Depth=1
	s_or_saveexec_b64 s[22:23], s[22:23]
	v_mov_b32_e32 v61, v58
	s_xor_b64 exec, exec, s[22:23]
	s_cbranch_execz .LBB95_14
; %bb.13:                               ;   in Loop: Header=BB95_2 Depth=1
	ds_read_u8 v61, v59 offset:1
	s_waitcnt lgkmcnt(1)
	v_mov_b32_e32 v57, v56
.LBB95_14:                              ;   in Loop: Header=BB95_2 Depth=1
	s_or_b64 exec, exec, s[22:23]
	v_cndmask_b32_e64 v52, v52, v54, s[18:19]
	v_perm_b32 v54, v51, v50, s24
	v_perm_b32 v50, v50, v51, s24
	v_and_b32_e32 v51, 0xff, v49
	v_cndmask_b32_e64 v50, v50, v54, s[12:13]
	v_lshlrev_b32_e32 v51, 16, v51
	v_lshrrev_b16_e32 v54, 8, v50
	v_or_b32_e32 v51, v50, v51
	v_perm_b32 v49, v50, v49, s24
	v_lshlrev_b32_e32 v50, 16, v54
	v_or_b32_e32 v49, v49, v50
	v_cndmask_b32_e64 v49, v51, v49, s[14:15]
	v_add_u32_e32 v62, 1, v60
	v_perm_b32 v50, 0, v49, s35
	v_cndmask_b32_e64 v56, v56, v58, s[20:21]
	v_add_u32_e32 v58, 1, v59
	v_cndmask_b32_e64 v62, v62, v60, s[20:21]
	v_and_or_b32 v50, v49, s36, v50
	v_cndmask_b32_e64 v58, v59, v58, s[20:21]
	v_cndmask_b32_e64 v49, v49, v50, s[16:17]
	v_cmp_ge_i32_e64 s[14:15], v62, v17
	s_waitcnt lgkmcnt(0)
	v_cmp_lt_u16_sdwa s[16:17], v61, v57 src0_sel:BYTE_0 src1_sel:BYTE_0
	v_cmp_lt_i32_e64 s[12:13], v58, v16
	s_or_b64 s[14:15], s[14:15], s[16:17]
	s_and_b64 s[12:13], s[12:13], s[14:15]
	v_cndmask_b32_e64 v50, v62, v58, s[12:13]
	v_lshrrev_b32_e32 v51, 8, v49
	v_cndmask_b32_e64 v59, v60, v59, s[20:21]
	s_barrier
	ds_write_b8 v43, v49
	ds_write_b8 v43, v51 offset:1
	ds_write_b8_d16_hi v43, v49 offset:2
	s_waitcnt lgkmcnt(0)
	s_barrier
	ds_read_u8 v49, v52
	ds_read_u8 v50, v50
	;; [unrolled: 1-line block ×3, first 2 shown]
	v_cndmask_b32_e64 v53, v53, v55, s[18:19]
	v_cndmask_b32_e64 v54, v57, v61, s[12:13]
	s_waitcnt lgkmcnt(0)
	s_barrier
	ds_write_b8 v43, v53
	ds_write_b8 v43, v56 offset:1
	ds_write_b8 v43, v54 offset:2
	v_mov_b32_e32 v54, v28
	s_waitcnt lgkmcnt(0)
	s_barrier
	s_and_saveexec_b64 s[14:15], s[0:1]
	s_cbranch_execz .LBB95_18
; %bb.15:                               ;   in Loop: Header=BB95_2 Depth=1
	s_mov_b64 s[16:17], 0
	v_mov_b32_e32 v54, v28
	v_mov_b32_e32 v52, v18
.LBB95_16:                              ;   Parent Loop BB95_2 Depth=1
                                        ; =>  This Inner Loop Header: Depth=2
	v_sub_u32_e32 v53, v52, v54
	v_lshrrev_b32_e32 v53, 1, v53
	v_add_u32_e32 v53, v53, v54
	v_add_u32_e32 v55, v1, v53
	v_xad_u32 v56, v53, -1, v29
	ds_read_u8 v55, v55
	ds_read_u8 v56, v56 offset:6
	v_add_u32_e32 v57, 1, v53
	s_waitcnt lgkmcnt(0)
	v_cmp_lt_u16_e64 s[12:13], v56, v55
	v_cndmask_b32_e64 v52, v52, v53, s[12:13]
	v_cndmask_b32_e64 v54, v57, v54, s[12:13]
	v_cmp_ge_i32_e64 s[12:13], v54, v52
	s_or_b64 s[16:17], s[12:13], s[16:17]
	s_andn2_b64 exec, exec, s[16:17]
	s_cbranch_execnz .LBB95_16
; %bb.17:                               ;   in Loop: Header=BB95_2 Depth=1
	s_or_b64 exec, exec, s[16:17]
.LBB95_18:                              ;   in Loop: Header=BB95_2 Depth=1
	s_or_b64 exec, exec, s[14:15]
	v_add_u32_e32 v52, v54, v1
	v_sub_u32_e32 v58, v29, v54
	ds_read_u8 v53, v52
	ds_read_u8 v55, v58 offset:6
	v_sub_u32_e32 v54, v30, v54
	v_cmp_le_i32_e64 s[14:15], v6, v52
	v_cmp_gt_i32_e64 s[12:13], v7, v54
                                        ; implicit-def: $vgpr56
	s_waitcnt lgkmcnt(0)
	v_cmp_lt_u16_sdwa s[16:17], v55, v53 src0_sel:BYTE_0 src1_sel:BYTE_0
	s_or_b64 s[14:15], s[14:15], s[16:17]
	s_and_b64 s[12:13], s[12:13], s[14:15]
	s_xor_b64 s[14:15], s[12:13], -1
	s_and_saveexec_b64 s[16:17], s[14:15]
	s_xor_b64 s[14:15], exec, s[16:17]
; %bb.19:                               ;   in Loop: Header=BB95_2 Depth=1
	ds_read_u8 v56, v52 offset:1
                                        ; implicit-def: $vgpr58
; %bb.20:                               ;   in Loop: Header=BB95_2 Depth=1
	s_or_saveexec_b64 s[14:15], s[14:15]
	v_mov_b32_e32 v57, v55
	s_xor_b64 exec, exec, s[14:15]
	s_cbranch_execz .LBB95_22
; %bb.21:                               ;   in Loop: Header=BB95_2 Depth=1
	ds_read_u8 v57, v58 offset:7
	s_waitcnt lgkmcnt(1)
	v_mov_b32_e32 v56, v53
.LBB95_22:                              ;   in Loop: Header=BB95_2 Depth=1
	s_or_b64 exec, exec, s[14:15]
	v_add_u32_e32 v59, 1, v52
	v_add_u32_e32 v58, 1, v54
	v_cndmask_b32_e64 v59, v59, v52, s[12:13]
	v_cndmask_b32_e64 v58, v54, v58, s[12:13]
	v_cmp_ge_i32_e64 s[16:17], v59, v6
	s_waitcnt lgkmcnt(0)
	v_cmp_lt_u16_sdwa s[18:19], v57, v56 src0_sel:BYTE_0 src1_sel:BYTE_0
	v_cmp_lt_i32_e64 s[14:15], v58, v7
	s_or_b64 s[16:17], s[16:17], s[18:19]
	s_and_b64 s[14:15], s[14:15], s[16:17]
	s_xor_b64 s[16:17], s[14:15], -1
                                        ; implicit-def: $vgpr60
	s_and_saveexec_b64 s[18:19], s[16:17]
	s_xor_b64 s[16:17], exec, s[18:19]
; %bb.23:                               ;   in Loop: Header=BB95_2 Depth=1
	ds_read_u8 v60, v59 offset:1
; %bb.24:                               ;   in Loop: Header=BB95_2 Depth=1
	s_or_saveexec_b64 s[16:17], s[16:17]
	v_mov_b32_e32 v61, v57
	s_xor_b64 exec, exec, s[16:17]
	s_cbranch_execz .LBB95_26
; %bb.25:                               ;   in Loop: Header=BB95_2 Depth=1
	ds_read_u8 v61, v58 offset:1
	s_waitcnt lgkmcnt(1)
	v_mov_b32_e32 v60, v56
.LBB95_26:                              ;   in Loop: Header=BB95_2 Depth=1
	s_or_b64 exec, exec, s[16:17]
	v_add_u32_e32 v62, 1, v59
	v_cndmask_b32_e64 v56, v56, v57, s[14:15]
	v_add_u32_e32 v57, 1, v58
	v_cndmask_b32_e64 v62, v62, v59, s[14:15]
	v_cndmask_b32_e64 v57, v58, v57, s[14:15]
	;; [unrolled: 1-line block ×3, first 2 shown]
	v_cmp_ge_i32_e64 s[14:15], v62, v6
	s_waitcnt lgkmcnt(0)
	v_cmp_lt_u16_sdwa s[16:17], v61, v60 src0_sel:BYTE_0 src1_sel:BYTE_0
	v_cndmask_b32_e64 v53, v53, v55, s[12:13]
	v_cndmask_b32_e64 v52, v52, v54, s[12:13]
	v_cmp_lt_i32_e64 s[12:13], v57, v7
	s_or_b64 s[14:15], s[14:15], s[16:17]
	s_and_b64 s[12:13], s[12:13], s[14:15]
	v_cndmask_b32_e64 v55, v62, v57, s[12:13]
	s_barrier
	ds_write_b8 v43, v49
	ds_write_b8 v43, v51 offset:1
	ds_write_b8 v43, v50 offset:2
	s_waitcnt lgkmcnt(0)
	s_barrier
	ds_read_u8 v49, v52
	ds_read_u8 v50, v55
	;; [unrolled: 1-line block ×3, first 2 shown]
	v_cndmask_b32_e64 v54, v60, v61, s[12:13]
	s_waitcnt lgkmcnt(0)
	s_barrier
	ds_write_b8 v43, v53
	ds_write_b8 v43, v56 offset:1
	ds_write_b8 v43, v54 offset:2
	v_mov_b32_e32 v54, v31
	s_waitcnt lgkmcnt(0)
	s_barrier
	s_and_saveexec_b64 s[14:15], s[2:3]
	s_cbranch_execz .LBB95_30
; %bb.27:                               ;   in Loop: Header=BB95_2 Depth=1
	s_mov_b64 s[16:17], 0
	v_mov_b32_e32 v54, v31
	v_mov_b32_e32 v52, v19
.LBB95_28:                              ;   Parent Loop BB95_2 Depth=1
                                        ; =>  This Inner Loop Header: Depth=2
	v_sub_u32_e32 v53, v52, v54
	v_lshrrev_b32_e32 v53, 1, v53
	v_add_u32_e32 v53, v53, v54
	v_add_u32_e32 v55, v2, v53
	v_xad_u32 v56, v53, -1, v32
	ds_read_u8 v55, v55
	ds_read_u8 v56, v56 offset:12
	v_add_u32_e32 v57, 1, v53
	s_waitcnt lgkmcnt(0)
	v_cmp_lt_u16_e64 s[12:13], v56, v55
	v_cndmask_b32_e64 v52, v52, v53, s[12:13]
	v_cndmask_b32_e64 v54, v57, v54, s[12:13]
	v_cmp_ge_i32_e64 s[12:13], v54, v52
	s_or_b64 s[16:17], s[12:13], s[16:17]
	s_andn2_b64 exec, exec, s[16:17]
	s_cbranch_execnz .LBB95_28
; %bb.29:                               ;   in Loop: Header=BB95_2 Depth=1
	s_or_b64 exec, exec, s[16:17]
.LBB95_30:                              ;   in Loop: Header=BB95_2 Depth=1
	s_or_b64 exec, exec, s[14:15]
	v_add_u32_e32 v52, v54, v2
	v_sub_u32_e32 v58, v32, v54
	ds_read_u8 v53, v52
	ds_read_u8 v55, v58 offset:12
	v_sub_u32_e32 v54, v33, v54
	v_cmp_le_i32_e64 s[14:15], v8, v52
	v_cmp_gt_i32_e64 s[12:13], v9, v54
                                        ; implicit-def: $vgpr56
	s_waitcnt lgkmcnt(0)
	v_cmp_lt_u16_sdwa s[16:17], v55, v53 src0_sel:BYTE_0 src1_sel:BYTE_0
	s_or_b64 s[14:15], s[14:15], s[16:17]
	s_and_b64 s[12:13], s[12:13], s[14:15]
	s_xor_b64 s[14:15], s[12:13], -1
	s_and_saveexec_b64 s[16:17], s[14:15]
	s_xor_b64 s[14:15], exec, s[16:17]
; %bb.31:                               ;   in Loop: Header=BB95_2 Depth=1
	ds_read_u8 v56, v52 offset:1
                                        ; implicit-def: $vgpr58
; %bb.32:                               ;   in Loop: Header=BB95_2 Depth=1
	s_or_saveexec_b64 s[14:15], s[14:15]
	v_mov_b32_e32 v57, v55
	s_xor_b64 exec, exec, s[14:15]
	s_cbranch_execz .LBB95_34
; %bb.33:                               ;   in Loop: Header=BB95_2 Depth=1
	ds_read_u8 v57, v58 offset:13
	s_waitcnt lgkmcnt(1)
	v_mov_b32_e32 v56, v53
.LBB95_34:                              ;   in Loop: Header=BB95_2 Depth=1
	s_or_b64 exec, exec, s[14:15]
	v_add_u32_e32 v59, 1, v52
	v_add_u32_e32 v58, 1, v54
	v_cndmask_b32_e64 v59, v59, v52, s[12:13]
	v_cndmask_b32_e64 v58, v54, v58, s[12:13]
	v_cmp_ge_i32_e64 s[16:17], v59, v8
	s_waitcnt lgkmcnt(0)
	v_cmp_lt_u16_sdwa s[18:19], v57, v56 src0_sel:BYTE_0 src1_sel:BYTE_0
	v_cmp_lt_i32_e64 s[14:15], v58, v9
	s_or_b64 s[16:17], s[16:17], s[18:19]
	s_and_b64 s[14:15], s[14:15], s[16:17]
	s_xor_b64 s[16:17], s[14:15], -1
                                        ; implicit-def: $vgpr60
	s_and_saveexec_b64 s[18:19], s[16:17]
	s_xor_b64 s[16:17], exec, s[18:19]
; %bb.35:                               ;   in Loop: Header=BB95_2 Depth=1
	ds_read_u8 v60, v59 offset:1
; %bb.36:                               ;   in Loop: Header=BB95_2 Depth=1
	s_or_saveexec_b64 s[16:17], s[16:17]
	v_mov_b32_e32 v61, v57
	s_xor_b64 exec, exec, s[16:17]
	s_cbranch_execz .LBB95_38
; %bb.37:                               ;   in Loop: Header=BB95_2 Depth=1
	ds_read_u8 v61, v58 offset:1
	s_waitcnt lgkmcnt(1)
	v_mov_b32_e32 v60, v56
.LBB95_38:                              ;   in Loop: Header=BB95_2 Depth=1
	s_or_b64 exec, exec, s[16:17]
	v_add_u32_e32 v62, 1, v59
	v_cndmask_b32_e64 v56, v56, v57, s[14:15]
	v_add_u32_e32 v57, 1, v58
	v_cndmask_b32_e64 v62, v62, v59, s[14:15]
	v_cndmask_b32_e64 v57, v58, v57, s[14:15]
	;; [unrolled: 1-line block ×3, first 2 shown]
	v_cmp_ge_i32_e64 s[14:15], v62, v8
	s_waitcnt lgkmcnt(0)
	v_cmp_lt_u16_sdwa s[16:17], v61, v60 src0_sel:BYTE_0 src1_sel:BYTE_0
	v_cndmask_b32_e64 v53, v53, v55, s[12:13]
	v_cndmask_b32_e64 v52, v52, v54, s[12:13]
	v_cmp_lt_i32_e64 s[12:13], v57, v9
	s_or_b64 s[14:15], s[14:15], s[16:17]
	s_and_b64 s[12:13], s[12:13], s[14:15]
	v_cndmask_b32_e64 v55, v62, v57, s[12:13]
	s_barrier
	ds_write_b8 v43, v49
	ds_write_b8 v43, v51 offset:1
	ds_write_b8 v43, v50 offset:2
	s_waitcnt lgkmcnt(0)
	s_barrier
	ds_read_u8 v49, v52
	ds_read_u8 v50, v55
	ds_read_u8 v51, v58
	v_cndmask_b32_e64 v54, v60, v61, s[12:13]
	s_waitcnt lgkmcnt(0)
	s_barrier
	ds_write_b8 v43, v53
	ds_write_b8 v43, v56 offset:1
	ds_write_b8 v43, v54 offset:2
	v_mov_b32_e32 v54, v34
	s_waitcnt lgkmcnt(0)
	s_barrier
	s_and_saveexec_b64 s[14:15], s[4:5]
	s_cbranch_execz .LBB95_42
; %bb.39:                               ;   in Loop: Header=BB95_2 Depth=1
	s_mov_b64 s[16:17], 0
	v_mov_b32_e32 v54, v34
	v_mov_b32_e32 v52, v20
.LBB95_40:                              ;   Parent Loop BB95_2 Depth=1
                                        ; =>  This Inner Loop Header: Depth=2
	v_sub_u32_e32 v53, v52, v54
	v_lshrrev_b32_e32 v53, 1, v53
	v_add_u32_e32 v53, v53, v54
	v_add_u32_e32 v55, v3, v53
	v_xad_u32 v56, v53, -1, v35
	ds_read_u8 v55, v55
	ds_read_u8 v56, v56 offset:24
	v_add_u32_e32 v57, 1, v53
	s_waitcnt lgkmcnt(0)
	v_cmp_lt_u16_e64 s[12:13], v56, v55
	v_cndmask_b32_e64 v52, v52, v53, s[12:13]
	v_cndmask_b32_e64 v54, v57, v54, s[12:13]
	v_cmp_ge_i32_e64 s[12:13], v54, v52
	s_or_b64 s[16:17], s[12:13], s[16:17]
	s_andn2_b64 exec, exec, s[16:17]
	s_cbranch_execnz .LBB95_40
; %bb.41:                               ;   in Loop: Header=BB95_2 Depth=1
	s_or_b64 exec, exec, s[16:17]
.LBB95_42:                              ;   in Loop: Header=BB95_2 Depth=1
	s_or_b64 exec, exec, s[14:15]
	v_add_u32_e32 v52, v54, v3
	v_sub_u32_e32 v58, v35, v54
	ds_read_u8 v53, v52
	ds_read_u8 v55, v58 offset:24
	v_sub_u32_e32 v54, v36, v54
	v_cmp_le_i32_e64 s[14:15], v11, v52
	v_cmp_gt_i32_e64 s[12:13], v10, v54
                                        ; implicit-def: $vgpr56
	s_waitcnt lgkmcnt(0)
	v_cmp_lt_u16_sdwa s[16:17], v55, v53 src0_sel:BYTE_0 src1_sel:BYTE_0
	s_or_b64 s[14:15], s[14:15], s[16:17]
	s_and_b64 s[12:13], s[12:13], s[14:15]
	s_xor_b64 s[14:15], s[12:13], -1
	s_and_saveexec_b64 s[16:17], s[14:15]
	s_xor_b64 s[14:15], exec, s[16:17]
; %bb.43:                               ;   in Loop: Header=BB95_2 Depth=1
	ds_read_u8 v56, v52 offset:1
                                        ; implicit-def: $vgpr58
; %bb.44:                               ;   in Loop: Header=BB95_2 Depth=1
	s_or_saveexec_b64 s[14:15], s[14:15]
	v_mov_b32_e32 v57, v55
	s_xor_b64 exec, exec, s[14:15]
	s_cbranch_execz .LBB95_46
; %bb.45:                               ;   in Loop: Header=BB95_2 Depth=1
	ds_read_u8 v57, v58 offset:25
	s_waitcnt lgkmcnt(1)
	v_mov_b32_e32 v56, v53
.LBB95_46:                              ;   in Loop: Header=BB95_2 Depth=1
	s_or_b64 exec, exec, s[14:15]
	v_add_u32_e32 v59, 1, v52
	v_add_u32_e32 v58, 1, v54
	v_cndmask_b32_e64 v59, v59, v52, s[12:13]
	v_cndmask_b32_e64 v58, v54, v58, s[12:13]
	v_cmp_ge_i32_e64 s[16:17], v59, v11
	s_waitcnt lgkmcnt(0)
	v_cmp_lt_u16_sdwa s[18:19], v57, v56 src0_sel:BYTE_0 src1_sel:BYTE_0
	v_cmp_lt_i32_e64 s[14:15], v58, v10
	s_or_b64 s[16:17], s[16:17], s[18:19]
	s_and_b64 s[14:15], s[14:15], s[16:17]
	s_xor_b64 s[16:17], s[14:15], -1
                                        ; implicit-def: $vgpr60
	s_and_saveexec_b64 s[18:19], s[16:17]
	s_xor_b64 s[16:17], exec, s[18:19]
; %bb.47:                               ;   in Loop: Header=BB95_2 Depth=1
	ds_read_u8 v60, v59 offset:1
; %bb.48:                               ;   in Loop: Header=BB95_2 Depth=1
	s_or_saveexec_b64 s[16:17], s[16:17]
	v_mov_b32_e32 v61, v57
	s_xor_b64 exec, exec, s[16:17]
	s_cbranch_execz .LBB95_50
; %bb.49:                               ;   in Loop: Header=BB95_2 Depth=1
	ds_read_u8 v61, v58 offset:1
	s_waitcnt lgkmcnt(1)
	v_mov_b32_e32 v60, v56
.LBB95_50:                              ;   in Loop: Header=BB95_2 Depth=1
	s_or_b64 exec, exec, s[16:17]
	v_add_u32_e32 v62, 1, v59
	v_cndmask_b32_e64 v56, v56, v57, s[14:15]
	v_add_u32_e32 v57, 1, v58
	v_cndmask_b32_e64 v62, v62, v59, s[14:15]
	v_cndmask_b32_e64 v57, v58, v57, s[14:15]
	v_cndmask_b32_e64 v58, v59, v58, s[14:15]
	v_cmp_ge_i32_e64 s[14:15], v62, v11
	s_waitcnt lgkmcnt(0)
	v_cmp_lt_u16_sdwa s[16:17], v61, v60 src0_sel:BYTE_0 src1_sel:BYTE_0
	v_cndmask_b32_e64 v53, v53, v55, s[12:13]
	v_cndmask_b32_e64 v52, v52, v54, s[12:13]
	v_cmp_lt_i32_e64 s[12:13], v57, v10
	s_or_b64 s[14:15], s[14:15], s[16:17]
	s_and_b64 s[12:13], s[12:13], s[14:15]
	v_cndmask_b32_e64 v55, v62, v57, s[12:13]
	s_barrier
	ds_write_b8 v43, v49
	ds_write_b8 v43, v51 offset:1
	ds_write_b8 v43, v50 offset:2
	s_waitcnt lgkmcnt(0)
	s_barrier
	ds_read_u8 v49, v52
	ds_read_u8 v50, v55
	;; [unrolled: 1-line block ×3, first 2 shown]
	v_cndmask_b32_e64 v54, v60, v61, s[12:13]
	s_waitcnt lgkmcnt(0)
	s_barrier
	ds_write_b8 v43, v53
	ds_write_b8 v43, v56 offset:1
	ds_write_b8 v43, v54 offset:2
	v_mov_b32_e32 v54, v37
	s_waitcnt lgkmcnt(0)
	s_barrier
	s_and_saveexec_b64 s[14:15], s[6:7]
	s_cbranch_execz .LBB95_54
; %bb.51:                               ;   in Loop: Header=BB95_2 Depth=1
	s_mov_b64 s[16:17], 0
	v_mov_b32_e32 v54, v37
	v_mov_b32_e32 v52, v21
.LBB95_52:                              ;   Parent Loop BB95_2 Depth=1
                                        ; =>  This Inner Loop Header: Depth=2
	v_sub_u32_e32 v53, v52, v54
	v_lshrrev_b32_e32 v53, 1, v53
	v_add_u32_e32 v53, v53, v54
	v_add_u32_e32 v55, v4, v53
	v_xad_u32 v56, v53, -1, v38
	ds_read_u8 v55, v55
	ds_read_u8 v56, v56 offset:48
	v_add_u32_e32 v57, 1, v53
	s_waitcnt lgkmcnt(0)
	v_cmp_lt_u16_e64 s[12:13], v56, v55
	v_cndmask_b32_e64 v52, v52, v53, s[12:13]
	v_cndmask_b32_e64 v54, v57, v54, s[12:13]
	v_cmp_ge_i32_e64 s[12:13], v54, v52
	s_or_b64 s[16:17], s[12:13], s[16:17]
	s_andn2_b64 exec, exec, s[16:17]
	s_cbranch_execnz .LBB95_52
; %bb.53:                               ;   in Loop: Header=BB95_2 Depth=1
	s_or_b64 exec, exec, s[16:17]
.LBB95_54:                              ;   in Loop: Header=BB95_2 Depth=1
	s_or_b64 exec, exec, s[14:15]
	v_add_u32_e32 v52, v54, v4
	v_sub_u32_e32 v58, v38, v54
	ds_read_u8 v53, v52
	ds_read_u8 v55, v58 offset:48
	v_sub_u32_e32 v54, v39, v54
	v_cmp_le_i32_e64 s[14:15], v13, v52
	v_cmp_gt_i32_e64 s[12:13], v12, v54
                                        ; implicit-def: $vgpr56
	s_waitcnt lgkmcnt(0)
	v_cmp_lt_u16_sdwa s[16:17], v55, v53 src0_sel:BYTE_0 src1_sel:BYTE_0
	s_or_b64 s[14:15], s[14:15], s[16:17]
	s_and_b64 s[12:13], s[12:13], s[14:15]
	s_xor_b64 s[14:15], s[12:13], -1
	s_and_saveexec_b64 s[16:17], s[14:15]
	s_xor_b64 s[14:15], exec, s[16:17]
; %bb.55:                               ;   in Loop: Header=BB95_2 Depth=1
	ds_read_u8 v56, v52 offset:1
                                        ; implicit-def: $vgpr58
; %bb.56:                               ;   in Loop: Header=BB95_2 Depth=1
	s_or_saveexec_b64 s[14:15], s[14:15]
	v_mov_b32_e32 v57, v55
	s_xor_b64 exec, exec, s[14:15]
	s_cbranch_execz .LBB95_58
; %bb.57:                               ;   in Loop: Header=BB95_2 Depth=1
	ds_read_u8 v57, v58 offset:49
	s_waitcnt lgkmcnt(1)
	v_mov_b32_e32 v56, v53
.LBB95_58:                              ;   in Loop: Header=BB95_2 Depth=1
	s_or_b64 exec, exec, s[14:15]
	v_add_u32_e32 v59, 1, v52
	v_add_u32_e32 v58, 1, v54
	v_cndmask_b32_e64 v59, v59, v52, s[12:13]
	v_cndmask_b32_e64 v58, v54, v58, s[12:13]
	v_cmp_ge_i32_e64 s[16:17], v59, v13
	s_waitcnt lgkmcnt(0)
	v_cmp_lt_u16_sdwa s[18:19], v57, v56 src0_sel:BYTE_0 src1_sel:BYTE_0
	v_cmp_lt_i32_e64 s[14:15], v58, v12
	s_or_b64 s[16:17], s[16:17], s[18:19]
	s_and_b64 s[14:15], s[14:15], s[16:17]
	s_xor_b64 s[16:17], s[14:15], -1
                                        ; implicit-def: $vgpr60
	s_and_saveexec_b64 s[18:19], s[16:17]
	s_xor_b64 s[16:17], exec, s[18:19]
; %bb.59:                               ;   in Loop: Header=BB95_2 Depth=1
	ds_read_u8 v60, v59 offset:1
; %bb.60:                               ;   in Loop: Header=BB95_2 Depth=1
	s_or_saveexec_b64 s[16:17], s[16:17]
	v_mov_b32_e32 v61, v57
	s_xor_b64 exec, exec, s[16:17]
	s_cbranch_execz .LBB95_62
; %bb.61:                               ;   in Loop: Header=BB95_2 Depth=1
	ds_read_u8 v61, v58 offset:1
	s_waitcnt lgkmcnt(1)
	v_mov_b32_e32 v60, v56
.LBB95_62:                              ;   in Loop: Header=BB95_2 Depth=1
	s_or_b64 exec, exec, s[16:17]
	v_add_u32_e32 v62, 1, v59
	v_cndmask_b32_e64 v56, v56, v57, s[14:15]
	v_add_u32_e32 v57, 1, v58
	v_cndmask_b32_e64 v62, v62, v59, s[14:15]
	v_cndmask_b32_e64 v57, v58, v57, s[14:15]
	;; [unrolled: 1-line block ×3, first 2 shown]
	v_cmp_ge_i32_e64 s[14:15], v62, v13
	s_waitcnt lgkmcnt(0)
	v_cmp_lt_u16_sdwa s[16:17], v61, v60 src0_sel:BYTE_0 src1_sel:BYTE_0
	v_cndmask_b32_e64 v53, v53, v55, s[12:13]
	v_cndmask_b32_e64 v52, v52, v54, s[12:13]
	v_cmp_lt_i32_e64 s[12:13], v57, v12
	s_or_b64 s[14:15], s[14:15], s[16:17]
	s_and_b64 s[12:13], s[12:13], s[14:15]
	v_cndmask_b32_e64 v55, v62, v57, s[12:13]
	s_barrier
	ds_write_b8 v43, v49
	ds_write_b8 v43, v51 offset:1
	ds_write_b8 v43, v50 offset:2
	s_waitcnt lgkmcnt(0)
	s_barrier
	ds_read_u8 v49, v52
	ds_read_u8 v50, v55
	;; [unrolled: 1-line block ×3, first 2 shown]
	v_cndmask_b32_e64 v54, v60, v61, s[12:13]
	s_waitcnt lgkmcnt(0)
	s_barrier
	ds_write_b8 v43, v53
	ds_write_b8 v43, v56 offset:1
	ds_write_b8 v43, v54 offset:2
	v_mov_b32_e32 v54, v40
	s_waitcnt lgkmcnt(0)
	s_barrier
	s_and_saveexec_b64 s[14:15], s[8:9]
	s_cbranch_execz .LBB95_66
; %bb.63:                               ;   in Loop: Header=BB95_2 Depth=1
	s_mov_b64 s[16:17], 0
	v_mov_b32_e32 v54, v40
	v_mov_b32_e32 v52, v22
.LBB95_64:                              ;   Parent Loop BB95_2 Depth=1
                                        ; =>  This Inner Loop Header: Depth=2
	v_sub_u32_e32 v53, v52, v54
	v_lshrrev_b32_e32 v53, 1, v53
	v_add_u32_e32 v53, v53, v54
	v_add_u32_e32 v55, v5, v53
	v_xad_u32 v56, v53, -1, v41
	ds_read_u8 v55, v55
	ds_read_u8 v56, v56 offset:96
	v_add_u32_e32 v57, 1, v53
	s_waitcnt lgkmcnt(0)
	v_cmp_lt_u16_e64 s[12:13], v56, v55
	v_cndmask_b32_e64 v52, v52, v53, s[12:13]
	v_cndmask_b32_e64 v54, v57, v54, s[12:13]
	v_cmp_ge_i32_e64 s[12:13], v54, v52
	s_or_b64 s[16:17], s[12:13], s[16:17]
	s_andn2_b64 exec, exec, s[16:17]
	s_cbranch_execnz .LBB95_64
; %bb.65:                               ;   in Loop: Header=BB95_2 Depth=1
	s_or_b64 exec, exec, s[16:17]
.LBB95_66:                              ;   in Loop: Header=BB95_2 Depth=1
	s_or_b64 exec, exec, s[14:15]
	v_add_u32_e32 v52, v54, v5
	v_sub_u32_e32 v58, v41, v54
	ds_read_u8 v53, v52
	ds_read_u8 v55, v58 offset:96
	v_sub_u32_e32 v54, v42, v54
	v_cmp_le_i32_e64 s[14:15], v15, v52
	v_cmp_gt_i32_e64 s[12:13], v14, v54
                                        ; implicit-def: $vgpr56
	s_waitcnt lgkmcnt(0)
	v_cmp_lt_u16_sdwa s[16:17], v55, v53 src0_sel:BYTE_0 src1_sel:BYTE_0
	s_or_b64 s[14:15], s[14:15], s[16:17]
	s_and_b64 s[12:13], s[12:13], s[14:15]
	s_xor_b64 s[14:15], s[12:13], -1
	s_and_saveexec_b64 s[16:17], s[14:15]
	s_xor_b64 s[14:15], exec, s[16:17]
; %bb.67:                               ;   in Loop: Header=BB95_2 Depth=1
	ds_read_u8 v56, v52 offset:1
                                        ; implicit-def: $vgpr58
; %bb.68:                               ;   in Loop: Header=BB95_2 Depth=1
	s_or_saveexec_b64 s[14:15], s[14:15]
	v_mov_b32_e32 v57, v55
	s_xor_b64 exec, exec, s[14:15]
	s_cbranch_execz .LBB95_70
; %bb.69:                               ;   in Loop: Header=BB95_2 Depth=1
	ds_read_u8 v57, v58 offset:97
	s_waitcnt lgkmcnt(1)
	v_mov_b32_e32 v56, v53
.LBB95_70:                              ;   in Loop: Header=BB95_2 Depth=1
	s_or_b64 exec, exec, s[14:15]
	v_add_u32_e32 v59, 1, v52
	v_add_u32_e32 v58, 1, v54
	v_cndmask_b32_e64 v59, v59, v52, s[12:13]
	v_cndmask_b32_e64 v58, v54, v58, s[12:13]
	v_cmp_ge_i32_e64 s[16:17], v59, v15
	s_waitcnt lgkmcnt(0)
	v_cmp_lt_u16_sdwa s[18:19], v57, v56 src0_sel:BYTE_0 src1_sel:BYTE_0
	v_cmp_lt_i32_e64 s[14:15], v58, v14
	s_or_b64 s[16:17], s[16:17], s[18:19]
	s_and_b64 s[14:15], s[14:15], s[16:17]
	s_xor_b64 s[16:17], s[14:15], -1
                                        ; implicit-def: $vgpr60
	s_and_saveexec_b64 s[18:19], s[16:17]
	s_xor_b64 s[16:17], exec, s[18:19]
; %bb.71:                               ;   in Loop: Header=BB95_2 Depth=1
	ds_read_u8 v60, v59 offset:1
; %bb.72:                               ;   in Loop: Header=BB95_2 Depth=1
	s_or_saveexec_b64 s[16:17], s[16:17]
	v_mov_b32_e32 v61, v57
	s_xor_b64 exec, exec, s[16:17]
	s_cbranch_execz .LBB95_74
; %bb.73:                               ;   in Loop: Header=BB95_2 Depth=1
	ds_read_u8 v61, v58 offset:1
	s_waitcnt lgkmcnt(1)
	v_mov_b32_e32 v60, v56
.LBB95_74:                              ;   in Loop: Header=BB95_2 Depth=1
	s_or_b64 exec, exec, s[16:17]
	v_add_u32_e32 v62, 1, v59
	v_cndmask_b32_e64 v56, v56, v57, s[14:15]
	v_add_u32_e32 v57, 1, v58
	v_cndmask_b32_e64 v62, v62, v59, s[14:15]
	v_cndmask_b32_e64 v57, v58, v57, s[14:15]
	;; [unrolled: 1-line block ×3, first 2 shown]
	v_cmp_ge_i32_e64 s[14:15], v62, v15
	s_waitcnt lgkmcnt(0)
	v_cmp_lt_u16_sdwa s[16:17], v61, v60 src0_sel:BYTE_0 src1_sel:BYTE_0
	v_cndmask_b32_e64 v53, v53, v55, s[12:13]
	v_cndmask_b32_e64 v52, v52, v54, s[12:13]
	v_cmp_lt_i32_e64 s[12:13], v57, v14
	s_or_b64 s[14:15], s[14:15], s[16:17]
	s_and_b64 s[12:13], s[12:13], s[14:15]
	v_cndmask_b32_e64 v55, v62, v57, s[12:13]
	s_barrier
	ds_write_b8 v43, v49
	ds_write_b8 v43, v51 offset:1
	ds_write_b8 v43, v50 offset:2
	s_waitcnt lgkmcnt(0)
	s_barrier
	ds_read_u8 v49, v52
	ds_read_u8 v50, v55
	ds_read_u8 v51, v58
	v_mov_b32_e32 v52, v45
	v_cndmask_b32_e64 v54, v60, v61, s[12:13]
	s_waitcnt lgkmcnt(0)
	s_barrier
	ds_write_b8 v43, v53
	ds_write_b8 v43, v56 offset:1
	ds_write_b8 v43, v54 offset:2
	s_waitcnt lgkmcnt(0)
	s_barrier
	s_and_saveexec_b64 s[14:15], s[10:11]
	s_cbranch_execz .LBB95_78
; %bb.75:                               ;   in Loop: Header=BB95_2 Depth=1
	s_mov_b64 s[16:17], 0
	v_mov_b32_e32 v52, v45
	v_mov_b32_e32 v53, v46
.LBB95_76:                              ;   Parent Loop BB95_2 Depth=1
                                        ; =>  This Inner Loop Header: Depth=2
	v_sub_u32_e32 v54, v53, v52
	v_lshrrev_b32_e32 v54, 1, v54
	v_add_u32_e32 v54, v54, v52
	v_xad_u32 v55, v54, -1, v43
	ds_read_u8 v56, v54
	ds_read_u8 v55, v55 offset:192
	v_add_u32_e32 v57, 1, v54
	s_waitcnt lgkmcnt(0)
	v_cmp_lt_u16_e64 s[12:13], v55, v56
	v_cndmask_b32_e64 v53, v53, v54, s[12:13]
	v_cndmask_b32_e64 v52, v57, v52, s[12:13]
	v_cmp_ge_i32_e64 s[12:13], v52, v53
	s_or_b64 s[16:17], s[12:13], s[16:17]
	s_andn2_b64 exec, exec, s[16:17]
	s_cbranch_execnz .LBB95_76
; %bb.77:                               ;   in Loop: Header=BB95_2 Depth=1
	s_or_b64 exec, exec, s[16:17]
.LBB95_78:                              ;   in Loop: Header=BB95_2 Depth=1
	s_or_b64 exec, exec, s[14:15]
	v_sub_u32_e32 v58, v43, v52
	ds_read_u8 v54, v52
	ds_read_u8 v55, v58 offset:192
	v_sub_u32_e32 v53, v47, v52
	v_cmp_le_i32_e64 s[14:15], v44, v52
	v_cmp_gt_i32_e64 s[12:13], s25, v53
                                        ; implicit-def: $vgpr56
	s_waitcnt lgkmcnt(0)
	v_cmp_lt_u16_sdwa s[16:17], v55, v54 src0_sel:BYTE_0 src1_sel:BYTE_0
	s_or_b64 s[14:15], s[14:15], s[16:17]
	s_and_b64 s[12:13], s[12:13], s[14:15]
	s_xor_b64 s[14:15], s[12:13], -1
	s_and_saveexec_b64 s[16:17], s[14:15]
	s_xor_b64 s[14:15], exec, s[16:17]
; %bb.79:                               ;   in Loop: Header=BB95_2 Depth=1
	ds_read_u8 v56, v52 offset:1
                                        ; implicit-def: $vgpr58
; %bb.80:                               ;   in Loop: Header=BB95_2 Depth=1
	s_or_saveexec_b64 s[14:15], s[14:15]
	v_mov_b32_e32 v57, v55
	s_xor_b64 exec, exec, s[14:15]
	s_cbranch_execz .LBB95_82
; %bb.81:                               ;   in Loop: Header=BB95_2 Depth=1
	ds_read_u8 v57, v58 offset:193
	s_waitcnt lgkmcnt(1)
	v_mov_b32_e32 v56, v54
.LBB95_82:                              ;   in Loop: Header=BB95_2 Depth=1
	s_or_b64 exec, exec, s[14:15]
	v_add_u32_e32 v59, 1, v52
	v_add_u32_e32 v58, 1, v53
	v_cndmask_b32_e64 v62, v59, v52, s[12:13]
	v_cndmask_b32_e64 v58, v53, v58, s[12:13]
	v_cmp_ge_i32_e64 s[16:17], v62, v44
	s_waitcnt lgkmcnt(0)
	v_cmp_lt_u16_sdwa s[18:19], v57, v56 src0_sel:BYTE_0 src1_sel:BYTE_0
	v_cmp_gt_i32_e64 s[14:15], s25, v58
	s_or_b64 s[16:17], s[16:17], s[18:19]
	s_and_b64 s[14:15], s[14:15], s[16:17]
	s_xor_b64 s[16:17], s[14:15], -1
                                        ; implicit-def: $vgpr61
                                        ; implicit-def: $vgpr59
	s_and_saveexec_b64 s[18:19], s[16:17]
	s_xor_b64 s[16:17], exec, s[18:19]
; %bb.83:                               ;   in Loop: Header=BB95_2 Depth=1
	ds_read_u8 v61, v62 offset:1
	v_add_u32_e32 v59, 1, v62
; %bb.84:                               ;   in Loop: Header=BB95_2 Depth=1
	s_or_saveexec_b64 s[16:17], s[16:17]
	v_mov_b32_e32 v60, v62
	v_mov_b32_e32 v63, v57
	s_xor_b64 exec, exec, s[16:17]
	s_cbranch_execz .LBB95_1
; %bb.85:                               ;   in Loop: Header=BB95_2 Depth=1
	ds_read_u8 v63, v58 offset:1
	s_waitcnt lgkmcnt(1)
	v_add_u32_e32 v61, 1, v58
	v_mov_b32_e32 v60, v58
	v_mov_b32_e32 v59, v62
	;; [unrolled: 1-line block ×4, first 2 shown]
	s_branch .LBB95_1
.LBB95_86:
	s_add_u32 s0, s26, s28
	s_addc_u32 s1, s27, 0
	v_mov_b32_e32 v1, s1
	v_add_co_u32_e32 v0, vcc, s0, v0
	s_waitcnt lgkmcnt(2)
	v_add_u16_e32 v2, v54, v50
	v_addc_co_u32_e32 v1, vcc, 0, v1, vcc
	s_waitcnt lgkmcnt(1)
	v_add_u16_e32 v3, v55, v51
	s_waitcnt lgkmcnt(0)
	v_add_u16_e32 v4, v53, v49
	global_store_byte v[0:1], v2, off
	global_store_byte v[0:1], v3, off offset:128
	global_store_byte v[0:1], v4, off offset:256
	s_endpgm
	.section	.rodata,"a",@progbits
	.p2align	6, 0x0
	.amdhsa_kernel _Z17sort_pairs_kernelIhLj128ELj3EN10test_utils4lessELj10EEvPKT_PS2_T2_
		.amdhsa_group_segment_fixed_size 385
		.amdhsa_private_segment_fixed_size 0
		.amdhsa_kernarg_size 20
		.amdhsa_user_sgpr_count 6
		.amdhsa_user_sgpr_private_segment_buffer 1
		.amdhsa_user_sgpr_dispatch_ptr 0
		.amdhsa_user_sgpr_queue_ptr 0
		.amdhsa_user_sgpr_kernarg_segment_ptr 1
		.amdhsa_user_sgpr_dispatch_id 0
		.amdhsa_user_sgpr_flat_scratch_init 0
		.amdhsa_user_sgpr_private_segment_size 0
		.amdhsa_uses_dynamic_stack 0
		.amdhsa_system_sgpr_private_segment_wavefront_offset 0
		.amdhsa_system_sgpr_workgroup_id_x 1
		.amdhsa_system_sgpr_workgroup_id_y 0
		.amdhsa_system_sgpr_workgroup_id_z 0
		.amdhsa_system_sgpr_workgroup_info 0
		.amdhsa_system_vgpr_workitem_id 0
		.amdhsa_next_free_vgpr 64
		.amdhsa_next_free_sgpr 40
		.amdhsa_reserve_vcc 1
		.amdhsa_reserve_flat_scratch 0
		.amdhsa_float_round_mode_32 0
		.amdhsa_float_round_mode_16_64 0
		.amdhsa_float_denorm_mode_32 3
		.amdhsa_float_denorm_mode_16_64 3
		.amdhsa_dx10_clamp 1
		.amdhsa_ieee_mode 1
		.amdhsa_fp16_overflow 0
		.amdhsa_exception_fp_ieee_invalid_op 0
		.amdhsa_exception_fp_denorm_src 0
		.amdhsa_exception_fp_ieee_div_zero 0
		.amdhsa_exception_fp_ieee_overflow 0
		.amdhsa_exception_fp_ieee_underflow 0
		.amdhsa_exception_fp_ieee_inexact 0
		.amdhsa_exception_int_div_zero 0
	.end_amdhsa_kernel
	.section	.text._Z17sort_pairs_kernelIhLj128ELj3EN10test_utils4lessELj10EEvPKT_PS2_T2_,"axG",@progbits,_Z17sort_pairs_kernelIhLj128ELj3EN10test_utils4lessELj10EEvPKT_PS2_T2_,comdat
.Lfunc_end95:
	.size	_Z17sort_pairs_kernelIhLj128ELj3EN10test_utils4lessELj10EEvPKT_PS2_T2_, .Lfunc_end95-_Z17sort_pairs_kernelIhLj128ELj3EN10test_utils4lessELj10EEvPKT_PS2_T2_
                                        ; -- End function
	.set _Z17sort_pairs_kernelIhLj128ELj3EN10test_utils4lessELj10EEvPKT_PS2_T2_.num_vgpr, 64
	.set _Z17sort_pairs_kernelIhLj128ELj3EN10test_utils4lessELj10EEvPKT_PS2_T2_.num_agpr, 0
	.set _Z17sort_pairs_kernelIhLj128ELj3EN10test_utils4lessELj10EEvPKT_PS2_T2_.numbered_sgpr, 40
	.set _Z17sort_pairs_kernelIhLj128ELj3EN10test_utils4lessELj10EEvPKT_PS2_T2_.num_named_barrier, 0
	.set _Z17sort_pairs_kernelIhLj128ELj3EN10test_utils4lessELj10EEvPKT_PS2_T2_.private_seg_size, 0
	.set _Z17sort_pairs_kernelIhLj128ELj3EN10test_utils4lessELj10EEvPKT_PS2_T2_.uses_vcc, 1
	.set _Z17sort_pairs_kernelIhLj128ELj3EN10test_utils4lessELj10EEvPKT_PS2_T2_.uses_flat_scratch, 0
	.set _Z17sort_pairs_kernelIhLj128ELj3EN10test_utils4lessELj10EEvPKT_PS2_T2_.has_dyn_sized_stack, 0
	.set _Z17sort_pairs_kernelIhLj128ELj3EN10test_utils4lessELj10EEvPKT_PS2_T2_.has_recursion, 0
	.set _Z17sort_pairs_kernelIhLj128ELj3EN10test_utils4lessELj10EEvPKT_PS2_T2_.has_indirect_call, 0
	.section	.AMDGPU.csdata,"",@progbits
; Kernel info:
; codeLenInByte = 5164
; TotalNumSgprs: 44
; NumVgprs: 64
; ScratchSize: 0
; MemoryBound: 0
; FloatMode: 240
; IeeeMode: 1
; LDSByteSize: 385 bytes/workgroup (compile time only)
; SGPRBlocks: 5
; VGPRBlocks: 15
; NumSGPRsForWavesPerEU: 44
; NumVGPRsForWavesPerEU: 64
; Occupancy: 4
; WaveLimiterHint : 1
; COMPUTE_PGM_RSRC2:SCRATCH_EN: 0
; COMPUTE_PGM_RSRC2:USER_SGPR: 6
; COMPUTE_PGM_RSRC2:TRAP_HANDLER: 0
; COMPUTE_PGM_RSRC2:TGID_X_EN: 1
; COMPUTE_PGM_RSRC2:TGID_Y_EN: 0
; COMPUTE_PGM_RSRC2:TGID_Z_EN: 0
; COMPUTE_PGM_RSRC2:TIDIG_COMP_CNT: 0
	.section	.text._Z16sort_keys_kernelIhLj128ELj4EN10test_utils4lessELj10EEvPKT_PS2_T2_,"axG",@progbits,_Z16sort_keys_kernelIhLj128ELj4EN10test_utils4lessELj10EEvPKT_PS2_T2_,comdat
	.protected	_Z16sort_keys_kernelIhLj128ELj4EN10test_utils4lessELj10EEvPKT_PS2_T2_ ; -- Begin function _Z16sort_keys_kernelIhLj128ELj4EN10test_utils4lessELj10EEvPKT_PS2_T2_
	.globl	_Z16sort_keys_kernelIhLj128ELj4EN10test_utils4lessELj10EEvPKT_PS2_T2_
	.p2align	8
	.type	_Z16sort_keys_kernelIhLj128ELj4EN10test_utils4lessELj10EEvPKT_PS2_T2_,@function
_Z16sort_keys_kernelIhLj128ELj4EN10test_utils4lessELj10EEvPKT_PS2_T2_: ; @_Z16sort_keys_kernelIhLj128ELj4EN10test_utils4lessELj10EEvPKT_PS2_T2_
; %bb.0:
	s_load_dwordx4 s[20:23], s[4:5], 0x0
	s_lshl_b32 s24, s6, 9
	v_lshlrev_b32_e32 v2, 2, v0
	v_and_b32_e32 v3, 0x1f8, v2
	v_and_b32_e32 v4, 0x1f0, v2
	s_waitcnt lgkmcnt(0)
	s_add_u32 s0, s20, s24
	s_addc_u32 s1, s21, 0
	global_load_ubyte v39, v0, s[0:1] offset:128
	global_load_ubyte v40, v0, s[0:1] offset:256
	;; [unrolled: 1-line block ×3, first 2 shown]
	global_load_ubyte v42, v0, s[0:1]
	v_or_b32_e32 v9, 4, v3
	v_add_u32_e32 v10, 8, v3
	v_and_b32_e32 v33, 4, v2
	v_and_b32_e32 v5, 0x1e0, v2
	v_or_b32_e32 v11, 8, v4
	v_add_u32_e32 v12, 16, v4
	v_sub_u32_e32 v43, v10, v9
	v_and_b32_e32 v34, 12, v2
	v_and_b32_e32 v6, 0x1c0, v2
	v_or_b32_e32 v13, 16, v5
	v_add_u32_e32 v14, 32, v5
	v_sub_u32_e32 v44, v12, v11
	v_sub_u32_e32 v27, v9, v3
	;; [unrolled: 1-line block ×3, first 2 shown]
	v_cmp_ge_i32_e32 vcc, v33, v43
	v_and_b32_e32 v35, 28, v2
	v_and_b32_e32 v7, 0x180, v2
	v_or_b32_e32 v15, 32, v6
	v_add_u32_e32 v16, 64, v6
	v_sub_u32_e32 v45, v14, v13
	v_add_u32_e32 v21, v9, v33
	v_sub_u32_e32 v28, v11, v4
	v_sub_u32_e32 v50, v34, v44
	v_min_i32_e32 v27, v33, v27
	v_cndmask_b32_e32 v33, 0, v49, vcc
	v_cmp_ge_i32_e32 vcc, v34, v44
	v_and_b32_e32 v36, 60, v2
	v_and_b32_e32 v8, 0x100, v2
	v_or_b32_e32 v17, 64, v7
	v_add_u32_e32 v18, 0x80, v7
	v_sub_u32_e32 v46, v16, v15
	v_add_u32_e32 v22, v11, v34
	v_sub_u32_e32 v29, v13, v5
	v_sub_u32_e32 v51, v35, v45
	v_min_i32_e32 v28, v34, v28
	v_cndmask_b32_e32 v34, 0, v50, vcc
	v_cmp_ge_i32_e32 vcc, v35, v45
	v_and_b32_e32 v37, 0x7c, v2
	v_or_b32_e32 v19, 0x80, v8
	v_add_u32_e32 v20, 0x100, v8
	v_sub_u32_e32 v47, v18, v17
	v_add_u32_e32 v23, v13, v35
	v_sub_u32_e32 v30, v15, v6
	v_sub_u32_e32 v52, v36, v46
	v_min_i32_e32 v29, v35, v29
	v_cndmask_b32_e32 v35, 0, v51, vcc
	v_cmp_ge_i32_e32 vcc, v36, v46
	s_mov_b32 s10, 0xc0c0004
	v_and_b32_e32 v38, 0xfc, v2
	v_sub_u32_e32 v48, v20, v19
	v_add_u32_e32 v24, v15, v36
	v_sub_u32_e32 v31, v17, v7
	v_sub_u32_e32 v53, v37, v47
	v_min_i32_e32 v30, v36, v30
	v_cndmask_b32_e32 v36, 0, v52, vcc
	v_cmp_ge_i32_e32 vcc, v37, v47
	v_mov_b32_e32 v1, 0x100
	v_add_u32_e32 v25, v17, v37
	v_sub_u32_e32 v32, v19, v8
	v_sub_u32_e32 v54, v38, v48
	v_min_i32_e32 v31, v37, v31
	v_cndmask_b32_e32 v37, 0, v53, vcc
	v_cmp_ge_i32_e32 vcc, v38, v48
	v_add_u32_e32 v26, v19, v38
	v_min_i32_e32 v32, v38, v32
	v_cndmask_b32_e32 v38, 0, v54, vcc
	s_mov_b32 s20, 0
	v_cmp_lt_i32_e32 vcc, v33, v27
	v_cmp_lt_i32_e64 s[0:1], v34, v28
	v_cmp_lt_i32_e64 s[2:3], v35, v29
	;; [unrolled: 1-line block ×5, first 2 shown]
	s_mov_b32 s21, 0x7060405
	s_mov_b32 s25, 0xc0c0001
	;; [unrolled: 1-line block ×3, first 2 shown]
	s_movk_i32 s27, 0xff00
	s_mov_b32 s28, 0xffff0000
	s_waitcnt vmcnt(1)
	v_perm_b32 v40, v40, v41, s10
	s_waitcnt vmcnt(0)
	v_perm_b32 v39, v42, v39, s10
	v_lshl_or_b32 v45, v40, 16, v39
	v_sub_u32_e64 v39, v2, v1 clamp
	v_min_i32_e32 v40, 0x100, v2
	v_cmp_lt_i32_e64 s[10:11], v39, v40
	s_movk_i32 s29, 0x200
	v_add_u32_e32 v41, 0x100, v2
	s_branch .LBB96_2
.LBB96_1:                               ;   in Loop: Header=BB96_2 Depth=1
	s_or_b64 exec, exec, s[18:19]
	v_cndmask_b32_e64 v42, v42, v43, s[12:13]
	v_cndmask_b32_e64 v43, v44, v45, s[14:15]
	;; [unrolled: 1-line block ×3, first 2 shown]
	v_cmp_ge_i32_e64 s[14:15], v50, v1
	s_waitcnt lgkmcnt(0)
	v_cmp_lt_u16_sdwa s[16:17], v52, v49 src0_sel:BYTE_0 src1_sel:BYTE_0
	v_cmp_gt_i32_e64 s[12:13], s29, v48
	s_or_b64 s[14:15], s[14:15], s[16:17]
	s_and_b64 s[12:13], s[12:13], s[14:15]
	v_cndmask_b32_e64 v46, v49, v52, s[12:13]
	v_lshlrev_b16_e32 v45, 8, v43
	v_lshlrev_b16_e32 v47, 8, v46
	v_or_b32_sdwa v45, v42, v45 dst_sel:DWORD dst_unused:UNUSED_PAD src0_sel:BYTE_0 src1_sel:DWORD
	v_or_b32_sdwa v47, v44, v47 dst_sel:WORD_1 dst_unused:UNUSED_PAD src0_sel:BYTE_0 src1_sel:DWORD
	s_add_i32 s20, s20, 1
	s_cmp_eq_u32 s20, 10
	v_or_b32_sdwa v45, v45, v47 dst_sel:DWORD dst_unused:UNUSED_PAD src0_sel:WORD_0 src1_sel:DWORD
	s_cbranch_scc1 .LBB96_114
.LBB96_2:                               ; =>This Loop Header: Depth=1
                                        ;     Child Loop BB96_4 Depth 2
                                        ;     Child Loop BB96_20 Depth 2
	;; [unrolled: 1-line block ×7, first 2 shown]
	v_lshrrev_b32_e32 v43, 8, v45
	v_perm_b32 v42, v45, v45, s21
	v_cmp_lt_u16_sdwa s[12:13], v43, v45 src0_sel:BYTE_0 src1_sel:BYTE_0
	v_cndmask_b32_e64 v42, v45, v42, s[12:13]
	v_lshrrev_b32_e32 v44, 16, v42
	v_perm_b32 v46, 0, v44, s25
	v_min_u16_sdwa v47, v43, v45 dst_sel:DWORD dst_unused:UNUSED_PAD src0_sel:BYTE_0 src1_sel:BYTE_0
	v_max_u16_sdwa v43, v43, v45 dst_sel:DWORD dst_unused:UNUSED_PAD src0_sel:BYTE_0 src1_sel:BYTE_0
	v_lshlrev_b32_e32 v45, 16, v46
	v_and_or_b32 v45, v42, s26, v45
	v_cmp_lt_u16_sdwa s[12:13], v42, v44 src0_sel:BYTE_3 src1_sel:BYTE_0
	v_cndmask_b32_e64 v45, v42, v45, s[12:13]
	v_max_u16_sdwa v48, v42, v44 dst_sel:DWORD dst_unused:UNUSED_PAD src0_sel:BYTE_3 src1_sel:BYTE_0
	v_min_u16_sdwa v42, v42, v44 dst_sel:DWORD dst_unused:UNUSED_PAD src0_sel:BYTE_3 src1_sel:BYTE_0
	v_and_b32_sdwa v46, v45, s27 dst_sel:DWORD dst_unused:UNUSED_PAD src0_sel:WORD_1 src1_sel:DWORD
	v_lshlrev_b16_e32 v44, 8, v42
	v_or_b32_sdwa v46, v43, v46 dst_sel:WORD_1 dst_unused:UNUSED_PAD src0_sel:DWORD src1_sel:DWORD
	v_or_b32_sdwa v44, v45, v44 dst_sel:DWORD dst_unused:UNUSED_PAD src0_sel:BYTE_0 src1_sel:DWORD
	v_or_b32_sdwa v44, v44, v46 dst_sel:DWORD dst_unused:UNUSED_PAD src0_sel:WORD_0 src1_sel:DWORD
	v_cmp_lt_u16_e64 s[12:13], v42, v43
	v_cndmask_b32_e64 v44, v45, v44, s[12:13]
	v_min_u16_e32 v45, v42, v43
	v_lshlrev_b16_e32 v46, 8, v47
	v_or_b32_e32 v46, v45, v46
	v_and_b32_e32 v46, 0xffff, v46
	v_and_or_b32 v46, v44, s28, v46
	v_max_u16_e32 v49, v42, v43
	v_cmp_lt_u16_e64 s[12:13], v42, v47
	v_cndmask_b32_e64 v42, v44, v46, s[12:13]
	v_cndmask_b32_e64 v44, v45, v47, s[12:13]
	v_lshlrev_b16_e32 v45, 8, v49
	v_or_b32_sdwa v45, v48, v45 dst_sel:WORD_1 dst_unused:UNUSED_PAD src0_sel:DWORD src1_sel:DWORD
	v_and_or_b32 v45, v42, s26, v45
	v_cmp_gt_u16_e64 s[12:13], v43, v48
	v_cndmask_b32_e64 v42, v42, v45, s[12:13]
	v_cndmask_b32_e64 v45, v49, v48, s[12:13]
	v_and_b32_sdwa v43, v42, s27 dst_sel:DWORD dst_unused:UNUSED_PAD src0_sel:WORD_1 src1_sel:DWORD
	v_lshlrev_b16_e32 v46, 8, v45
	v_or_b32_sdwa v43, v44, v43 dst_sel:WORD_1 dst_unused:UNUSED_PAD src0_sel:DWORD src1_sel:DWORD
	v_or_b32_sdwa v46, v42, v46 dst_sel:DWORD dst_unused:UNUSED_PAD src0_sel:BYTE_0 src1_sel:DWORD
	v_or_b32_sdwa v43, v46, v43 dst_sel:DWORD dst_unused:UNUSED_PAD src0_sel:WORD_0 src1_sel:DWORD
	v_cmp_lt_u16_e64 s[12:13], v45, v44
	v_cndmask_b32_e64 v42, v42, v43, s[12:13]
	s_barrier
	ds_write_b32 v2, v42
	v_mov_b32_e32 v42, v33
	s_waitcnt lgkmcnt(0)
	s_barrier
	s_and_saveexec_b64 s[14:15], vcc
	s_cbranch_execz .LBB96_6
; %bb.3:                                ;   in Loop: Header=BB96_2 Depth=1
	s_mov_b64 s[16:17], 0
	v_mov_b32_e32 v42, v33
	v_mov_b32_e32 v43, v27
.LBB96_4:                               ;   Parent Loop BB96_2 Depth=1
                                        ; =>  This Inner Loop Header: Depth=2
	v_sub_u32_e32 v44, v43, v42
	v_lshrrev_b32_e32 v44, 1, v44
	v_add_u32_e32 v44, v44, v42
	v_add_u32_e32 v45, v3, v44
	v_xad_u32 v46, v44, -1, v21
	ds_read_u8 v45, v45
	ds_read_u8 v46, v46
	v_add_u32_e32 v47, 1, v44
	s_waitcnt lgkmcnt(0)
	v_cmp_lt_u16_e64 s[12:13], v46, v45
	v_cndmask_b32_e64 v43, v43, v44, s[12:13]
	v_cndmask_b32_e64 v42, v47, v42, s[12:13]
	v_cmp_ge_i32_e64 s[12:13], v42, v43
	s_or_b64 s[16:17], s[12:13], s[16:17]
	s_andn2_b64 exec, exec, s[16:17]
	s_cbranch_execnz .LBB96_4
; %bb.5:                                ;   in Loop: Header=BB96_2 Depth=1
	s_or_b64 exec, exec, s[16:17]
.LBB96_6:                               ;   in Loop: Header=BB96_2 Depth=1
	s_or_b64 exec, exec, s[14:15]
	v_add_u32_e32 v46, v42, v3
	v_sub_u32_e32 v47, v21, v42
	ds_read_u8 v42, v46
	ds_read_u8 v43, v47
	v_cmp_le_i32_e64 s[14:15], v9, v46
	v_cmp_gt_i32_e64 s[12:13], v10, v47
                                        ; implicit-def: $vgpr44
	s_waitcnt lgkmcnt(0)
	v_cmp_lt_u16_sdwa s[16:17], v43, v42 src0_sel:BYTE_0 src1_sel:BYTE_0
	s_or_b64 s[14:15], s[14:15], s[16:17]
	s_and_b64 s[12:13], s[12:13], s[14:15]
	s_xor_b64 s[14:15], s[12:13], -1
	s_and_saveexec_b64 s[16:17], s[14:15]
	s_xor_b64 s[14:15], exec, s[16:17]
; %bb.7:                                ;   in Loop: Header=BB96_2 Depth=1
	ds_read_u8 v44, v46 offset:1
; %bb.8:                                ;   in Loop: Header=BB96_2 Depth=1
	s_or_saveexec_b64 s[14:15], s[14:15]
	v_mov_b32_e32 v45, v43
	s_xor_b64 exec, exec, s[14:15]
	s_cbranch_execz .LBB96_10
; %bb.9:                                ;   in Loop: Header=BB96_2 Depth=1
	ds_read_u8 v45, v47 offset:1
	s_waitcnt lgkmcnt(1)
	v_mov_b32_e32 v44, v42
.LBB96_10:                              ;   in Loop: Header=BB96_2 Depth=1
	s_or_b64 exec, exec, s[14:15]
	v_add_u32_e32 v49, 1, v46
	v_add_u32_e32 v48, 1, v47
	v_cndmask_b32_e64 v49, v49, v46, s[12:13]
	v_cndmask_b32_e64 v48, v47, v48, s[12:13]
	v_cmp_ge_i32_e64 s[16:17], v49, v9
	s_waitcnt lgkmcnt(0)
	v_cmp_lt_u16_sdwa s[18:19], v45, v44 src0_sel:BYTE_0 src1_sel:BYTE_0
	v_cmp_lt_i32_e64 s[14:15], v48, v10
	s_or_b64 s[16:17], s[16:17], s[18:19]
	s_and_b64 s[14:15], s[14:15], s[16:17]
	s_xor_b64 s[16:17], s[14:15], -1
                                        ; implicit-def: $vgpr46
	s_and_saveexec_b64 s[18:19], s[16:17]
	s_xor_b64 s[16:17], exec, s[18:19]
; %bb.11:                               ;   in Loop: Header=BB96_2 Depth=1
	ds_read_u8 v46, v49 offset:1
; %bb.12:                               ;   in Loop: Header=BB96_2 Depth=1
	s_or_saveexec_b64 s[16:17], s[16:17]
	v_mov_b32_e32 v47, v45
	s_xor_b64 exec, exec, s[16:17]
	s_cbranch_execz .LBB96_14
; %bb.13:                               ;   in Loop: Header=BB96_2 Depth=1
	ds_read_u8 v47, v48 offset:1
	s_waitcnt lgkmcnt(1)
	v_mov_b32_e32 v46, v44
.LBB96_14:                              ;   in Loop: Header=BB96_2 Depth=1
	s_or_b64 exec, exec, s[16:17]
	v_add_u32_e32 v51, 1, v49
	v_add_u32_e32 v50, 1, v48
	v_cndmask_b32_e64 v49, v51, v49, s[14:15]
	v_cndmask_b32_e64 v48, v48, v50, s[14:15]
	v_cmp_ge_i32_e64 s[18:19], v49, v9
	s_waitcnt lgkmcnt(0)
	v_cmp_lt_u16_sdwa s[30:31], v47, v46 src0_sel:BYTE_0 src1_sel:BYTE_0
	v_cmp_lt_i32_e64 s[16:17], v48, v10
	s_or_b64 s[18:19], s[18:19], s[30:31]
	s_and_b64 s[16:17], s[16:17], s[18:19]
	s_xor_b64 s[18:19], s[16:17], -1
                                        ; implicit-def: $vgpr50
	s_and_saveexec_b64 s[30:31], s[18:19]
	s_xor_b64 s[18:19], exec, s[30:31]
; %bb.15:                               ;   in Loop: Header=BB96_2 Depth=1
	ds_read_u8 v50, v49 offset:1
; %bb.16:                               ;   in Loop: Header=BB96_2 Depth=1
	s_or_saveexec_b64 s[18:19], s[18:19]
	v_mov_b32_e32 v51, v47
	s_xor_b64 exec, exec, s[18:19]
	s_cbranch_execz .LBB96_18
; %bb.17:                               ;   in Loop: Header=BB96_2 Depth=1
	ds_read_u8 v51, v48 offset:1
	s_waitcnt lgkmcnt(1)
	v_mov_b32_e32 v50, v46
.LBB96_18:                              ;   in Loop: Header=BB96_2 Depth=1
	s_or_b64 exec, exec, s[18:19]
	v_cndmask_b32_e64 v46, v46, v47, s[16:17]
	v_add_u32_e32 v47, 1, v48
	v_add_u32_e32 v52, 1, v49
	v_cndmask_b32_e64 v47, v48, v47, s[16:17]
	v_cndmask_b32_e64 v48, v52, v49, s[16:17]
	;; [unrolled: 1-line block ×3, first 2 shown]
	v_cmp_ge_i32_e64 s[14:15], v48, v9
	s_waitcnt lgkmcnt(0)
	v_cmp_lt_u16_sdwa s[16:17], v51, v50 src0_sel:BYTE_0 src1_sel:BYTE_0
	v_cndmask_b32_e64 v42, v42, v43, s[12:13]
	v_cmp_lt_i32_e64 s[12:13], v47, v10
	s_or_b64 s[14:15], s[14:15], s[16:17]
	s_and_b64 s[12:13], s[12:13], s[14:15]
	v_cndmask_b32_e64 v43, v50, v51, s[12:13]
	s_barrier
	ds_write_b8 v2, v42
	ds_write_b8 v2, v44 offset:1
	ds_write_b8 v2, v46 offset:2
	;; [unrolled: 1-line block ×3, first 2 shown]
	v_mov_b32_e32 v42, v34
	s_waitcnt lgkmcnt(0)
	s_barrier
	s_and_saveexec_b64 s[14:15], s[0:1]
	s_cbranch_execz .LBB96_22
; %bb.19:                               ;   in Loop: Header=BB96_2 Depth=1
	s_mov_b64 s[16:17], 0
	v_mov_b32_e32 v42, v34
	v_mov_b32_e32 v43, v28
.LBB96_20:                              ;   Parent Loop BB96_2 Depth=1
                                        ; =>  This Inner Loop Header: Depth=2
	v_sub_u32_e32 v44, v43, v42
	v_lshrrev_b32_e32 v44, 1, v44
	v_add_u32_e32 v44, v44, v42
	v_add_u32_e32 v45, v4, v44
	v_xad_u32 v46, v44, -1, v22
	ds_read_u8 v45, v45
	ds_read_u8 v46, v46
	v_add_u32_e32 v47, 1, v44
	s_waitcnt lgkmcnt(0)
	v_cmp_lt_u16_e64 s[12:13], v46, v45
	v_cndmask_b32_e64 v43, v43, v44, s[12:13]
	v_cndmask_b32_e64 v42, v47, v42, s[12:13]
	v_cmp_ge_i32_e64 s[12:13], v42, v43
	s_or_b64 s[16:17], s[12:13], s[16:17]
	s_andn2_b64 exec, exec, s[16:17]
	s_cbranch_execnz .LBB96_20
; %bb.21:                               ;   in Loop: Header=BB96_2 Depth=1
	s_or_b64 exec, exec, s[16:17]
.LBB96_22:                              ;   in Loop: Header=BB96_2 Depth=1
	s_or_b64 exec, exec, s[14:15]
	v_add_u32_e32 v46, v42, v4
	v_sub_u32_e32 v47, v22, v42
	ds_read_u8 v42, v46
	ds_read_u8 v43, v47
	v_cmp_le_i32_e64 s[14:15], v11, v46
	v_cmp_gt_i32_e64 s[12:13], v12, v47
                                        ; implicit-def: $vgpr44
	s_waitcnt lgkmcnt(0)
	v_cmp_lt_u16_sdwa s[16:17], v43, v42 src0_sel:BYTE_0 src1_sel:BYTE_0
	s_or_b64 s[14:15], s[14:15], s[16:17]
	s_and_b64 s[12:13], s[12:13], s[14:15]
	s_xor_b64 s[14:15], s[12:13], -1
	s_and_saveexec_b64 s[16:17], s[14:15]
	s_xor_b64 s[14:15], exec, s[16:17]
; %bb.23:                               ;   in Loop: Header=BB96_2 Depth=1
	ds_read_u8 v44, v46 offset:1
; %bb.24:                               ;   in Loop: Header=BB96_2 Depth=1
	s_or_saveexec_b64 s[14:15], s[14:15]
	v_mov_b32_e32 v45, v43
	s_xor_b64 exec, exec, s[14:15]
	s_cbranch_execz .LBB96_26
; %bb.25:                               ;   in Loop: Header=BB96_2 Depth=1
	ds_read_u8 v45, v47 offset:1
	s_waitcnt lgkmcnt(1)
	v_mov_b32_e32 v44, v42
.LBB96_26:                              ;   in Loop: Header=BB96_2 Depth=1
	s_or_b64 exec, exec, s[14:15]
	v_add_u32_e32 v49, 1, v46
	v_add_u32_e32 v48, 1, v47
	v_cndmask_b32_e64 v49, v49, v46, s[12:13]
	v_cndmask_b32_e64 v48, v47, v48, s[12:13]
	v_cmp_ge_i32_e64 s[16:17], v49, v11
	s_waitcnt lgkmcnt(0)
	v_cmp_lt_u16_sdwa s[18:19], v45, v44 src0_sel:BYTE_0 src1_sel:BYTE_0
	v_cmp_lt_i32_e64 s[14:15], v48, v12
	s_or_b64 s[16:17], s[16:17], s[18:19]
	s_and_b64 s[14:15], s[14:15], s[16:17]
	s_xor_b64 s[16:17], s[14:15], -1
                                        ; implicit-def: $vgpr46
	s_and_saveexec_b64 s[18:19], s[16:17]
	s_xor_b64 s[16:17], exec, s[18:19]
; %bb.27:                               ;   in Loop: Header=BB96_2 Depth=1
	ds_read_u8 v46, v49 offset:1
; %bb.28:                               ;   in Loop: Header=BB96_2 Depth=1
	s_or_saveexec_b64 s[16:17], s[16:17]
	v_mov_b32_e32 v47, v45
	s_xor_b64 exec, exec, s[16:17]
	s_cbranch_execz .LBB96_30
; %bb.29:                               ;   in Loop: Header=BB96_2 Depth=1
	ds_read_u8 v47, v48 offset:1
	s_waitcnt lgkmcnt(1)
	v_mov_b32_e32 v46, v44
.LBB96_30:                              ;   in Loop: Header=BB96_2 Depth=1
	s_or_b64 exec, exec, s[16:17]
	v_add_u32_e32 v51, 1, v49
	v_add_u32_e32 v50, 1, v48
	v_cndmask_b32_e64 v49, v51, v49, s[14:15]
	v_cndmask_b32_e64 v48, v48, v50, s[14:15]
	v_cmp_ge_i32_e64 s[18:19], v49, v11
	s_waitcnt lgkmcnt(0)
	v_cmp_lt_u16_sdwa s[30:31], v47, v46 src0_sel:BYTE_0 src1_sel:BYTE_0
	v_cmp_lt_i32_e64 s[16:17], v48, v12
	s_or_b64 s[18:19], s[18:19], s[30:31]
	s_and_b64 s[16:17], s[16:17], s[18:19]
	s_xor_b64 s[18:19], s[16:17], -1
                                        ; implicit-def: $vgpr50
	s_and_saveexec_b64 s[30:31], s[18:19]
	s_xor_b64 s[18:19], exec, s[30:31]
; %bb.31:                               ;   in Loop: Header=BB96_2 Depth=1
	ds_read_u8 v50, v49 offset:1
; %bb.32:                               ;   in Loop: Header=BB96_2 Depth=1
	s_or_saveexec_b64 s[18:19], s[18:19]
	v_mov_b32_e32 v51, v47
	s_xor_b64 exec, exec, s[18:19]
	s_cbranch_execz .LBB96_34
; %bb.33:                               ;   in Loop: Header=BB96_2 Depth=1
	ds_read_u8 v51, v48 offset:1
	s_waitcnt lgkmcnt(1)
	v_mov_b32_e32 v50, v46
.LBB96_34:                              ;   in Loop: Header=BB96_2 Depth=1
	s_or_b64 exec, exec, s[18:19]
	v_cndmask_b32_e64 v46, v46, v47, s[16:17]
	v_add_u32_e32 v47, 1, v48
	v_add_u32_e32 v52, 1, v49
	v_cndmask_b32_e64 v47, v48, v47, s[16:17]
	v_cndmask_b32_e64 v48, v52, v49, s[16:17]
	;; [unrolled: 1-line block ×3, first 2 shown]
	v_cmp_ge_i32_e64 s[14:15], v48, v11
	s_waitcnt lgkmcnt(0)
	v_cmp_lt_u16_sdwa s[16:17], v51, v50 src0_sel:BYTE_0 src1_sel:BYTE_0
	v_cndmask_b32_e64 v42, v42, v43, s[12:13]
	v_cmp_lt_i32_e64 s[12:13], v47, v12
	s_or_b64 s[14:15], s[14:15], s[16:17]
	s_and_b64 s[12:13], s[12:13], s[14:15]
	v_cndmask_b32_e64 v43, v50, v51, s[12:13]
	s_barrier
	ds_write_b8 v2, v42
	ds_write_b8 v2, v44 offset:1
	ds_write_b8 v2, v46 offset:2
	;; [unrolled: 1-line block ×3, first 2 shown]
	v_mov_b32_e32 v42, v35
	s_waitcnt lgkmcnt(0)
	s_barrier
	s_and_saveexec_b64 s[14:15], s[2:3]
	s_cbranch_execz .LBB96_38
; %bb.35:                               ;   in Loop: Header=BB96_2 Depth=1
	s_mov_b64 s[16:17], 0
	v_mov_b32_e32 v42, v35
	v_mov_b32_e32 v43, v29
.LBB96_36:                              ;   Parent Loop BB96_2 Depth=1
                                        ; =>  This Inner Loop Header: Depth=2
	v_sub_u32_e32 v44, v43, v42
	v_lshrrev_b32_e32 v44, 1, v44
	v_add_u32_e32 v44, v44, v42
	v_add_u32_e32 v45, v5, v44
	v_xad_u32 v46, v44, -1, v23
	ds_read_u8 v45, v45
	ds_read_u8 v46, v46
	v_add_u32_e32 v47, 1, v44
	s_waitcnt lgkmcnt(0)
	v_cmp_lt_u16_e64 s[12:13], v46, v45
	v_cndmask_b32_e64 v43, v43, v44, s[12:13]
	v_cndmask_b32_e64 v42, v47, v42, s[12:13]
	v_cmp_ge_i32_e64 s[12:13], v42, v43
	s_or_b64 s[16:17], s[12:13], s[16:17]
	s_andn2_b64 exec, exec, s[16:17]
	s_cbranch_execnz .LBB96_36
; %bb.37:                               ;   in Loop: Header=BB96_2 Depth=1
	s_or_b64 exec, exec, s[16:17]
.LBB96_38:                              ;   in Loop: Header=BB96_2 Depth=1
	s_or_b64 exec, exec, s[14:15]
	v_add_u32_e32 v46, v42, v5
	v_sub_u32_e32 v47, v23, v42
	ds_read_u8 v42, v46
	ds_read_u8 v43, v47
	v_cmp_le_i32_e64 s[14:15], v13, v46
	v_cmp_gt_i32_e64 s[12:13], v14, v47
                                        ; implicit-def: $vgpr44
	s_waitcnt lgkmcnt(0)
	v_cmp_lt_u16_sdwa s[16:17], v43, v42 src0_sel:BYTE_0 src1_sel:BYTE_0
	s_or_b64 s[14:15], s[14:15], s[16:17]
	s_and_b64 s[12:13], s[12:13], s[14:15]
	s_xor_b64 s[14:15], s[12:13], -1
	s_and_saveexec_b64 s[16:17], s[14:15]
	s_xor_b64 s[14:15], exec, s[16:17]
; %bb.39:                               ;   in Loop: Header=BB96_2 Depth=1
	ds_read_u8 v44, v46 offset:1
; %bb.40:                               ;   in Loop: Header=BB96_2 Depth=1
	s_or_saveexec_b64 s[14:15], s[14:15]
	v_mov_b32_e32 v45, v43
	s_xor_b64 exec, exec, s[14:15]
	s_cbranch_execz .LBB96_42
; %bb.41:                               ;   in Loop: Header=BB96_2 Depth=1
	ds_read_u8 v45, v47 offset:1
	s_waitcnt lgkmcnt(1)
	v_mov_b32_e32 v44, v42
.LBB96_42:                              ;   in Loop: Header=BB96_2 Depth=1
	s_or_b64 exec, exec, s[14:15]
	v_add_u32_e32 v49, 1, v46
	v_add_u32_e32 v48, 1, v47
	v_cndmask_b32_e64 v49, v49, v46, s[12:13]
	v_cndmask_b32_e64 v48, v47, v48, s[12:13]
	v_cmp_ge_i32_e64 s[16:17], v49, v13
	s_waitcnt lgkmcnt(0)
	v_cmp_lt_u16_sdwa s[18:19], v45, v44 src0_sel:BYTE_0 src1_sel:BYTE_0
	v_cmp_lt_i32_e64 s[14:15], v48, v14
	s_or_b64 s[16:17], s[16:17], s[18:19]
	s_and_b64 s[14:15], s[14:15], s[16:17]
	s_xor_b64 s[16:17], s[14:15], -1
                                        ; implicit-def: $vgpr46
	s_and_saveexec_b64 s[18:19], s[16:17]
	s_xor_b64 s[16:17], exec, s[18:19]
; %bb.43:                               ;   in Loop: Header=BB96_2 Depth=1
	ds_read_u8 v46, v49 offset:1
; %bb.44:                               ;   in Loop: Header=BB96_2 Depth=1
	s_or_saveexec_b64 s[16:17], s[16:17]
	v_mov_b32_e32 v47, v45
	s_xor_b64 exec, exec, s[16:17]
	s_cbranch_execz .LBB96_46
; %bb.45:                               ;   in Loop: Header=BB96_2 Depth=1
	ds_read_u8 v47, v48 offset:1
	s_waitcnt lgkmcnt(1)
	v_mov_b32_e32 v46, v44
.LBB96_46:                              ;   in Loop: Header=BB96_2 Depth=1
	s_or_b64 exec, exec, s[16:17]
	v_add_u32_e32 v51, 1, v49
	v_add_u32_e32 v50, 1, v48
	v_cndmask_b32_e64 v49, v51, v49, s[14:15]
	v_cndmask_b32_e64 v48, v48, v50, s[14:15]
	v_cmp_ge_i32_e64 s[18:19], v49, v13
	s_waitcnt lgkmcnt(0)
	v_cmp_lt_u16_sdwa s[30:31], v47, v46 src0_sel:BYTE_0 src1_sel:BYTE_0
	v_cmp_lt_i32_e64 s[16:17], v48, v14
	s_or_b64 s[18:19], s[18:19], s[30:31]
	s_and_b64 s[16:17], s[16:17], s[18:19]
	s_xor_b64 s[18:19], s[16:17], -1
                                        ; implicit-def: $vgpr50
	s_and_saveexec_b64 s[30:31], s[18:19]
	s_xor_b64 s[18:19], exec, s[30:31]
; %bb.47:                               ;   in Loop: Header=BB96_2 Depth=1
	ds_read_u8 v50, v49 offset:1
; %bb.48:                               ;   in Loop: Header=BB96_2 Depth=1
	s_or_saveexec_b64 s[18:19], s[18:19]
	v_mov_b32_e32 v51, v47
	s_xor_b64 exec, exec, s[18:19]
	s_cbranch_execz .LBB96_50
; %bb.49:                               ;   in Loop: Header=BB96_2 Depth=1
	ds_read_u8 v51, v48 offset:1
	s_waitcnt lgkmcnt(1)
	v_mov_b32_e32 v50, v46
.LBB96_50:                              ;   in Loop: Header=BB96_2 Depth=1
	s_or_b64 exec, exec, s[18:19]
	v_cndmask_b32_e64 v46, v46, v47, s[16:17]
	v_add_u32_e32 v47, 1, v48
	v_add_u32_e32 v52, 1, v49
	v_cndmask_b32_e64 v47, v48, v47, s[16:17]
	v_cndmask_b32_e64 v48, v52, v49, s[16:17]
	;; [unrolled: 1-line block ×3, first 2 shown]
	v_cmp_ge_i32_e64 s[14:15], v48, v13
	s_waitcnt lgkmcnt(0)
	v_cmp_lt_u16_sdwa s[16:17], v51, v50 src0_sel:BYTE_0 src1_sel:BYTE_0
	v_cndmask_b32_e64 v42, v42, v43, s[12:13]
	v_cmp_lt_i32_e64 s[12:13], v47, v14
	s_or_b64 s[14:15], s[14:15], s[16:17]
	s_and_b64 s[12:13], s[12:13], s[14:15]
	v_cndmask_b32_e64 v43, v50, v51, s[12:13]
	s_barrier
	ds_write_b8 v2, v42
	ds_write_b8 v2, v44 offset:1
	ds_write_b8 v2, v46 offset:2
	;; [unrolled: 1-line block ×3, first 2 shown]
	v_mov_b32_e32 v42, v36
	s_waitcnt lgkmcnt(0)
	s_barrier
	s_and_saveexec_b64 s[14:15], s[4:5]
	s_cbranch_execz .LBB96_54
; %bb.51:                               ;   in Loop: Header=BB96_2 Depth=1
	s_mov_b64 s[16:17], 0
	v_mov_b32_e32 v42, v36
	v_mov_b32_e32 v43, v30
.LBB96_52:                              ;   Parent Loop BB96_2 Depth=1
                                        ; =>  This Inner Loop Header: Depth=2
	v_sub_u32_e32 v44, v43, v42
	v_lshrrev_b32_e32 v44, 1, v44
	v_add_u32_e32 v44, v44, v42
	v_add_u32_e32 v45, v6, v44
	v_xad_u32 v46, v44, -1, v24
	ds_read_u8 v45, v45
	ds_read_u8 v46, v46
	v_add_u32_e32 v47, 1, v44
	s_waitcnt lgkmcnt(0)
	v_cmp_lt_u16_e64 s[12:13], v46, v45
	v_cndmask_b32_e64 v43, v43, v44, s[12:13]
	v_cndmask_b32_e64 v42, v47, v42, s[12:13]
	v_cmp_ge_i32_e64 s[12:13], v42, v43
	s_or_b64 s[16:17], s[12:13], s[16:17]
	s_andn2_b64 exec, exec, s[16:17]
	s_cbranch_execnz .LBB96_52
; %bb.53:                               ;   in Loop: Header=BB96_2 Depth=1
	s_or_b64 exec, exec, s[16:17]
.LBB96_54:                              ;   in Loop: Header=BB96_2 Depth=1
	s_or_b64 exec, exec, s[14:15]
	v_add_u32_e32 v46, v42, v6
	v_sub_u32_e32 v47, v24, v42
	ds_read_u8 v42, v46
	ds_read_u8 v43, v47
	v_cmp_le_i32_e64 s[14:15], v15, v46
	v_cmp_gt_i32_e64 s[12:13], v16, v47
                                        ; implicit-def: $vgpr44
	s_waitcnt lgkmcnt(0)
	v_cmp_lt_u16_sdwa s[16:17], v43, v42 src0_sel:BYTE_0 src1_sel:BYTE_0
	s_or_b64 s[14:15], s[14:15], s[16:17]
	s_and_b64 s[12:13], s[12:13], s[14:15]
	s_xor_b64 s[14:15], s[12:13], -1
	s_and_saveexec_b64 s[16:17], s[14:15]
	s_xor_b64 s[14:15], exec, s[16:17]
; %bb.55:                               ;   in Loop: Header=BB96_2 Depth=1
	ds_read_u8 v44, v46 offset:1
; %bb.56:                               ;   in Loop: Header=BB96_2 Depth=1
	s_or_saveexec_b64 s[14:15], s[14:15]
	v_mov_b32_e32 v45, v43
	s_xor_b64 exec, exec, s[14:15]
	s_cbranch_execz .LBB96_58
; %bb.57:                               ;   in Loop: Header=BB96_2 Depth=1
	ds_read_u8 v45, v47 offset:1
	s_waitcnt lgkmcnt(1)
	v_mov_b32_e32 v44, v42
.LBB96_58:                              ;   in Loop: Header=BB96_2 Depth=1
	s_or_b64 exec, exec, s[14:15]
	v_add_u32_e32 v49, 1, v46
	v_add_u32_e32 v48, 1, v47
	v_cndmask_b32_e64 v49, v49, v46, s[12:13]
	v_cndmask_b32_e64 v48, v47, v48, s[12:13]
	v_cmp_ge_i32_e64 s[16:17], v49, v15
	s_waitcnt lgkmcnt(0)
	v_cmp_lt_u16_sdwa s[18:19], v45, v44 src0_sel:BYTE_0 src1_sel:BYTE_0
	v_cmp_lt_i32_e64 s[14:15], v48, v16
	s_or_b64 s[16:17], s[16:17], s[18:19]
	s_and_b64 s[14:15], s[14:15], s[16:17]
	s_xor_b64 s[16:17], s[14:15], -1
                                        ; implicit-def: $vgpr46
	s_and_saveexec_b64 s[18:19], s[16:17]
	s_xor_b64 s[16:17], exec, s[18:19]
; %bb.59:                               ;   in Loop: Header=BB96_2 Depth=1
	ds_read_u8 v46, v49 offset:1
; %bb.60:                               ;   in Loop: Header=BB96_2 Depth=1
	s_or_saveexec_b64 s[16:17], s[16:17]
	v_mov_b32_e32 v47, v45
	s_xor_b64 exec, exec, s[16:17]
	s_cbranch_execz .LBB96_62
; %bb.61:                               ;   in Loop: Header=BB96_2 Depth=1
	ds_read_u8 v47, v48 offset:1
	s_waitcnt lgkmcnt(1)
	v_mov_b32_e32 v46, v44
.LBB96_62:                              ;   in Loop: Header=BB96_2 Depth=1
	s_or_b64 exec, exec, s[16:17]
	v_add_u32_e32 v51, 1, v49
	v_add_u32_e32 v50, 1, v48
	v_cndmask_b32_e64 v49, v51, v49, s[14:15]
	v_cndmask_b32_e64 v48, v48, v50, s[14:15]
	v_cmp_ge_i32_e64 s[18:19], v49, v15
	s_waitcnt lgkmcnt(0)
	v_cmp_lt_u16_sdwa s[30:31], v47, v46 src0_sel:BYTE_0 src1_sel:BYTE_0
	v_cmp_lt_i32_e64 s[16:17], v48, v16
	s_or_b64 s[18:19], s[18:19], s[30:31]
	s_and_b64 s[16:17], s[16:17], s[18:19]
	s_xor_b64 s[18:19], s[16:17], -1
                                        ; implicit-def: $vgpr50
	s_and_saveexec_b64 s[30:31], s[18:19]
	s_xor_b64 s[18:19], exec, s[30:31]
; %bb.63:                               ;   in Loop: Header=BB96_2 Depth=1
	ds_read_u8 v50, v49 offset:1
; %bb.64:                               ;   in Loop: Header=BB96_2 Depth=1
	s_or_saveexec_b64 s[18:19], s[18:19]
	v_mov_b32_e32 v51, v47
	s_xor_b64 exec, exec, s[18:19]
	s_cbranch_execz .LBB96_66
; %bb.65:                               ;   in Loop: Header=BB96_2 Depth=1
	ds_read_u8 v51, v48 offset:1
	s_waitcnt lgkmcnt(1)
	v_mov_b32_e32 v50, v46
.LBB96_66:                              ;   in Loop: Header=BB96_2 Depth=1
	s_or_b64 exec, exec, s[18:19]
	v_cndmask_b32_e64 v46, v46, v47, s[16:17]
	v_add_u32_e32 v47, 1, v48
	v_add_u32_e32 v52, 1, v49
	v_cndmask_b32_e64 v47, v48, v47, s[16:17]
	v_cndmask_b32_e64 v48, v52, v49, s[16:17]
	;; [unrolled: 1-line block ×3, first 2 shown]
	v_cmp_ge_i32_e64 s[14:15], v48, v15
	s_waitcnt lgkmcnt(0)
	v_cmp_lt_u16_sdwa s[16:17], v51, v50 src0_sel:BYTE_0 src1_sel:BYTE_0
	v_cndmask_b32_e64 v42, v42, v43, s[12:13]
	v_cmp_lt_i32_e64 s[12:13], v47, v16
	s_or_b64 s[14:15], s[14:15], s[16:17]
	s_and_b64 s[12:13], s[12:13], s[14:15]
	v_cndmask_b32_e64 v43, v50, v51, s[12:13]
	s_barrier
	ds_write_b8 v2, v42
	ds_write_b8 v2, v44 offset:1
	ds_write_b8 v2, v46 offset:2
	;; [unrolled: 1-line block ×3, first 2 shown]
	v_mov_b32_e32 v42, v37
	s_waitcnt lgkmcnt(0)
	s_barrier
	s_and_saveexec_b64 s[14:15], s[6:7]
	s_cbranch_execz .LBB96_70
; %bb.67:                               ;   in Loop: Header=BB96_2 Depth=1
	s_mov_b64 s[16:17], 0
	v_mov_b32_e32 v42, v37
	v_mov_b32_e32 v43, v31
.LBB96_68:                              ;   Parent Loop BB96_2 Depth=1
                                        ; =>  This Inner Loop Header: Depth=2
	v_sub_u32_e32 v44, v43, v42
	v_lshrrev_b32_e32 v44, 1, v44
	v_add_u32_e32 v44, v44, v42
	v_add_u32_e32 v45, v7, v44
	v_xad_u32 v46, v44, -1, v25
	ds_read_u8 v45, v45
	ds_read_u8 v46, v46
	v_add_u32_e32 v47, 1, v44
	s_waitcnt lgkmcnt(0)
	v_cmp_lt_u16_e64 s[12:13], v46, v45
	v_cndmask_b32_e64 v43, v43, v44, s[12:13]
	v_cndmask_b32_e64 v42, v47, v42, s[12:13]
	v_cmp_ge_i32_e64 s[12:13], v42, v43
	s_or_b64 s[16:17], s[12:13], s[16:17]
	s_andn2_b64 exec, exec, s[16:17]
	s_cbranch_execnz .LBB96_68
; %bb.69:                               ;   in Loop: Header=BB96_2 Depth=1
	s_or_b64 exec, exec, s[16:17]
.LBB96_70:                              ;   in Loop: Header=BB96_2 Depth=1
	s_or_b64 exec, exec, s[14:15]
	v_add_u32_e32 v46, v42, v7
	v_sub_u32_e32 v47, v25, v42
	ds_read_u8 v42, v46
	ds_read_u8 v43, v47
	v_cmp_le_i32_e64 s[14:15], v17, v46
	v_cmp_gt_i32_e64 s[12:13], v18, v47
                                        ; implicit-def: $vgpr44
	s_waitcnt lgkmcnt(0)
	v_cmp_lt_u16_sdwa s[16:17], v43, v42 src0_sel:BYTE_0 src1_sel:BYTE_0
	s_or_b64 s[14:15], s[14:15], s[16:17]
	s_and_b64 s[12:13], s[12:13], s[14:15]
	s_xor_b64 s[14:15], s[12:13], -1
	s_and_saveexec_b64 s[16:17], s[14:15]
	s_xor_b64 s[14:15], exec, s[16:17]
; %bb.71:                               ;   in Loop: Header=BB96_2 Depth=1
	ds_read_u8 v44, v46 offset:1
; %bb.72:                               ;   in Loop: Header=BB96_2 Depth=1
	s_or_saveexec_b64 s[14:15], s[14:15]
	v_mov_b32_e32 v45, v43
	s_xor_b64 exec, exec, s[14:15]
	s_cbranch_execz .LBB96_74
; %bb.73:                               ;   in Loop: Header=BB96_2 Depth=1
	ds_read_u8 v45, v47 offset:1
	s_waitcnt lgkmcnt(1)
	v_mov_b32_e32 v44, v42
.LBB96_74:                              ;   in Loop: Header=BB96_2 Depth=1
	s_or_b64 exec, exec, s[14:15]
	v_add_u32_e32 v49, 1, v46
	v_add_u32_e32 v48, 1, v47
	v_cndmask_b32_e64 v49, v49, v46, s[12:13]
	v_cndmask_b32_e64 v48, v47, v48, s[12:13]
	v_cmp_ge_i32_e64 s[16:17], v49, v17
	s_waitcnt lgkmcnt(0)
	v_cmp_lt_u16_sdwa s[18:19], v45, v44 src0_sel:BYTE_0 src1_sel:BYTE_0
	v_cmp_lt_i32_e64 s[14:15], v48, v18
	s_or_b64 s[16:17], s[16:17], s[18:19]
	s_and_b64 s[14:15], s[14:15], s[16:17]
	s_xor_b64 s[16:17], s[14:15], -1
                                        ; implicit-def: $vgpr46
	s_and_saveexec_b64 s[18:19], s[16:17]
	s_xor_b64 s[16:17], exec, s[18:19]
; %bb.75:                               ;   in Loop: Header=BB96_2 Depth=1
	ds_read_u8 v46, v49 offset:1
; %bb.76:                               ;   in Loop: Header=BB96_2 Depth=1
	s_or_saveexec_b64 s[16:17], s[16:17]
	v_mov_b32_e32 v47, v45
	s_xor_b64 exec, exec, s[16:17]
	s_cbranch_execz .LBB96_78
; %bb.77:                               ;   in Loop: Header=BB96_2 Depth=1
	ds_read_u8 v47, v48 offset:1
	s_waitcnt lgkmcnt(1)
	v_mov_b32_e32 v46, v44
.LBB96_78:                              ;   in Loop: Header=BB96_2 Depth=1
	s_or_b64 exec, exec, s[16:17]
	v_add_u32_e32 v51, 1, v49
	v_add_u32_e32 v50, 1, v48
	v_cndmask_b32_e64 v49, v51, v49, s[14:15]
	v_cndmask_b32_e64 v48, v48, v50, s[14:15]
	v_cmp_ge_i32_e64 s[18:19], v49, v17
	s_waitcnt lgkmcnt(0)
	v_cmp_lt_u16_sdwa s[30:31], v47, v46 src0_sel:BYTE_0 src1_sel:BYTE_0
	v_cmp_lt_i32_e64 s[16:17], v48, v18
	s_or_b64 s[18:19], s[18:19], s[30:31]
	s_and_b64 s[16:17], s[16:17], s[18:19]
	s_xor_b64 s[18:19], s[16:17], -1
                                        ; implicit-def: $vgpr50
	s_and_saveexec_b64 s[30:31], s[18:19]
	s_xor_b64 s[18:19], exec, s[30:31]
; %bb.79:                               ;   in Loop: Header=BB96_2 Depth=1
	ds_read_u8 v50, v49 offset:1
; %bb.80:                               ;   in Loop: Header=BB96_2 Depth=1
	s_or_saveexec_b64 s[18:19], s[18:19]
	v_mov_b32_e32 v51, v47
	s_xor_b64 exec, exec, s[18:19]
	s_cbranch_execz .LBB96_82
; %bb.81:                               ;   in Loop: Header=BB96_2 Depth=1
	ds_read_u8 v51, v48 offset:1
	s_waitcnt lgkmcnt(1)
	v_mov_b32_e32 v50, v46
.LBB96_82:                              ;   in Loop: Header=BB96_2 Depth=1
	s_or_b64 exec, exec, s[18:19]
	v_cndmask_b32_e64 v46, v46, v47, s[16:17]
	v_add_u32_e32 v47, 1, v48
	v_add_u32_e32 v52, 1, v49
	v_cndmask_b32_e64 v47, v48, v47, s[16:17]
	v_cndmask_b32_e64 v48, v52, v49, s[16:17]
	;; [unrolled: 1-line block ×3, first 2 shown]
	v_cmp_ge_i32_e64 s[14:15], v48, v17
	s_waitcnt lgkmcnt(0)
	v_cmp_lt_u16_sdwa s[16:17], v51, v50 src0_sel:BYTE_0 src1_sel:BYTE_0
	v_cndmask_b32_e64 v42, v42, v43, s[12:13]
	v_cmp_lt_i32_e64 s[12:13], v47, v18
	s_or_b64 s[14:15], s[14:15], s[16:17]
	s_and_b64 s[12:13], s[12:13], s[14:15]
	v_cndmask_b32_e64 v43, v50, v51, s[12:13]
	s_barrier
	ds_write_b8 v2, v42
	ds_write_b8 v2, v44 offset:1
	ds_write_b8 v2, v46 offset:2
	ds_write_b8 v2, v43 offset:3
	v_mov_b32_e32 v42, v38
	s_waitcnt lgkmcnt(0)
	s_barrier
	s_and_saveexec_b64 s[14:15], s[8:9]
	s_cbranch_execz .LBB96_86
; %bb.83:                               ;   in Loop: Header=BB96_2 Depth=1
	s_mov_b64 s[16:17], 0
	v_mov_b32_e32 v42, v38
	v_mov_b32_e32 v43, v32
.LBB96_84:                              ;   Parent Loop BB96_2 Depth=1
                                        ; =>  This Inner Loop Header: Depth=2
	v_sub_u32_e32 v44, v43, v42
	v_lshrrev_b32_e32 v44, 1, v44
	v_add_u32_e32 v44, v44, v42
	v_add_u32_e32 v45, v8, v44
	v_xad_u32 v46, v44, -1, v26
	ds_read_u8 v45, v45
	ds_read_u8 v46, v46
	v_add_u32_e32 v47, 1, v44
	s_waitcnt lgkmcnt(0)
	v_cmp_lt_u16_e64 s[12:13], v46, v45
	v_cndmask_b32_e64 v43, v43, v44, s[12:13]
	v_cndmask_b32_e64 v42, v47, v42, s[12:13]
	v_cmp_ge_i32_e64 s[12:13], v42, v43
	s_or_b64 s[16:17], s[12:13], s[16:17]
	s_andn2_b64 exec, exec, s[16:17]
	s_cbranch_execnz .LBB96_84
; %bb.85:                               ;   in Loop: Header=BB96_2 Depth=1
	s_or_b64 exec, exec, s[16:17]
.LBB96_86:                              ;   in Loop: Header=BB96_2 Depth=1
	s_or_b64 exec, exec, s[14:15]
	v_add_u32_e32 v46, v42, v8
	v_sub_u32_e32 v47, v26, v42
	ds_read_u8 v42, v46
	ds_read_u8 v43, v47
	v_cmp_le_i32_e64 s[14:15], v19, v46
	v_cmp_gt_i32_e64 s[12:13], v20, v47
                                        ; implicit-def: $vgpr44
	s_waitcnt lgkmcnt(0)
	v_cmp_lt_u16_sdwa s[16:17], v43, v42 src0_sel:BYTE_0 src1_sel:BYTE_0
	s_or_b64 s[14:15], s[14:15], s[16:17]
	s_and_b64 s[12:13], s[12:13], s[14:15]
	s_xor_b64 s[14:15], s[12:13], -1
	s_and_saveexec_b64 s[16:17], s[14:15]
	s_xor_b64 s[14:15], exec, s[16:17]
; %bb.87:                               ;   in Loop: Header=BB96_2 Depth=1
	ds_read_u8 v44, v46 offset:1
; %bb.88:                               ;   in Loop: Header=BB96_2 Depth=1
	s_or_saveexec_b64 s[14:15], s[14:15]
	v_mov_b32_e32 v45, v43
	s_xor_b64 exec, exec, s[14:15]
	s_cbranch_execz .LBB96_90
; %bb.89:                               ;   in Loop: Header=BB96_2 Depth=1
	ds_read_u8 v45, v47 offset:1
	s_waitcnt lgkmcnt(1)
	v_mov_b32_e32 v44, v42
.LBB96_90:                              ;   in Loop: Header=BB96_2 Depth=1
	s_or_b64 exec, exec, s[14:15]
	v_add_u32_e32 v49, 1, v46
	v_add_u32_e32 v48, 1, v47
	v_cndmask_b32_e64 v49, v49, v46, s[12:13]
	v_cndmask_b32_e64 v48, v47, v48, s[12:13]
	v_cmp_ge_i32_e64 s[16:17], v49, v19
	s_waitcnt lgkmcnt(0)
	v_cmp_lt_u16_sdwa s[18:19], v45, v44 src0_sel:BYTE_0 src1_sel:BYTE_0
	v_cmp_lt_i32_e64 s[14:15], v48, v20
	s_or_b64 s[16:17], s[16:17], s[18:19]
	s_and_b64 s[14:15], s[14:15], s[16:17]
	s_xor_b64 s[16:17], s[14:15], -1
                                        ; implicit-def: $vgpr46
	s_and_saveexec_b64 s[18:19], s[16:17]
	s_xor_b64 s[16:17], exec, s[18:19]
; %bb.91:                               ;   in Loop: Header=BB96_2 Depth=1
	ds_read_u8 v46, v49 offset:1
; %bb.92:                               ;   in Loop: Header=BB96_2 Depth=1
	s_or_saveexec_b64 s[16:17], s[16:17]
	v_mov_b32_e32 v47, v45
	s_xor_b64 exec, exec, s[16:17]
	s_cbranch_execz .LBB96_94
; %bb.93:                               ;   in Loop: Header=BB96_2 Depth=1
	ds_read_u8 v47, v48 offset:1
	s_waitcnt lgkmcnt(1)
	v_mov_b32_e32 v46, v44
.LBB96_94:                              ;   in Loop: Header=BB96_2 Depth=1
	s_or_b64 exec, exec, s[16:17]
	v_add_u32_e32 v51, 1, v49
	v_add_u32_e32 v50, 1, v48
	v_cndmask_b32_e64 v49, v51, v49, s[14:15]
	v_cndmask_b32_e64 v48, v48, v50, s[14:15]
	v_cmp_ge_i32_e64 s[18:19], v49, v19
	s_waitcnt lgkmcnt(0)
	v_cmp_lt_u16_sdwa s[30:31], v47, v46 src0_sel:BYTE_0 src1_sel:BYTE_0
	v_cmp_lt_i32_e64 s[16:17], v48, v20
	s_or_b64 s[18:19], s[18:19], s[30:31]
	s_and_b64 s[16:17], s[16:17], s[18:19]
	s_xor_b64 s[18:19], s[16:17], -1
                                        ; implicit-def: $vgpr50
	s_and_saveexec_b64 s[30:31], s[18:19]
	s_xor_b64 s[18:19], exec, s[30:31]
; %bb.95:                               ;   in Loop: Header=BB96_2 Depth=1
	ds_read_u8 v50, v49 offset:1
; %bb.96:                               ;   in Loop: Header=BB96_2 Depth=1
	s_or_saveexec_b64 s[18:19], s[18:19]
	v_mov_b32_e32 v51, v47
	s_xor_b64 exec, exec, s[18:19]
	s_cbranch_execz .LBB96_98
; %bb.97:                               ;   in Loop: Header=BB96_2 Depth=1
	ds_read_u8 v51, v48 offset:1
	s_waitcnt lgkmcnt(1)
	v_mov_b32_e32 v50, v46
.LBB96_98:                              ;   in Loop: Header=BB96_2 Depth=1
	s_or_b64 exec, exec, s[18:19]
	v_cndmask_b32_e64 v46, v46, v47, s[16:17]
	v_add_u32_e32 v47, 1, v48
	v_add_u32_e32 v52, 1, v49
	v_cndmask_b32_e64 v47, v48, v47, s[16:17]
	v_cndmask_b32_e64 v48, v52, v49, s[16:17]
	;; [unrolled: 1-line block ×3, first 2 shown]
	v_cmp_ge_i32_e64 s[14:15], v48, v19
	s_waitcnt lgkmcnt(0)
	v_cmp_lt_u16_sdwa s[16:17], v51, v50 src0_sel:BYTE_0 src1_sel:BYTE_0
	v_cndmask_b32_e64 v42, v42, v43, s[12:13]
	v_cmp_lt_i32_e64 s[12:13], v47, v20
	s_or_b64 s[14:15], s[14:15], s[16:17]
	s_and_b64 s[12:13], s[12:13], s[14:15]
	v_cndmask_b32_e64 v43, v50, v51, s[12:13]
	s_barrier
	ds_write_b8 v2, v42
	ds_write_b8 v2, v44 offset:1
	ds_write_b8 v2, v46 offset:2
	;; [unrolled: 1-line block ×3, first 2 shown]
	v_mov_b32_e32 v46, v39
	s_waitcnt lgkmcnt(0)
	s_barrier
	s_and_saveexec_b64 s[14:15], s[10:11]
	s_cbranch_execz .LBB96_102
; %bb.99:                               ;   in Loop: Header=BB96_2 Depth=1
	s_mov_b64 s[16:17], 0
	v_mov_b32_e32 v46, v39
	v_mov_b32_e32 v42, v40
.LBB96_100:                             ;   Parent Loop BB96_2 Depth=1
                                        ; =>  This Inner Loop Header: Depth=2
	v_sub_u32_e32 v43, v42, v46
	v_lshrrev_b32_e32 v43, 1, v43
	v_add_u32_e32 v43, v43, v46
	v_xad_u32 v44, v43, -1, v41
	ds_read_u8 v45, v43
	ds_read_u8 v44, v44
	v_add_u32_e32 v47, 1, v43
	s_waitcnt lgkmcnt(0)
	v_cmp_lt_u16_e64 s[12:13], v44, v45
	v_cndmask_b32_e64 v42, v42, v43, s[12:13]
	v_cndmask_b32_e64 v46, v47, v46, s[12:13]
	v_cmp_ge_i32_e64 s[12:13], v46, v42
	s_or_b64 s[16:17], s[12:13], s[16:17]
	s_andn2_b64 exec, exec, s[16:17]
	s_cbranch_execnz .LBB96_100
; %bb.101:                              ;   in Loop: Header=BB96_2 Depth=1
	s_or_b64 exec, exec, s[16:17]
.LBB96_102:                             ;   in Loop: Header=BB96_2 Depth=1
	s_or_b64 exec, exec, s[14:15]
	v_sub_u32_e32 v47, v41, v46
	ds_read_u8 v42, v46
	ds_read_u8 v43, v47
	v_cmp_le_i32_e64 s[14:15], v1, v46
	v_cmp_gt_i32_e64 s[12:13], s29, v47
                                        ; implicit-def: $vgpr44
	s_waitcnt lgkmcnt(0)
	v_cmp_lt_u16_sdwa s[16:17], v43, v42 src0_sel:BYTE_0 src1_sel:BYTE_0
	s_or_b64 s[14:15], s[14:15], s[16:17]
	s_and_b64 s[12:13], s[12:13], s[14:15]
	s_xor_b64 s[14:15], s[12:13], -1
	s_and_saveexec_b64 s[16:17], s[14:15]
	s_xor_b64 s[14:15], exec, s[16:17]
; %bb.103:                              ;   in Loop: Header=BB96_2 Depth=1
	ds_read_u8 v44, v46 offset:1
; %bb.104:                              ;   in Loop: Header=BB96_2 Depth=1
	s_or_saveexec_b64 s[14:15], s[14:15]
	v_mov_b32_e32 v45, v43
	s_xor_b64 exec, exec, s[14:15]
	s_cbranch_execz .LBB96_106
; %bb.105:                              ;   in Loop: Header=BB96_2 Depth=1
	ds_read_u8 v45, v47 offset:1
	s_waitcnt lgkmcnt(1)
	v_mov_b32_e32 v44, v42
.LBB96_106:                             ;   in Loop: Header=BB96_2 Depth=1
	s_or_b64 exec, exec, s[14:15]
	v_add_u32_e32 v49, 1, v46
	v_add_u32_e32 v48, 1, v47
	v_cndmask_b32_e64 v49, v49, v46, s[12:13]
	v_cndmask_b32_e64 v48, v47, v48, s[12:13]
	v_cmp_ge_i32_e64 s[16:17], v49, v1
	s_waitcnt lgkmcnt(0)
	v_cmp_lt_u16_sdwa s[18:19], v45, v44 src0_sel:BYTE_0 src1_sel:BYTE_0
	v_cmp_gt_i32_e64 s[14:15], s29, v48
	s_or_b64 s[16:17], s[16:17], s[18:19]
	s_and_b64 s[14:15], s[14:15], s[16:17]
	s_xor_b64 s[16:17], s[14:15], -1
                                        ; implicit-def: $vgpr46
	s_and_saveexec_b64 s[18:19], s[16:17]
	s_xor_b64 s[16:17], exec, s[18:19]
; %bb.107:                              ;   in Loop: Header=BB96_2 Depth=1
	ds_read_u8 v46, v49 offset:1
; %bb.108:                              ;   in Loop: Header=BB96_2 Depth=1
	s_or_saveexec_b64 s[16:17], s[16:17]
	v_mov_b32_e32 v47, v45
	s_xor_b64 exec, exec, s[16:17]
	s_cbranch_execz .LBB96_110
; %bb.109:                              ;   in Loop: Header=BB96_2 Depth=1
	ds_read_u8 v47, v48 offset:1
	s_waitcnt lgkmcnt(1)
	v_mov_b32_e32 v46, v44
.LBB96_110:                             ;   in Loop: Header=BB96_2 Depth=1
	s_or_b64 exec, exec, s[16:17]
	v_add_u32_e32 v51, 1, v49
	v_add_u32_e32 v50, 1, v48
	v_cndmask_b32_e64 v51, v51, v49, s[14:15]
	v_cndmask_b32_e64 v48, v48, v50, s[14:15]
	v_cmp_ge_i32_e64 s[18:19], v51, v1
	s_waitcnt lgkmcnt(0)
	v_cmp_lt_u16_sdwa s[30:31], v47, v46 src0_sel:BYTE_0 src1_sel:BYTE_0
	v_cmp_gt_i32_e64 s[16:17], s29, v48
	s_or_b64 s[18:19], s[18:19], s[30:31]
	s_and_b64 s[16:17], s[16:17], s[18:19]
	s_xor_b64 s[18:19], s[16:17], -1
                                        ; implicit-def: $vgpr49
                                        ; implicit-def: $vgpr50
	s_and_saveexec_b64 s[30:31], s[18:19]
	s_xor_b64 s[18:19], exec, s[30:31]
; %bb.111:                              ;   in Loop: Header=BB96_2 Depth=1
	ds_read_u8 v49, v51 offset:1
	v_add_u32_e32 v50, 1, v51
                                        ; implicit-def: $vgpr51
; %bb.112:                              ;   in Loop: Header=BB96_2 Depth=1
	s_or_saveexec_b64 s[18:19], s[18:19]
	v_mov_b32_e32 v52, v47
	s_xor_b64 exec, exec, s[18:19]
	s_cbranch_execz .LBB96_1
; %bb.113:                              ;   in Loop: Header=BB96_2 Depth=1
	ds_read_u8 v52, v48 offset:1
	v_add_u32_e32 v48, 1, v48
	v_mov_b32_e32 v50, v51
	s_waitcnt lgkmcnt(1)
	v_mov_b32_e32 v49, v46
	s_branch .LBB96_1
.LBB96_114:
	s_add_u32 s0, s22, s24
	s_addc_u32 s1, s23, 0
	v_mov_b32_e32 v1, s1
	v_add_co_u32_e32 v0, vcc, s0, v0
	v_addc_co_u32_e32 v1, vcc, 0, v1, vcc
	global_store_byte v[0:1], v42, off
	global_store_byte v[0:1], v43, off offset:128
	global_store_byte v[0:1], v44, off offset:256
	;; [unrolled: 1-line block ×3, first 2 shown]
	s_endpgm
	.section	.rodata,"a",@progbits
	.p2align	6, 0x0
	.amdhsa_kernel _Z16sort_keys_kernelIhLj128ELj4EN10test_utils4lessELj10EEvPKT_PS2_T2_
		.amdhsa_group_segment_fixed_size 513
		.amdhsa_private_segment_fixed_size 0
		.amdhsa_kernarg_size 20
		.amdhsa_user_sgpr_count 6
		.amdhsa_user_sgpr_private_segment_buffer 1
		.amdhsa_user_sgpr_dispatch_ptr 0
		.amdhsa_user_sgpr_queue_ptr 0
		.amdhsa_user_sgpr_kernarg_segment_ptr 1
		.amdhsa_user_sgpr_dispatch_id 0
		.amdhsa_user_sgpr_flat_scratch_init 0
		.amdhsa_user_sgpr_private_segment_size 0
		.amdhsa_uses_dynamic_stack 0
		.amdhsa_system_sgpr_private_segment_wavefront_offset 0
		.amdhsa_system_sgpr_workgroup_id_x 1
		.amdhsa_system_sgpr_workgroup_id_y 0
		.amdhsa_system_sgpr_workgroup_id_z 0
		.amdhsa_system_sgpr_workgroup_info 0
		.amdhsa_system_vgpr_workitem_id 0
		.amdhsa_next_free_vgpr 55
		.amdhsa_next_free_sgpr 32
		.amdhsa_reserve_vcc 1
		.amdhsa_reserve_flat_scratch 0
		.amdhsa_float_round_mode_32 0
		.amdhsa_float_round_mode_16_64 0
		.amdhsa_float_denorm_mode_32 3
		.amdhsa_float_denorm_mode_16_64 3
		.amdhsa_dx10_clamp 1
		.amdhsa_ieee_mode 1
		.amdhsa_fp16_overflow 0
		.amdhsa_exception_fp_ieee_invalid_op 0
		.amdhsa_exception_fp_denorm_src 0
		.amdhsa_exception_fp_ieee_div_zero 0
		.amdhsa_exception_fp_ieee_overflow 0
		.amdhsa_exception_fp_ieee_underflow 0
		.amdhsa_exception_fp_ieee_inexact 0
		.amdhsa_exception_int_div_zero 0
	.end_amdhsa_kernel
	.section	.text._Z16sort_keys_kernelIhLj128ELj4EN10test_utils4lessELj10EEvPKT_PS2_T2_,"axG",@progbits,_Z16sort_keys_kernelIhLj128ELj4EN10test_utils4lessELj10EEvPKT_PS2_T2_,comdat
.Lfunc_end96:
	.size	_Z16sort_keys_kernelIhLj128ELj4EN10test_utils4lessELj10EEvPKT_PS2_T2_, .Lfunc_end96-_Z16sort_keys_kernelIhLj128ELj4EN10test_utils4lessELj10EEvPKT_PS2_T2_
                                        ; -- End function
	.set _Z16sort_keys_kernelIhLj128ELj4EN10test_utils4lessELj10EEvPKT_PS2_T2_.num_vgpr, 55
	.set _Z16sort_keys_kernelIhLj128ELj4EN10test_utils4lessELj10EEvPKT_PS2_T2_.num_agpr, 0
	.set _Z16sort_keys_kernelIhLj128ELj4EN10test_utils4lessELj10EEvPKT_PS2_T2_.numbered_sgpr, 32
	.set _Z16sort_keys_kernelIhLj128ELj4EN10test_utils4lessELj10EEvPKT_PS2_T2_.num_named_barrier, 0
	.set _Z16sort_keys_kernelIhLj128ELj4EN10test_utils4lessELj10EEvPKT_PS2_T2_.private_seg_size, 0
	.set _Z16sort_keys_kernelIhLj128ELj4EN10test_utils4lessELj10EEvPKT_PS2_T2_.uses_vcc, 1
	.set _Z16sort_keys_kernelIhLj128ELj4EN10test_utils4lessELj10EEvPKT_PS2_T2_.uses_flat_scratch, 0
	.set _Z16sort_keys_kernelIhLj128ELj4EN10test_utils4lessELj10EEvPKT_PS2_T2_.has_dyn_sized_stack, 0
	.set _Z16sort_keys_kernelIhLj128ELj4EN10test_utils4lessELj10EEvPKT_PS2_T2_.has_recursion, 0
	.set _Z16sort_keys_kernelIhLj128ELj4EN10test_utils4lessELj10EEvPKT_PS2_T2_.has_indirect_call, 0
	.section	.AMDGPU.csdata,"",@progbits
; Kernel info:
; codeLenInByte = 5160
; TotalNumSgprs: 36
; NumVgprs: 55
; ScratchSize: 0
; MemoryBound: 0
; FloatMode: 240
; IeeeMode: 1
; LDSByteSize: 513 bytes/workgroup (compile time only)
; SGPRBlocks: 4
; VGPRBlocks: 13
; NumSGPRsForWavesPerEU: 36
; NumVGPRsForWavesPerEU: 55
; Occupancy: 4
; WaveLimiterHint : 1
; COMPUTE_PGM_RSRC2:SCRATCH_EN: 0
; COMPUTE_PGM_RSRC2:USER_SGPR: 6
; COMPUTE_PGM_RSRC2:TRAP_HANDLER: 0
; COMPUTE_PGM_RSRC2:TGID_X_EN: 1
; COMPUTE_PGM_RSRC2:TGID_Y_EN: 0
; COMPUTE_PGM_RSRC2:TGID_Z_EN: 0
; COMPUTE_PGM_RSRC2:TIDIG_COMP_CNT: 0
	.section	.text._Z17sort_pairs_kernelIhLj128ELj4EN10test_utils4lessELj10EEvPKT_PS2_T2_,"axG",@progbits,_Z17sort_pairs_kernelIhLj128ELj4EN10test_utils4lessELj10EEvPKT_PS2_T2_,comdat
	.protected	_Z17sort_pairs_kernelIhLj128ELj4EN10test_utils4lessELj10EEvPKT_PS2_T2_ ; -- Begin function _Z17sort_pairs_kernelIhLj128ELj4EN10test_utils4lessELj10EEvPKT_PS2_T2_
	.globl	_Z17sort_pairs_kernelIhLj128ELj4EN10test_utils4lessELj10EEvPKT_PS2_T2_
	.p2align	8
	.type	_Z17sort_pairs_kernelIhLj128ELj4EN10test_utils4lessELj10EEvPKT_PS2_T2_,@function
_Z17sort_pairs_kernelIhLj128ELj4EN10test_utils4lessELj10EEvPKT_PS2_T2_: ; @_Z17sort_pairs_kernelIhLj128ELj4EN10test_utils4lessELj10EEvPKT_PS2_T2_
; %bb.0:
	s_load_dwordx4 s[36:39], s[4:5], 0x0
	s_lshl_b32 s33, s6, 9
	v_lshlrev_b32_e32 v1, 2, v0
	v_and_b32_e32 v2, 0x1f8, v1
	v_and_b32_e32 v5, 0x1f0, v1
	s_waitcnt lgkmcnt(0)
	s_add_u32 s0, s36, s33
	s_addc_u32 s1, s37, 0
	global_load_ubyte v47, v0, s[0:1]
	global_load_ubyte v48, v0, s[0:1] offset:128
	global_load_ubyte v49, v0, s[0:1] offset:256
	;; [unrolled: 1-line block ×3, first 2 shown]
	v_and_b32_e32 v8, 0x1e0, v1
	v_and_b32_e32 v11, 0x1c0, v1
	v_and_b32_e32 v14, 0x180, v1
	v_and_b32_e32 v17, 0x100, v1
	v_or_b32_e32 v3, 4, v2
	v_add_u32_e32 v4, 8, v2
	v_or_b32_e32 v6, 8, v5
	v_add_u32_e32 v7, 16, v5
	;; [unrolled: 2-line block ×6, first 2 shown]
	v_and_b32_e32 v22, 4, v1
	v_sub_u32_e32 v20, v4, v3
	v_and_b32_e32 v25, 12, v1
	v_sub_u32_e32 v23, v7, v6
	;; [unrolled: 2-line block ×6, first 2 shown]
	v_sub_u32_e32 v21, v22, v20
	v_sub_u32_e32 v24, v25, v23
	;; [unrolled: 1-line block ×6, first 2 shown]
	v_cmp_ge_i32_e32 vcc, v22, v20
	v_cmp_ge_i32_e64 s[0:1], v25, v23
	v_cmp_ge_i32_e64 s[2:3], v28, v26
	;; [unrolled: 1-line block ×5, first 2 shown]
	v_cndmask_b32_e32 v20, 0, v21, vcc
	v_sub_u32_e32 v21, v3, v2
	v_cndmask_b32_e64 v23, 0, v24, s[0:1]
	v_sub_u32_e32 v24, v6, v5
	v_cndmask_b32_e64 v26, 0, v27, s[2:3]
	;; [unrolled: 2-line block ×5, first 2 shown]
	v_sub_u32_e32 v36, v18, v17
	v_mov_b32_e32 v38, 0x100
	v_min_i32_e32 v21, v22, v21
	v_min_i32_e32 v24, v25, v24
	;; [unrolled: 1-line block ×6, first 2 shown]
	v_sub_u32_e64 v39, v1, v38 clamp
	v_min_i32_e32 v40, 0x100, v1
	s_mov_b32 s34, 0
	v_cmp_lt_i32_e32 vcc, v20, v21
	v_add_u32_e32 v22, v3, v22
	v_cmp_lt_i32_e64 s[0:1], v23, v24
	v_add_u32_e32 v25, v6, v25
	v_cmp_lt_i32_e64 s[2:3], v26, v27
	;; [unrolled: 2-line block ×6, first 2 shown]
	s_mov_b32 s35, 0xc0c0004
	s_mov_b32 s36, 0xc0c0001
	;; [unrolled: 1-line block ×3, first 2 shown]
	s_movk_i32 s40, 0xff00
	s_mov_b32 s41, 0xffff0000
	s_mov_b32 s42, 0x7050604
	s_movk_i32 s43, 0x200
	s_waitcnt vmcnt(3)
	v_add_u16_e32 v42, 1, v47
	s_waitcnt vmcnt(2)
	v_add_u16_e32 v43, 1, v48
	s_waitcnt vmcnt(1)
	v_add_u16_e32 v44, 1, v49
	s_waitcnt vmcnt(0)
	v_add_u16_e32 v45, 1, v46
	v_add_u32_e32 v41, 0x100, v1
	s_branch .LBB97_2
.LBB97_1:                               ;   in Loop: Header=BB97_2 Depth=1
	s_or_b64 exec, exec, s[18:19]
	v_cmp_ge_i32_e64 s[18:19], v58, v38
	s_waitcnt lgkmcnt(0)
	v_cmp_lt_u16_sdwa s[20:21], v61, v59 src0_sel:BYTE_0 src1_sel:BYTE_0
	v_cndmask_b32_e64 v47, v47, v51, s[12:13]
	v_cndmask_b32_e64 v49, v46, v49, s[12:13]
	v_cmp_gt_i32_e64 s[12:13], s43, v56
	s_or_b64 s[18:19], s[18:19], s[20:21]
	s_and_b64 s[12:13], s[12:13], s[18:19]
	v_cndmask_b32_e64 v51, v55, v54, s[14:15]
	v_cndmask_b32_e64 v54, v58, v56, s[12:13]
	s_barrier
	ds_write_b8 v1, v42
	ds_write_b8 v1, v44 offset:1
	ds_write_b8 v1, v45 offset:2
	;; [unrolled: 1-line block ×3, first 2 shown]
	s_waitcnt lgkmcnt(0)
	s_barrier
	ds_read_u8 v42, v49
	ds_read_u8 v44, v57
	ds_read_u8 v45, v54
	ds_read_u8 v43, v51
	s_add_i32 s34, s34, 1
	v_cndmask_b32_e64 v46, v59, v61, s[12:13]
	v_cndmask_b32_e64 v48, v48, v50, s[14:15]
	s_cmp_eq_u32 s34, 10
	v_cndmask_b32_e64 v49, v52, v53, s[16:17]
	s_cbranch_scc1 .LBB97_114
.LBB97_2:                               ; =>This Loop Header: Depth=1
                                        ;     Child Loop BB97_4 Depth 2
                                        ;     Child Loop BB97_20 Depth 2
	;; [unrolled: 1-line block ×7, first 2 shown]
	v_perm_b32 v46, v49, v46, s35
	v_lshlrev_b32_e32 v46, 16, v46
	v_perm_b32 v49, v48, v47, s35
	v_perm_b32 v50, v47, v48, s35
	v_or_b32_e32 v49, v49, v46
	v_or_b32_e32 v46, v50, v46
	v_cmp_lt_u16_sdwa s[12:13], v48, v47 src0_sel:BYTE_0 src1_sel:BYTE_0
	v_cndmask_b32_e64 v46, v46, v49, s[12:13]
	v_lshrrev_b32_e32 v47, 16, v46
	v_perm_b32 v48, 0, v47, s36
	v_lshlrev_b32_e32 v48, 16, v48
	v_and_or_b32 v48, v46, s37, v48
	v_cmp_lt_u16_sdwa s[14:15], v46, v47 src0_sel:BYTE_3 src1_sel:BYTE_0
	v_cndmask_b32_e64 v48, v46, v48, s[14:15]
	v_min_u16_sdwa v46, v46, v47 dst_sel:DWORD dst_unused:UNUSED_PAD src0_sel:BYTE_3 src1_sel:BYTE_0
	v_and_b32_sdwa v49, v48, s40 dst_sel:DWORD dst_unused:UNUSED_PAD src0_sel:WORD_1 src1_sel:DWORD
	v_lshlrev_b16_e32 v50, 8, v46
	v_or_b32_sdwa v49, v48, v49 dst_sel:WORD_1 dst_unused:UNUSED_PAD src0_sel:BYTE_1 src1_sel:DWORD
	v_lshrrev_b32_e32 v47, 8, v48
	v_or_b32_sdwa v50, v48, v50 dst_sel:DWORD dst_unused:UNUSED_PAD src0_sel:BYTE_0 src1_sel:DWORD
	v_or_b32_sdwa v49, v50, v49 dst_sel:DWORD dst_unused:UNUSED_PAD src0_sel:WORD_0 src1_sel:DWORD
	v_cmp_lt_u16_sdwa s[16:17], v46, v47 src0_sel:DWORD src1_sel:BYTE_0
	v_cndmask_b32_e64 v48, v48, v49, s[16:17]
	v_lshlrev_b16_e32 v49, 8, v48
	v_min_u16_sdwa v46, v46, v47 dst_sel:DWORD dst_unused:UNUSED_PAD src0_sel:DWORD src1_sel:BYTE_0
	v_or_b32_e32 v47, v46, v49
	v_and_b32_e32 v47, 0xffff, v47
	v_and_or_b32 v47, v48, s41, v47
	v_cmp_lt_u16_sdwa s[18:19], v46, v48 src0_sel:DWORD src1_sel:BYTE_0
	v_cndmask_b32_e64 v46, v48, v47, s[18:19]
	v_lshrrev_b32_e32 v47, 16, v46
	v_perm_b32 v48, 0, v47, s36
	v_lshlrev_b32_e32 v48, 16, v48
	v_and_or_b32 v48, v46, s37, v48
	v_cmp_lt_u16_sdwa s[20:21], v46, v47 src0_sel:BYTE_3 src1_sel:BYTE_0
	v_cndmask_b32_e64 v48, v46, v48, s[20:21]
	v_min_u16_sdwa v46, v46, v47 dst_sel:DWORD dst_unused:UNUSED_PAD src0_sel:BYTE_3 src1_sel:BYTE_0
	v_and_b32_sdwa v49, v48, s40 dst_sel:DWORD dst_unused:UNUSED_PAD src0_sel:WORD_1 src1_sel:DWORD
	v_lshlrev_b16_e32 v50, 8, v46
	v_or_b32_sdwa v49, v48, v49 dst_sel:WORD_1 dst_unused:UNUSED_PAD src0_sel:BYTE_1 src1_sel:DWORD
	v_lshrrev_b32_e32 v47, 8, v48
	v_or_b32_sdwa v50, v48, v50 dst_sel:DWORD dst_unused:UNUSED_PAD src0_sel:BYTE_0 src1_sel:DWORD
	v_or_b32_sdwa v49, v50, v49 dst_sel:DWORD dst_unused:UNUSED_PAD src0_sel:WORD_0 src1_sel:DWORD
	v_cmp_lt_u16_sdwa s[22:23], v46, v47 src0_sel:DWORD src1_sel:BYTE_0
	v_cndmask_b32_e64 v46, v48, v49, s[22:23]
	v_mov_b32_e32 v47, v20
	s_waitcnt lgkmcnt(0)
	s_barrier
	ds_write_b32 v1, v46
	s_waitcnt lgkmcnt(0)
	s_barrier
	s_and_saveexec_b64 s[26:27], vcc
	s_cbranch_execz .LBB97_6
; %bb.3:                                ;   in Loop: Header=BB97_2 Depth=1
	s_mov_b64 s[28:29], 0
	v_mov_b32_e32 v47, v20
	v_mov_b32_e32 v46, v21
.LBB97_4:                               ;   Parent Loop BB97_2 Depth=1
                                        ; =>  This Inner Loop Header: Depth=2
	v_sub_u32_e32 v48, v46, v47
	v_lshrrev_b32_e32 v48, 1, v48
	v_add_u32_e32 v48, v48, v47
	v_add_u32_e32 v49, v2, v48
	v_xad_u32 v50, v48, -1, v22
	ds_read_u8 v49, v49
	ds_read_u8 v50, v50
	v_add_u32_e32 v51, 1, v48
	s_waitcnt lgkmcnt(0)
	v_cmp_lt_u16_e64 s[24:25], v50, v49
	v_cndmask_b32_e64 v46, v46, v48, s[24:25]
	v_cndmask_b32_e64 v47, v51, v47, s[24:25]
	v_cmp_ge_i32_e64 s[24:25], v47, v46
	s_or_b64 s[28:29], s[24:25], s[28:29]
	s_andn2_b64 exec, exec, s[28:29]
	s_cbranch_execnz .LBB97_4
; %bb.5:                                ;   in Loop: Header=BB97_2 Depth=1
	s_or_b64 exec, exec, s[28:29]
.LBB97_6:                               ;   in Loop: Header=BB97_2 Depth=1
	s_or_b64 exec, exec, s[26:27]
	v_add_u32_e32 v46, v47, v2
	v_sub_u32_e32 v47, v22, v47
	ds_read_u8 v48, v46
	ds_read_u8 v49, v47
	v_cmp_le_i32_e64 s[26:27], v3, v46
	v_cmp_gt_i32_e64 s[24:25], v4, v47
                                        ; implicit-def: $vgpr50
	s_waitcnt lgkmcnt(0)
	v_cmp_lt_u16_sdwa s[28:29], v49, v48 src0_sel:BYTE_0 src1_sel:BYTE_0
	s_or_b64 s[26:27], s[26:27], s[28:29]
	s_and_b64 s[24:25], s[24:25], s[26:27]
	s_xor_b64 s[26:27], s[24:25], -1
	s_and_saveexec_b64 s[28:29], s[26:27]
	s_xor_b64 s[26:27], exec, s[28:29]
; %bb.7:                                ;   in Loop: Header=BB97_2 Depth=1
	ds_read_u8 v50, v46 offset:1
; %bb.8:                                ;   in Loop: Header=BB97_2 Depth=1
	s_or_saveexec_b64 s[26:27], s[26:27]
	v_mov_b32_e32 v51, v49
	s_xor_b64 exec, exec, s[26:27]
	s_cbranch_execz .LBB97_10
; %bb.9:                                ;   in Loop: Header=BB97_2 Depth=1
	ds_read_u8 v51, v47 offset:1
	s_waitcnt lgkmcnt(1)
	v_mov_b32_e32 v50, v48
.LBB97_10:                              ;   in Loop: Header=BB97_2 Depth=1
	s_or_b64 exec, exec, s[26:27]
	v_add_u32_e32 v53, 1, v46
	v_add_u32_e32 v52, 1, v47
	v_cndmask_b32_e64 v53, v53, v46, s[24:25]
	v_cndmask_b32_e64 v52, v47, v52, s[24:25]
	v_cmp_ge_i32_e64 s[28:29], v53, v3
	s_waitcnt lgkmcnt(0)
	v_cmp_lt_u16_sdwa s[30:31], v51, v50 src0_sel:BYTE_0 src1_sel:BYTE_0
	v_cmp_lt_i32_e64 s[26:27], v52, v4
	s_or_b64 s[28:29], s[28:29], s[30:31]
	s_and_b64 s[26:27], s[26:27], s[28:29]
	s_xor_b64 s[28:29], s[26:27], -1
                                        ; implicit-def: $vgpr54
	s_and_saveexec_b64 s[30:31], s[28:29]
	s_xor_b64 s[28:29], exec, s[30:31]
; %bb.11:                               ;   in Loop: Header=BB97_2 Depth=1
	ds_read_u8 v54, v53 offset:1
; %bb.12:                               ;   in Loop: Header=BB97_2 Depth=1
	s_or_saveexec_b64 s[28:29], s[28:29]
	v_mov_b32_e32 v56, v51
	s_xor_b64 exec, exec, s[28:29]
	s_cbranch_execz .LBB97_14
; %bb.13:                               ;   in Loop: Header=BB97_2 Depth=1
	ds_read_u8 v56, v52 offset:1
	s_waitcnt lgkmcnt(1)
	v_mov_b32_e32 v54, v50
.LBB97_14:                              ;   in Loop: Header=BB97_2 Depth=1
	s_or_b64 exec, exec, s[28:29]
	v_add_u32_e32 v57, 1, v53
	v_add_u32_e32 v55, 1, v52
	v_cndmask_b32_e64 v59, v57, v53, s[26:27]
	v_cndmask_b32_e64 v58, v52, v55, s[26:27]
	v_cmp_ge_i32_e64 s[30:31], v59, v3
	s_waitcnt lgkmcnt(0)
	v_cmp_lt_u16_sdwa s[44:45], v56, v54 src0_sel:BYTE_0 src1_sel:BYTE_0
	v_cmp_lt_i32_e64 s[28:29], v58, v4
	s_or_b64 s[30:31], s[30:31], s[44:45]
	s_and_b64 s[28:29], s[28:29], s[30:31]
	s_xor_b64 s[30:31], s[28:29], -1
                                        ; implicit-def: $vgpr55
	s_and_saveexec_b64 s[44:45], s[30:31]
	s_xor_b64 s[30:31], exec, s[44:45]
; %bb.15:                               ;   in Loop: Header=BB97_2 Depth=1
	ds_read_u8 v55, v59 offset:1
; %bb.16:                               ;   in Loop: Header=BB97_2 Depth=1
	s_or_saveexec_b64 s[30:31], s[30:31]
	v_mov_b32_e32 v57, v56
	s_xor_b64 exec, exec, s[30:31]
	s_cbranch_execz .LBB97_18
; %bb.17:                               ;   in Loop: Header=BB97_2 Depth=1
	ds_read_u8 v57, v58 offset:1
	s_waitcnt lgkmcnt(1)
	v_mov_b32_e32 v55, v54
.LBB97_18:                              ;   in Loop: Header=BB97_2 Depth=1
	s_or_b64 exec, exec, s[30:31]
	v_perm_b32 v44, v44, v45, s35
	v_perm_b32 v45, v43, v42, s35
	;; [unrolled: 1-line block ×3, first 2 shown]
	v_cndmask_b32_e64 v42, v42, v45, s[12:13]
	v_perm_b32 v43, 0, v44, s36
	v_lshl_or_b32 v42, v44, 16, v42
	v_lshlrev_b32_e32 v43, 16, v43
	v_and_or_b32 v43, v42, s37, v43
	v_cndmask_b32_e64 v42, v42, v43, s[14:15]
	v_perm_b32 v43, v42, v42, s42
	v_cndmask_b32_e64 v42, v42, v43, s[16:17]
	v_perm_b32 v43, 0, v42, s36
	v_and_or_b32 v43, v42, s41, v43
	v_cndmask_b32_e64 v42, v42, v43, s[18:19]
	v_lshrrev_b32_e32 v43, 16, v42
	v_add_u32_e32 v60, 1, v59
	v_perm_b32 v43, 0, v43, s36
	v_cndmask_b32_e64 v54, v54, v56, s[28:29]
	v_add_u32_e32 v56, 1, v58
	v_cndmask_b32_e64 v60, v60, v59, s[28:29]
	v_lshlrev_b32_e32 v43, 16, v43
	v_cndmask_b32_e64 v56, v58, v56, s[28:29]
	v_and_or_b32 v43, v42, s37, v43
	v_cmp_ge_i32_e64 s[14:15], v60, v3
	s_waitcnt lgkmcnt(0)
	v_cmp_lt_u16_sdwa s[16:17], v57, v55 src0_sel:BYTE_0 src1_sel:BYTE_0
	v_cndmask_b32_e64 v42, v42, v43, s[20:21]
	v_cmp_lt_i32_e64 s[12:13], v56, v4
	s_or_b64 s[14:15], s[14:15], s[16:17]
	v_perm_b32 v43, v42, v42, s42
	s_and_b64 s[12:13], s[12:13], s[14:15]
	v_cndmask_b32_e64 v46, v46, v47, s[24:25]
	v_cndmask_b32_e64 v42, v42, v43, s[22:23]
	;; [unrolled: 1-line block ×6, first 2 shown]
	s_barrier
	ds_write_b32 v1, v42
	s_waitcnt lgkmcnt(0)
	s_barrier
	ds_read_u8 v42, v46
	ds_read_u8 v43, v43
	;; [unrolled: 1-line block ×4, first 2 shown]
	v_cndmask_b32_e64 v48, v48, v49, s[24:25]
	v_cndmask_b32_e64 v47, v55, v57, s[12:13]
	s_waitcnt lgkmcnt(0)
	s_barrier
	ds_write_b8 v1, v48
	ds_write_b8 v1, v50 offset:1
	ds_write_b8 v1, v54 offset:2
	;; [unrolled: 1-line block ×3, first 2 shown]
	v_mov_b32_e32 v47, v23
	s_waitcnt lgkmcnt(0)
	s_barrier
	s_and_saveexec_b64 s[14:15], s[0:1]
	s_cbranch_execz .LBB97_22
; %bb.19:                               ;   in Loop: Header=BB97_2 Depth=1
	s_mov_b64 s[16:17], 0
	v_mov_b32_e32 v47, v23
	v_mov_b32_e32 v46, v24
.LBB97_20:                              ;   Parent Loop BB97_2 Depth=1
                                        ; =>  This Inner Loop Header: Depth=2
	v_sub_u32_e32 v48, v46, v47
	v_lshrrev_b32_e32 v48, 1, v48
	v_add_u32_e32 v48, v48, v47
	v_add_u32_e32 v49, v5, v48
	v_xad_u32 v50, v48, -1, v25
	ds_read_u8 v49, v49
	ds_read_u8 v50, v50
	v_add_u32_e32 v51, 1, v48
	s_waitcnt lgkmcnt(0)
	v_cmp_lt_u16_e64 s[12:13], v50, v49
	v_cndmask_b32_e64 v46, v46, v48, s[12:13]
	v_cndmask_b32_e64 v47, v51, v47, s[12:13]
	v_cmp_ge_i32_e64 s[12:13], v47, v46
	s_or_b64 s[16:17], s[12:13], s[16:17]
	s_andn2_b64 exec, exec, s[16:17]
	s_cbranch_execnz .LBB97_20
; %bb.21:                               ;   in Loop: Header=BB97_2 Depth=1
	s_or_b64 exec, exec, s[16:17]
.LBB97_22:                              ;   in Loop: Header=BB97_2 Depth=1
	s_or_b64 exec, exec, s[14:15]
	v_add_u32_e32 v46, v47, v5
	v_sub_u32_e32 v47, v25, v47
	ds_read_u8 v48, v46
	ds_read_u8 v49, v47
	v_cmp_le_i32_e64 s[14:15], v6, v46
	v_cmp_gt_i32_e64 s[12:13], v7, v47
                                        ; implicit-def: $vgpr50
	s_waitcnt lgkmcnt(0)
	v_cmp_lt_u16_sdwa s[16:17], v49, v48 src0_sel:BYTE_0 src1_sel:BYTE_0
	s_or_b64 s[14:15], s[14:15], s[16:17]
	s_and_b64 s[12:13], s[12:13], s[14:15]
	s_xor_b64 s[14:15], s[12:13], -1
	s_and_saveexec_b64 s[16:17], s[14:15]
	s_xor_b64 s[14:15], exec, s[16:17]
; %bb.23:                               ;   in Loop: Header=BB97_2 Depth=1
	ds_read_u8 v50, v46 offset:1
; %bb.24:                               ;   in Loop: Header=BB97_2 Depth=1
	s_or_saveexec_b64 s[14:15], s[14:15]
	v_mov_b32_e32 v51, v49
	s_xor_b64 exec, exec, s[14:15]
	s_cbranch_execz .LBB97_26
; %bb.25:                               ;   in Loop: Header=BB97_2 Depth=1
	ds_read_u8 v51, v47 offset:1
	s_waitcnt lgkmcnt(1)
	v_mov_b32_e32 v50, v48
.LBB97_26:                              ;   in Loop: Header=BB97_2 Depth=1
	s_or_b64 exec, exec, s[14:15]
	v_add_u32_e32 v53, 1, v46
	v_add_u32_e32 v52, 1, v47
	v_cndmask_b32_e64 v53, v53, v46, s[12:13]
	v_cndmask_b32_e64 v52, v47, v52, s[12:13]
	v_cmp_ge_i32_e64 s[16:17], v53, v6
	s_waitcnt lgkmcnt(0)
	v_cmp_lt_u16_sdwa s[18:19], v51, v50 src0_sel:BYTE_0 src1_sel:BYTE_0
	v_cmp_lt_i32_e64 s[14:15], v52, v7
	s_or_b64 s[16:17], s[16:17], s[18:19]
	s_and_b64 s[14:15], s[14:15], s[16:17]
	s_xor_b64 s[16:17], s[14:15], -1
                                        ; implicit-def: $vgpr54
	s_and_saveexec_b64 s[18:19], s[16:17]
	s_xor_b64 s[16:17], exec, s[18:19]
; %bb.27:                               ;   in Loop: Header=BB97_2 Depth=1
	ds_read_u8 v54, v53 offset:1
; %bb.28:                               ;   in Loop: Header=BB97_2 Depth=1
	s_or_saveexec_b64 s[16:17], s[16:17]
	v_mov_b32_e32 v55, v51
	s_xor_b64 exec, exec, s[16:17]
	s_cbranch_execz .LBB97_30
; %bb.29:                               ;   in Loop: Header=BB97_2 Depth=1
	ds_read_u8 v55, v52 offset:1
	s_waitcnt lgkmcnt(1)
	v_mov_b32_e32 v54, v50
.LBB97_30:                              ;   in Loop: Header=BB97_2 Depth=1
	s_or_b64 exec, exec, s[16:17]
	v_add_u32_e32 v57, 1, v53
	v_add_u32_e32 v56, 1, v52
	v_cndmask_b32_e64 v57, v57, v53, s[14:15]
	v_cndmask_b32_e64 v56, v52, v56, s[14:15]
	v_cmp_ge_i32_e64 s[18:19], v57, v6
	s_waitcnt lgkmcnt(0)
	v_cmp_lt_u16_sdwa s[20:21], v55, v54 src0_sel:BYTE_0 src1_sel:BYTE_0
	v_cmp_lt_i32_e64 s[16:17], v56, v7
	s_or_b64 s[18:19], s[18:19], s[20:21]
	s_and_b64 s[16:17], s[16:17], s[18:19]
	s_xor_b64 s[18:19], s[16:17], -1
                                        ; implicit-def: $vgpr58
	s_and_saveexec_b64 s[20:21], s[18:19]
	s_xor_b64 s[18:19], exec, s[20:21]
; %bb.31:                               ;   in Loop: Header=BB97_2 Depth=1
	ds_read_u8 v58, v57 offset:1
; %bb.32:                               ;   in Loop: Header=BB97_2 Depth=1
	s_or_saveexec_b64 s[18:19], s[18:19]
	v_mov_b32_e32 v59, v55
	s_xor_b64 exec, exec, s[18:19]
	s_cbranch_execz .LBB97_34
; %bb.33:                               ;   in Loop: Header=BB97_2 Depth=1
	ds_read_u8 v59, v56 offset:1
	s_waitcnt lgkmcnt(1)
	v_mov_b32_e32 v58, v54
.LBB97_34:                              ;   in Loop: Header=BB97_2 Depth=1
	s_or_b64 exec, exec, s[18:19]
	v_add_u32_e32 v60, 1, v57
	v_cndmask_b32_e64 v54, v54, v55, s[16:17]
	v_add_u32_e32 v55, 1, v56
	v_cndmask_b32_e64 v60, v60, v57, s[16:17]
	v_cndmask_b32_e64 v55, v56, v55, s[16:17]
	;; [unrolled: 1-line block ×5, first 2 shown]
	v_cmp_ge_i32_e64 s[14:15], v60, v6
	s_waitcnt lgkmcnt(0)
	v_cmp_lt_u16_sdwa s[16:17], v59, v58 src0_sel:BYTE_0 src1_sel:BYTE_0
	v_cndmask_b32_e64 v48, v48, v49, s[12:13]
	v_cndmask_b32_e64 v46, v46, v47, s[12:13]
	v_cmp_lt_i32_e64 s[12:13], v55, v7
	s_or_b64 s[14:15], s[14:15], s[16:17]
	s_and_b64 s[12:13], s[12:13], s[14:15]
	v_cndmask_b32_e64 v49, v60, v55, s[12:13]
	s_barrier
	ds_write_b8 v1, v42
	ds_write_b8 v1, v44 offset:1
	ds_write_b8 v1, v45 offset:2
	;; [unrolled: 1-line block ×3, first 2 shown]
	s_waitcnt lgkmcnt(0)
	s_barrier
	ds_read_u8 v42, v46
	ds_read_u8 v43, v49
	;; [unrolled: 1-line block ×4, first 2 shown]
	v_cndmask_b32_e64 v47, v58, v59, s[12:13]
	s_waitcnt lgkmcnt(0)
	s_barrier
	ds_write_b8 v1, v48
	ds_write_b8 v1, v50 offset:1
	ds_write_b8 v1, v54 offset:2
	;; [unrolled: 1-line block ×3, first 2 shown]
	v_mov_b32_e32 v47, v26
	s_waitcnt lgkmcnt(0)
	s_barrier
	s_and_saveexec_b64 s[14:15], s[2:3]
	s_cbranch_execz .LBB97_38
; %bb.35:                               ;   in Loop: Header=BB97_2 Depth=1
	s_mov_b64 s[16:17], 0
	v_mov_b32_e32 v47, v26
	v_mov_b32_e32 v46, v27
.LBB97_36:                              ;   Parent Loop BB97_2 Depth=1
                                        ; =>  This Inner Loop Header: Depth=2
	v_sub_u32_e32 v48, v46, v47
	v_lshrrev_b32_e32 v48, 1, v48
	v_add_u32_e32 v48, v48, v47
	v_add_u32_e32 v49, v8, v48
	v_xad_u32 v50, v48, -1, v28
	ds_read_u8 v49, v49
	ds_read_u8 v50, v50
	v_add_u32_e32 v51, 1, v48
	s_waitcnt lgkmcnt(0)
	v_cmp_lt_u16_e64 s[12:13], v50, v49
	v_cndmask_b32_e64 v46, v46, v48, s[12:13]
	v_cndmask_b32_e64 v47, v51, v47, s[12:13]
	v_cmp_ge_i32_e64 s[12:13], v47, v46
	s_or_b64 s[16:17], s[12:13], s[16:17]
	s_andn2_b64 exec, exec, s[16:17]
	s_cbranch_execnz .LBB97_36
; %bb.37:                               ;   in Loop: Header=BB97_2 Depth=1
	s_or_b64 exec, exec, s[16:17]
.LBB97_38:                              ;   in Loop: Header=BB97_2 Depth=1
	s_or_b64 exec, exec, s[14:15]
	v_add_u32_e32 v46, v47, v8
	v_sub_u32_e32 v47, v28, v47
	ds_read_u8 v48, v46
	ds_read_u8 v49, v47
	v_cmp_le_i32_e64 s[14:15], v9, v46
	v_cmp_gt_i32_e64 s[12:13], v10, v47
                                        ; implicit-def: $vgpr50
	s_waitcnt lgkmcnt(0)
	v_cmp_lt_u16_sdwa s[16:17], v49, v48 src0_sel:BYTE_0 src1_sel:BYTE_0
	s_or_b64 s[14:15], s[14:15], s[16:17]
	s_and_b64 s[12:13], s[12:13], s[14:15]
	s_xor_b64 s[14:15], s[12:13], -1
	s_and_saveexec_b64 s[16:17], s[14:15]
	s_xor_b64 s[14:15], exec, s[16:17]
; %bb.39:                               ;   in Loop: Header=BB97_2 Depth=1
	ds_read_u8 v50, v46 offset:1
; %bb.40:                               ;   in Loop: Header=BB97_2 Depth=1
	s_or_saveexec_b64 s[14:15], s[14:15]
	v_mov_b32_e32 v51, v49
	s_xor_b64 exec, exec, s[14:15]
	s_cbranch_execz .LBB97_42
; %bb.41:                               ;   in Loop: Header=BB97_2 Depth=1
	ds_read_u8 v51, v47 offset:1
	s_waitcnt lgkmcnt(1)
	v_mov_b32_e32 v50, v48
.LBB97_42:                              ;   in Loop: Header=BB97_2 Depth=1
	s_or_b64 exec, exec, s[14:15]
	v_add_u32_e32 v53, 1, v46
	v_add_u32_e32 v52, 1, v47
	v_cndmask_b32_e64 v53, v53, v46, s[12:13]
	v_cndmask_b32_e64 v52, v47, v52, s[12:13]
	v_cmp_ge_i32_e64 s[16:17], v53, v9
	s_waitcnt lgkmcnt(0)
	v_cmp_lt_u16_sdwa s[18:19], v51, v50 src0_sel:BYTE_0 src1_sel:BYTE_0
	v_cmp_lt_i32_e64 s[14:15], v52, v10
	s_or_b64 s[16:17], s[16:17], s[18:19]
	s_and_b64 s[14:15], s[14:15], s[16:17]
	s_xor_b64 s[16:17], s[14:15], -1
                                        ; implicit-def: $vgpr54
	s_and_saveexec_b64 s[18:19], s[16:17]
	s_xor_b64 s[16:17], exec, s[18:19]
; %bb.43:                               ;   in Loop: Header=BB97_2 Depth=1
	ds_read_u8 v54, v53 offset:1
; %bb.44:                               ;   in Loop: Header=BB97_2 Depth=1
	s_or_saveexec_b64 s[16:17], s[16:17]
	v_mov_b32_e32 v55, v51
	s_xor_b64 exec, exec, s[16:17]
	s_cbranch_execz .LBB97_46
; %bb.45:                               ;   in Loop: Header=BB97_2 Depth=1
	ds_read_u8 v55, v52 offset:1
	s_waitcnt lgkmcnt(1)
	v_mov_b32_e32 v54, v50
.LBB97_46:                              ;   in Loop: Header=BB97_2 Depth=1
	s_or_b64 exec, exec, s[16:17]
	v_add_u32_e32 v57, 1, v53
	v_add_u32_e32 v56, 1, v52
	v_cndmask_b32_e64 v57, v57, v53, s[14:15]
	v_cndmask_b32_e64 v56, v52, v56, s[14:15]
	v_cmp_ge_i32_e64 s[18:19], v57, v9
	s_waitcnt lgkmcnt(0)
	v_cmp_lt_u16_sdwa s[20:21], v55, v54 src0_sel:BYTE_0 src1_sel:BYTE_0
	v_cmp_lt_i32_e64 s[16:17], v56, v10
	s_or_b64 s[18:19], s[18:19], s[20:21]
	s_and_b64 s[16:17], s[16:17], s[18:19]
	s_xor_b64 s[18:19], s[16:17], -1
                                        ; implicit-def: $vgpr58
	s_and_saveexec_b64 s[20:21], s[18:19]
	s_xor_b64 s[18:19], exec, s[20:21]
; %bb.47:                               ;   in Loop: Header=BB97_2 Depth=1
	ds_read_u8 v58, v57 offset:1
; %bb.48:                               ;   in Loop: Header=BB97_2 Depth=1
	s_or_saveexec_b64 s[18:19], s[18:19]
	v_mov_b32_e32 v59, v55
	s_xor_b64 exec, exec, s[18:19]
	s_cbranch_execz .LBB97_50
; %bb.49:                               ;   in Loop: Header=BB97_2 Depth=1
	ds_read_u8 v59, v56 offset:1
	s_waitcnt lgkmcnt(1)
	v_mov_b32_e32 v58, v54
.LBB97_50:                              ;   in Loop: Header=BB97_2 Depth=1
	s_or_b64 exec, exec, s[18:19]
	v_add_u32_e32 v60, 1, v57
	v_cndmask_b32_e64 v54, v54, v55, s[16:17]
	v_add_u32_e32 v55, 1, v56
	v_cndmask_b32_e64 v60, v60, v57, s[16:17]
	v_cndmask_b32_e64 v55, v56, v55, s[16:17]
	;; [unrolled: 1-line block ×5, first 2 shown]
	v_cmp_ge_i32_e64 s[14:15], v60, v9
	s_waitcnt lgkmcnt(0)
	v_cmp_lt_u16_sdwa s[16:17], v59, v58 src0_sel:BYTE_0 src1_sel:BYTE_0
	v_cndmask_b32_e64 v48, v48, v49, s[12:13]
	v_cndmask_b32_e64 v46, v46, v47, s[12:13]
	v_cmp_lt_i32_e64 s[12:13], v55, v10
	s_or_b64 s[14:15], s[14:15], s[16:17]
	s_and_b64 s[12:13], s[12:13], s[14:15]
	v_cndmask_b32_e64 v49, v60, v55, s[12:13]
	s_barrier
	ds_write_b8 v1, v42
	ds_write_b8 v1, v44 offset:1
	ds_write_b8 v1, v45 offset:2
	ds_write_b8 v1, v43 offset:3
	s_waitcnt lgkmcnt(0)
	s_barrier
	ds_read_u8 v42, v46
	ds_read_u8 v43, v49
	;; [unrolled: 1-line block ×4, first 2 shown]
	v_cndmask_b32_e64 v47, v58, v59, s[12:13]
	s_waitcnt lgkmcnt(0)
	s_barrier
	ds_write_b8 v1, v48
	ds_write_b8 v1, v50 offset:1
	ds_write_b8 v1, v54 offset:2
	;; [unrolled: 1-line block ×3, first 2 shown]
	v_mov_b32_e32 v47, v29
	s_waitcnt lgkmcnt(0)
	s_barrier
	s_and_saveexec_b64 s[14:15], s[4:5]
	s_cbranch_execz .LBB97_54
; %bb.51:                               ;   in Loop: Header=BB97_2 Depth=1
	s_mov_b64 s[16:17], 0
	v_mov_b32_e32 v47, v29
	v_mov_b32_e32 v46, v30
.LBB97_52:                              ;   Parent Loop BB97_2 Depth=1
                                        ; =>  This Inner Loop Header: Depth=2
	v_sub_u32_e32 v48, v46, v47
	v_lshrrev_b32_e32 v48, 1, v48
	v_add_u32_e32 v48, v48, v47
	v_add_u32_e32 v49, v11, v48
	v_xad_u32 v50, v48, -1, v31
	ds_read_u8 v49, v49
	ds_read_u8 v50, v50
	v_add_u32_e32 v51, 1, v48
	s_waitcnt lgkmcnt(0)
	v_cmp_lt_u16_e64 s[12:13], v50, v49
	v_cndmask_b32_e64 v46, v46, v48, s[12:13]
	v_cndmask_b32_e64 v47, v51, v47, s[12:13]
	v_cmp_ge_i32_e64 s[12:13], v47, v46
	s_or_b64 s[16:17], s[12:13], s[16:17]
	s_andn2_b64 exec, exec, s[16:17]
	s_cbranch_execnz .LBB97_52
; %bb.53:                               ;   in Loop: Header=BB97_2 Depth=1
	s_or_b64 exec, exec, s[16:17]
.LBB97_54:                              ;   in Loop: Header=BB97_2 Depth=1
	s_or_b64 exec, exec, s[14:15]
	v_add_u32_e32 v46, v47, v11
	v_sub_u32_e32 v47, v31, v47
	ds_read_u8 v48, v46
	ds_read_u8 v49, v47
	v_cmp_le_i32_e64 s[14:15], v12, v46
	v_cmp_gt_i32_e64 s[12:13], v13, v47
                                        ; implicit-def: $vgpr50
	s_waitcnt lgkmcnt(0)
	v_cmp_lt_u16_sdwa s[16:17], v49, v48 src0_sel:BYTE_0 src1_sel:BYTE_0
	s_or_b64 s[14:15], s[14:15], s[16:17]
	s_and_b64 s[12:13], s[12:13], s[14:15]
	s_xor_b64 s[14:15], s[12:13], -1
	s_and_saveexec_b64 s[16:17], s[14:15]
	s_xor_b64 s[14:15], exec, s[16:17]
; %bb.55:                               ;   in Loop: Header=BB97_2 Depth=1
	ds_read_u8 v50, v46 offset:1
; %bb.56:                               ;   in Loop: Header=BB97_2 Depth=1
	s_or_saveexec_b64 s[14:15], s[14:15]
	v_mov_b32_e32 v51, v49
	s_xor_b64 exec, exec, s[14:15]
	s_cbranch_execz .LBB97_58
; %bb.57:                               ;   in Loop: Header=BB97_2 Depth=1
	ds_read_u8 v51, v47 offset:1
	s_waitcnt lgkmcnt(1)
	v_mov_b32_e32 v50, v48
.LBB97_58:                              ;   in Loop: Header=BB97_2 Depth=1
	s_or_b64 exec, exec, s[14:15]
	v_add_u32_e32 v53, 1, v46
	v_add_u32_e32 v52, 1, v47
	v_cndmask_b32_e64 v53, v53, v46, s[12:13]
	v_cndmask_b32_e64 v52, v47, v52, s[12:13]
	v_cmp_ge_i32_e64 s[16:17], v53, v12
	s_waitcnt lgkmcnt(0)
	v_cmp_lt_u16_sdwa s[18:19], v51, v50 src0_sel:BYTE_0 src1_sel:BYTE_0
	v_cmp_lt_i32_e64 s[14:15], v52, v13
	s_or_b64 s[16:17], s[16:17], s[18:19]
	s_and_b64 s[14:15], s[14:15], s[16:17]
	s_xor_b64 s[16:17], s[14:15], -1
                                        ; implicit-def: $vgpr54
	s_and_saveexec_b64 s[18:19], s[16:17]
	s_xor_b64 s[16:17], exec, s[18:19]
; %bb.59:                               ;   in Loop: Header=BB97_2 Depth=1
	ds_read_u8 v54, v53 offset:1
; %bb.60:                               ;   in Loop: Header=BB97_2 Depth=1
	s_or_saveexec_b64 s[16:17], s[16:17]
	v_mov_b32_e32 v55, v51
	s_xor_b64 exec, exec, s[16:17]
	s_cbranch_execz .LBB97_62
; %bb.61:                               ;   in Loop: Header=BB97_2 Depth=1
	ds_read_u8 v55, v52 offset:1
	s_waitcnt lgkmcnt(1)
	v_mov_b32_e32 v54, v50
.LBB97_62:                              ;   in Loop: Header=BB97_2 Depth=1
	s_or_b64 exec, exec, s[16:17]
	v_add_u32_e32 v57, 1, v53
	v_add_u32_e32 v56, 1, v52
	v_cndmask_b32_e64 v57, v57, v53, s[14:15]
	v_cndmask_b32_e64 v56, v52, v56, s[14:15]
	v_cmp_ge_i32_e64 s[18:19], v57, v12
	s_waitcnt lgkmcnt(0)
	v_cmp_lt_u16_sdwa s[20:21], v55, v54 src0_sel:BYTE_0 src1_sel:BYTE_0
	v_cmp_lt_i32_e64 s[16:17], v56, v13
	s_or_b64 s[18:19], s[18:19], s[20:21]
	s_and_b64 s[16:17], s[16:17], s[18:19]
	s_xor_b64 s[18:19], s[16:17], -1
                                        ; implicit-def: $vgpr58
	s_and_saveexec_b64 s[20:21], s[18:19]
	s_xor_b64 s[18:19], exec, s[20:21]
; %bb.63:                               ;   in Loop: Header=BB97_2 Depth=1
	ds_read_u8 v58, v57 offset:1
; %bb.64:                               ;   in Loop: Header=BB97_2 Depth=1
	s_or_saveexec_b64 s[18:19], s[18:19]
	v_mov_b32_e32 v59, v55
	s_xor_b64 exec, exec, s[18:19]
	s_cbranch_execz .LBB97_66
; %bb.65:                               ;   in Loop: Header=BB97_2 Depth=1
	ds_read_u8 v59, v56 offset:1
	s_waitcnt lgkmcnt(1)
	v_mov_b32_e32 v58, v54
.LBB97_66:                              ;   in Loop: Header=BB97_2 Depth=1
	s_or_b64 exec, exec, s[18:19]
	v_add_u32_e32 v60, 1, v57
	v_cndmask_b32_e64 v54, v54, v55, s[16:17]
	v_add_u32_e32 v55, 1, v56
	v_cndmask_b32_e64 v60, v60, v57, s[16:17]
	v_cndmask_b32_e64 v55, v56, v55, s[16:17]
	;; [unrolled: 1-line block ×5, first 2 shown]
	v_cmp_ge_i32_e64 s[14:15], v60, v12
	s_waitcnt lgkmcnt(0)
	v_cmp_lt_u16_sdwa s[16:17], v59, v58 src0_sel:BYTE_0 src1_sel:BYTE_0
	v_cndmask_b32_e64 v48, v48, v49, s[12:13]
	v_cndmask_b32_e64 v46, v46, v47, s[12:13]
	v_cmp_lt_i32_e64 s[12:13], v55, v13
	s_or_b64 s[14:15], s[14:15], s[16:17]
	s_and_b64 s[12:13], s[12:13], s[14:15]
	v_cndmask_b32_e64 v49, v60, v55, s[12:13]
	s_barrier
	ds_write_b8 v1, v42
	ds_write_b8 v1, v44 offset:1
	ds_write_b8 v1, v45 offset:2
	;; [unrolled: 1-line block ×3, first 2 shown]
	s_waitcnt lgkmcnt(0)
	s_barrier
	ds_read_u8 v42, v46
	ds_read_u8 v43, v49
	ds_read_u8 v44, v51
	ds_read_u8 v45, v56
	v_cndmask_b32_e64 v47, v58, v59, s[12:13]
	s_waitcnt lgkmcnt(0)
	s_barrier
	ds_write_b8 v1, v48
	ds_write_b8 v1, v50 offset:1
	ds_write_b8 v1, v54 offset:2
	;; [unrolled: 1-line block ×3, first 2 shown]
	v_mov_b32_e32 v47, v32
	s_waitcnt lgkmcnt(0)
	s_barrier
	s_and_saveexec_b64 s[14:15], s[6:7]
	s_cbranch_execz .LBB97_70
; %bb.67:                               ;   in Loop: Header=BB97_2 Depth=1
	s_mov_b64 s[16:17], 0
	v_mov_b32_e32 v47, v32
	v_mov_b32_e32 v46, v33
.LBB97_68:                              ;   Parent Loop BB97_2 Depth=1
                                        ; =>  This Inner Loop Header: Depth=2
	v_sub_u32_e32 v48, v46, v47
	v_lshrrev_b32_e32 v48, 1, v48
	v_add_u32_e32 v48, v48, v47
	v_add_u32_e32 v49, v14, v48
	v_xad_u32 v50, v48, -1, v34
	ds_read_u8 v49, v49
	ds_read_u8 v50, v50
	v_add_u32_e32 v51, 1, v48
	s_waitcnt lgkmcnt(0)
	v_cmp_lt_u16_e64 s[12:13], v50, v49
	v_cndmask_b32_e64 v46, v46, v48, s[12:13]
	v_cndmask_b32_e64 v47, v51, v47, s[12:13]
	v_cmp_ge_i32_e64 s[12:13], v47, v46
	s_or_b64 s[16:17], s[12:13], s[16:17]
	s_andn2_b64 exec, exec, s[16:17]
	s_cbranch_execnz .LBB97_68
; %bb.69:                               ;   in Loop: Header=BB97_2 Depth=1
	s_or_b64 exec, exec, s[16:17]
.LBB97_70:                              ;   in Loop: Header=BB97_2 Depth=1
	s_or_b64 exec, exec, s[14:15]
	v_add_u32_e32 v46, v47, v14
	v_sub_u32_e32 v47, v34, v47
	ds_read_u8 v48, v46
	ds_read_u8 v49, v47
	v_cmp_le_i32_e64 s[14:15], v15, v46
	v_cmp_gt_i32_e64 s[12:13], v16, v47
                                        ; implicit-def: $vgpr50
	s_waitcnt lgkmcnt(0)
	v_cmp_lt_u16_sdwa s[16:17], v49, v48 src0_sel:BYTE_0 src1_sel:BYTE_0
	s_or_b64 s[14:15], s[14:15], s[16:17]
	s_and_b64 s[12:13], s[12:13], s[14:15]
	s_xor_b64 s[14:15], s[12:13], -1
	s_and_saveexec_b64 s[16:17], s[14:15]
	s_xor_b64 s[14:15], exec, s[16:17]
; %bb.71:                               ;   in Loop: Header=BB97_2 Depth=1
	ds_read_u8 v50, v46 offset:1
; %bb.72:                               ;   in Loop: Header=BB97_2 Depth=1
	s_or_saveexec_b64 s[14:15], s[14:15]
	v_mov_b32_e32 v51, v49
	s_xor_b64 exec, exec, s[14:15]
	s_cbranch_execz .LBB97_74
; %bb.73:                               ;   in Loop: Header=BB97_2 Depth=1
	ds_read_u8 v51, v47 offset:1
	s_waitcnt lgkmcnt(1)
	v_mov_b32_e32 v50, v48
.LBB97_74:                              ;   in Loop: Header=BB97_2 Depth=1
	s_or_b64 exec, exec, s[14:15]
	v_add_u32_e32 v53, 1, v46
	v_add_u32_e32 v52, 1, v47
	v_cndmask_b32_e64 v53, v53, v46, s[12:13]
	v_cndmask_b32_e64 v52, v47, v52, s[12:13]
	v_cmp_ge_i32_e64 s[16:17], v53, v15
	s_waitcnt lgkmcnt(0)
	v_cmp_lt_u16_sdwa s[18:19], v51, v50 src0_sel:BYTE_0 src1_sel:BYTE_0
	v_cmp_lt_i32_e64 s[14:15], v52, v16
	s_or_b64 s[16:17], s[16:17], s[18:19]
	s_and_b64 s[14:15], s[14:15], s[16:17]
	s_xor_b64 s[16:17], s[14:15], -1
                                        ; implicit-def: $vgpr54
	s_and_saveexec_b64 s[18:19], s[16:17]
	s_xor_b64 s[16:17], exec, s[18:19]
; %bb.75:                               ;   in Loop: Header=BB97_2 Depth=1
	ds_read_u8 v54, v53 offset:1
; %bb.76:                               ;   in Loop: Header=BB97_2 Depth=1
	s_or_saveexec_b64 s[16:17], s[16:17]
	v_mov_b32_e32 v55, v51
	s_xor_b64 exec, exec, s[16:17]
	s_cbranch_execz .LBB97_78
; %bb.77:                               ;   in Loop: Header=BB97_2 Depth=1
	ds_read_u8 v55, v52 offset:1
	s_waitcnt lgkmcnt(1)
	v_mov_b32_e32 v54, v50
.LBB97_78:                              ;   in Loop: Header=BB97_2 Depth=1
	s_or_b64 exec, exec, s[16:17]
	v_add_u32_e32 v57, 1, v53
	v_add_u32_e32 v56, 1, v52
	v_cndmask_b32_e64 v57, v57, v53, s[14:15]
	v_cndmask_b32_e64 v56, v52, v56, s[14:15]
	v_cmp_ge_i32_e64 s[18:19], v57, v15
	s_waitcnt lgkmcnt(0)
	v_cmp_lt_u16_sdwa s[20:21], v55, v54 src0_sel:BYTE_0 src1_sel:BYTE_0
	v_cmp_lt_i32_e64 s[16:17], v56, v16
	s_or_b64 s[18:19], s[18:19], s[20:21]
	s_and_b64 s[16:17], s[16:17], s[18:19]
	s_xor_b64 s[18:19], s[16:17], -1
                                        ; implicit-def: $vgpr58
	s_and_saveexec_b64 s[20:21], s[18:19]
	s_xor_b64 s[18:19], exec, s[20:21]
; %bb.79:                               ;   in Loop: Header=BB97_2 Depth=1
	ds_read_u8 v58, v57 offset:1
; %bb.80:                               ;   in Loop: Header=BB97_2 Depth=1
	s_or_saveexec_b64 s[18:19], s[18:19]
	v_mov_b32_e32 v59, v55
	s_xor_b64 exec, exec, s[18:19]
	s_cbranch_execz .LBB97_82
; %bb.81:                               ;   in Loop: Header=BB97_2 Depth=1
	ds_read_u8 v59, v56 offset:1
	s_waitcnt lgkmcnt(1)
	v_mov_b32_e32 v58, v54
.LBB97_82:                              ;   in Loop: Header=BB97_2 Depth=1
	s_or_b64 exec, exec, s[18:19]
	v_add_u32_e32 v60, 1, v57
	v_cndmask_b32_e64 v54, v54, v55, s[16:17]
	v_add_u32_e32 v55, 1, v56
	v_cndmask_b32_e64 v60, v60, v57, s[16:17]
	v_cndmask_b32_e64 v55, v56, v55, s[16:17]
	;; [unrolled: 1-line block ×5, first 2 shown]
	v_cmp_ge_i32_e64 s[14:15], v60, v15
	s_waitcnt lgkmcnt(0)
	v_cmp_lt_u16_sdwa s[16:17], v59, v58 src0_sel:BYTE_0 src1_sel:BYTE_0
	v_cndmask_b32_e64 v48, v48, v49, s[12:13]
	v_cndmask_b32_e64 v46, v46, v47, s[12:13]
	v_cmp_lt_i32_e64 s[12:13], v55, v16
	s_or_b64 s[14:15], s[14:15], s[16:17]
	s_and_b64 s[12:13], s[12:13], s[14:15]
	v_cndmask_b32_e64 v49, v60, v55, s[12:13]
	s_barrier
	ds_write_b8 v1, v42
	ds_write_b8 v1, v44 offset:1
	ds_write_b8 v1, v45 offset:2
	;; [unrolled: 1-line block ×3, first 2 shown]
	s_waitcnt lgkmcnt(0)
	s_barrier
	ds_read_u8 v42, v46
	ds_read_u8 v43, v49
	;; [unrolled: 1-line block ×4, first 2 shown]
	v_cndmask_b32_e64 v47, v58, v59, s[12:13]
	s_waitcnt lgkmcnt(0)
	s_barrier
	ds_write_b8 v1, v48
	ds_write_b8 v1, v50 offset:1
	ds_write_b8 v1, v54 offset:2
	;; [unrolled: 1-line block ×3, first 2 shown]
	v_mov_b32_e32 v47, v35
	s_waitcnt lgkmcnt(0)
	s_barrier
	s_and_saveexec_b64 s[14:15], s[8:9]
	s_cbranch_execz .LBB97_86
; %bb.83:                               ;   in Loop: Header=BB97_2 Depth=1
	s_mov_b64 s[16:17], 0
	v_mov_b32_e32 v47, v35
	v_mov_b32_e32 v46, v36
.LBB97_84:                              ;   Parent Loop BB97_2 Depth=1
                                        ; =>  This Inner Loop Header: Depth=2
	v_sub_u32_e32 v48, v46, v47
	v_lshrrev_b32_e32 v48, 1, v48
	v_add_u32_e32 v48, v48, v47
	v_add_u32_e32 v49, v17, v48
	v_xad_u32 v50, v48, -1, v37
	ds_read_u8 v49, v49
	ds_read_u8 v50, v50
	v_add_u32_e32 v51, 1, v48
	s_waitcnt lgkmcnt(0)
	v_cmp_lt_u16_e64 s[12:13], v50, v49
	v_cndmask_b32_e64 v46, v46, v48, s[12:13]
	v_cndmask_b32_e64 v47, v51, v47, s[12:13]
	v_cmp_ge_i32_e64 s[12:13], v47, v46
	s_or_b64 s[16:17], s[12:13], s[16:17]
	s_andn2_b64 exec, exec, s[16:17]
	s_cbranch_execnz .LBB97_84
; %bb.85:                               ;   in Loop: Header=BB97_2 Depth=1
	s_or_b64 exec, exec, s[16:17]
.LBB97_86:                              ;   in Loop: Header=BB97_2 Depth=1
	s_or_b64 exec, exec, s[14:15]
	v_add_u32_e32 v46, v47, v17
	v_sub_u32_e32 v47, v37, v47
	ds_read_u8 v48, v46
	ds_read_u8 v49, v47
	v_cmp_le_i32_e64 s[14:15], v18, v46
	v_cmp_gt_i32_e64 s[12:13], v19, v47
                                        ; implicit-def: $vgpr50
	s_waitcnt lgkmcnt(0)
	v_cmp_lt_u16_sdwa s[16:17], v49, v48 src0_sel:BYTE_0 src1_sel:BYTE_0
	s_or_b64 s[14:15], s[14:15], s[16:17]
	s_and_b64 s[12:13], s[12:13], s[14:15]
	s_xor_b64 s[14:15], s[12:13], -1
	s_and_saveexec_b64 s[16:17], s[14:15]
	s_xor_b64 s[14:15], exec, s[16:17]
; %bb.87:                               ;   in Loop: Header=BB97_2 Depth=1
	ds_read_u8 v50, v46 offset:1
; %bb.88:                               ;   in Loop: Header=BB97_2 Depth=1
	s_or_saveexec_b64 s[14:15], s[14:15]
	v_mov_b32_e32 v51, v49
	s_xor_b64 exec, exec, s[14:15]
	s_cbranch_execz .LBB97_90
; %bb.89:                               ;   in Loop: Header=BB97_2 Depth=1
	ds_read_u8 v51, v47 offset:1
	s_waitcnt lgkmcnt(1)
	v_mov_b32_e32 v50, v48
.LBB97_90:                              ;   in Loop: Header=BB97_2 Depth=1
	s_or_b64 exec, exec, s[14:15]
	v_add_u32_e32 v53, 1, v46
	v_add_u32_e32 v52, 1, v47
	v_cndmask_b32_e64 v53, v53, v46, s[12:13]
	v_cndmask_b32_e64 v52, v47, v52, s[12:13]
	v_cmp_ge_i32_e64 s[16:17], v53, v18
	s_waitcnt lgkmcnt(0)
	v_cmp_lt_u16_sdwa s[18:19], v51, v50 src0_sel:BYTE_0 src1_sel:BYTE_0
	v_cmp_lt_i32_e64 s[14:15], v52, v19
	s_or_b64 s[16:17], s[16:17], s[18:19]
	s_and_b64 s[14:15], s[14:15], s[16:17]
	s_xor_b64 s[16:17], s[14:15], -1
                                        ; implicit-def: $vgpr54
	s_and_saveexec_b64 s[18:19], s[16:17]
	s_xor_b64 s[16:17], exec, s[18:19]
; %bb.91:                               ;   in Loop: Header=BB97_2 Depth=1
	ds_read_u8 v54, v53 offset:1
; %bb.92:                               ;   in Loop: Header=BB97_2 Depth=1
	s_or_saveexec_b64 s[16:17], s[16:17]
	v_mov_b32_e32 v55, v51
	s_xor_b64 exec, exec, s[16:17]
	s_cbranch_execz .LBB97_94
; %bb.93:                               ;   in Loop: Header=BB97_2 Depth=1
	ds_read_u8 v55, v52 offset:1
	s_waitcnt lgkmcnt(1)
	v_mov_b32_e32 v54, v50
.LBB97_94:                              ;   in Loop: Header=BB97_2 Depth=1
	s_or_b64 exec, exec, s[16:17]
	v_add_u32_e32 v57, 1, v53
	v_add_u32_e32 v56, 1, v52
	v_cndmask_b32_e64 v57, v57, v53, s[14:15]
	v_cndmask_b32_e64 v56, v52, v56, s[14:15]
	v_cmp_ge_i32_e64 s[18:19], v57, v18
	s_waitcnt lgkmcnt(0)
	v_cmp_lt_u16_sdwa s[20:21], v55, v54 src0_sel:BYTE_0 src1_sel:BYTE_0
	v_cmp_lt_i32_e64 s[16:17], v56, v19
	s_or_b64 s[18:19], s[18:19], s[20:21]
	s_and_b64 s[16:17], s[16:17], s[18:19]
	s_xor_b64 s[18:19], s[16:17], -1
                                        ; implicit-def: $vgpr58
	s_and_saveexec_b64 s[20:21], s[18:19]
	s_xor_b64 s[18:19], exec, s[20:21]
; %bb.95:                               ;   in Loop: Header=BB97_2 Depth=1
	ds_read_u8 v58, v57 offset:1
; %bb.96:                               ;   in Loop: Header=BB97_2 Depth=1
	s_or_saveexec_b64 s[18:19], s[18:19]
	v_mov_b32_e32 v59, v55
	s_xor_b64 exec, exec, s[18:19]
	s_cbranch_execz .LBB97_98
; %bb.97:                               ;   in Loop: Header=BB97_2 Depth=1
	ds_read_u8 v59, v56 offset:1
	s_waitcnt lgkmcnt(1)
	v_mov_b32_e32 v58, v54
.LBB97_98:                              ;   in Loop: Header=BB97_2 Depth=1
	s_or_b64 exec, exec, s[18:19]
	v_add_u32_e32 v60, 1, v57
	v_cndmask_b32_e64 v54, v54, v55, s[16:17]
	v_add_u32_e32 v55, 1, v56
	v_cndmask_b32_e64 v60, v60, v57, s[16:17]
	v_cndmask_b32_e64 v55, v56, v55, s[16:17]
	;; [unrolled: 1-line block ×5, first 2 shown]
	v_cmp_ge_i32_e64 s[14:15], v60, v18
	s_waitcnt lgkmcnt(0)
	v_cmp_lt_u16_sdwa s[16:17], v59, v58 src0_sel:BYTE_0 src1_sel:BYTE_0
	v_cndmask_b32_e64 v48, v48, v49, s[12:13]
	v_cndmask_b32_e64 v46, v46, v47, s[12:13]
	v_cmp_lt_i32_e64 s[12:13], v55, v19
	s_or_b64 s[14:15], s[14:15], s[16:17]
	s_and_b64 s[12:13], s[12:13], s[14:15]
	v_cndmask_b32_e64 v49, v60, v55, s[12:13]
	s_barrier
	ds_write_b8 v1, v42
	ds_write_b8 v1, v44 offset:1
	ds_write_b8 v1, v45 offset:2
	;; [unrolled: 1-line block ×3, first 2 shown]
	s_waitcnt lgkmcnt(0)
	s_barrier
	ds_read_u8 v42, v46
	ds_read_u8 v43, v49
	;; [unrolled: 1-line block ×4, first 2 shown]
	v_mov_b32_e32 v46, v39
	v_cndmask_b32_e64 v47, v58, v59, s[12:13]
	s_waitcnt lgkmcnt(0)
	s_barrier
	ds_write_b8 v1, v48
	ds_write_b8 v1, v50 offset:1
	ds_write_b8 v1, v54 offset:2
	;; [unrolled: 1-line block ×3, first 2 shown]
	s_waitcnt lgkmcnt(0)
	s_barrier
	s_and_saveexec_b64 s[14:15], s[10:11]
	s_cbranch_execz .LBB97_102
; %bb.99:                               ;   in Loop: Header=BB97_2 Depth=1
	s_mov_b64 s[16:17], 0
	v_mov_b32_e32 v46, v39
	v_mov_b32_e32 v47, v40
.LBB97_100:                             ;   Parent Loop BB97_2 Depth=1
                                        ; =>  This Inner Loop Header: Depth=2
	v_sub_u32_e32 v48, v47, v46
	v_lshrrev_b32_e32 v48, 1, v48
	v_add_u32_e32 v48, v48, v46
	v_xad_u32 v49, v48, -1, v41
	ds_read_u8 v50, v48
	ds_read_u8 v49, v49
	v_add_u32_e32 v51, 1, v48
	s_waitcnt lgkmcnt(0)
	v_cmp_lt_u16_e64 s[12:13], v49, v50
	v_cndmask_b32_e64 v47, v47, v48, s[12:13]
	v_cndmask_b32_e64 v46, v51, v46, s[12:13]
	v_cmp_ge_i32_e64 s[12:13], v46, v47
	s_or_b64 s[16:17], s[12:13], s[16:17]
	s_andn2_b64 exec, exec, s[16:17]
	s_cbranch_execnz .LBB97_100
; %bb.101:                              ;   in Loop: Header=BB97_2 Depth=1
	s_or_b64 exec, exec, s[16:17]
.LBB97_102:                             ;   in Loop: Header=BB97_2 Depth=1
	s_or_b64 exec, exec, s[14:15]
	v_sub_u32_e32 v49, v41, v46
	ds_read_u8 v47, v46
	ds_read_u8 v51, v49
	v_cmp_le_i32_e64 s[14:15], v38, v46
	v_cmp_gt_i32_e64 s[12:13], s43, v49
                                        ; implicit-def: $vgpr48
	s_waitcnt lgkmcnt(0)
	v_cmp_lt_u16_sdwa s[16:17], v51, v47 src0_sel:BYTE_0 src1_sel:BYTE_0
	s_or_b64 s[14:15], s[14:15], s[16:17]
	s_and_b64 s[12:13], s[12:13], s[14:15]
	s_xor_b64 s[14:15], s[12:13], -1
	s_and_saveexec_b64 s[16:17], s[14:15]
	s_xor_b64 s[14:15], exec, s[16:17]
; %bb.103:                              ;   in Loop: Header=BB97_2 Depth=1
	ds_read_u8 v48, v46 offset:1
; %bb.104:                              ;   in Loop: Header=BB97_2 Depth=1
	s_or_saveexec_b64 s[14:15], s[14:15]
	v_mov_b32_e32 v50, v51
	s_xor_b64 exec, exec, s[14:15]
	s_cbranch_execz .LBB97_106
; %bb.105:                              ;   in Loop: Header=BB97_2 Depth=1
	ds_read_u8 v50, v49 offset:1
	s_waitcnt lgkmcnt(1)
	v_mov_b32_e32 v48, v47
.LBB97_106:                             ;   in Loop: Header=BB97_2 Depth=1
	s_or_b64 exec, exec, s[14:15]
	v_add_u32_e32 v53, 1, v46
	v_add_u32_e32 v52, 1, v49
	v_cndmask_b32_e64 v55, v53, v46, s[12:13]
	v_cndmask_b32_e64 v54, v49, v52, s[12:13]
	v_cmp_ge_i32_e64 s[16:17], v55, v38
	s_waitcnt lgkmcnt(0)
	v_cmp_lt_u16_sdwa s[18:19], v50, v48 src0_sel:BYTE_0 src1_sel:BYTE_0
	v_cmp_gt_i32_e64 s[14:15], s43, v54
	s_or_b64 s[16:17], s[16:17], s[18:19]
	s_and_b64 s[14:15], s[14:15], s[16:17]
	s_xor_b64 s[16:17], s[14:15], -1
                                        ; implicit-def: $vgpr52
	s_and_saveexec_b64 s[18:19], s[16:17]
	s_xor_b64 s[16:17], exec, s[18:19]
; %bb.107:                              ;   in Loop: Header=BB97_2 Depth=1
	ds_read_u8 v52, v55 offset:1
; %bb.108:                              ;   in Loop: Header=BB97_2 Depth=1
	s_or_saveexec_b64 s[16:17], s[16:17]
	v_mov_b32_e32 v53, v50
	s_xor_b64 exec, exec, s[16:17]
	s_cbranch_execz .LBB97_110
; %bb.109:                              ;   in Loop: Header=BB97_2 Depth=1
	ds_read_u8 v53, v54 offset:1
	s_waitcnt lgkmcnt(1)
	v_mov_b32_e32 v52, v48
.LBB97_110:                             ;   in Loop: Header=BB97_2 Depth=1
	s_or_b64 exec, exec, s[16:17]
	v_add_u32_e32 v57, 1, v55
	v_add_u32_e32 v56, 1, v54
	v_cndmask_b32_e64 v60, v57, v55, s[14:15]
	v_cndmask_b32_e64 v56, v54, v56, s[14:15]
	v_cmp_ge_i32_e64 s[18:19], v60, v38
	s_waitcnt lgkmcnt(0)
	v_cmp_lt_u16_sdwa s[20:21], v53, v52 src0_sel:BYTE_0 src1_sel:BYTE_0
	v_cmp_gt_i32_e64 s[16:17], s43, v56
	s_or_b64 s[18:19], s[18:19], s[20:21]
	s_and_b64 s[16:17], s[16:17], s[18:19]
	s_xor_b64 s[18:19], s[16:17], -1
                                        ; implicit-def: $vgpr59
                                        ; implicit-def: $vgpr58
	s_and_saveexec_b64 s[20:21], s[18:19]
	s_xor_b64 s[18:19], exec, s[20:21]
; %bb.111:                              ;   in Loop: Header=BB97_2 Depth=1
	ds_read_u8 v59, v60 offset:1
	v_add_u32_e32 v58, 1, v60
; %bb.112:                              ;   in Loop: Header=BB97_2 Depth=1
	s_or_saveexec_b64 s[18:19], s[18:19]
	v_mov_b32_e32 v57, v60
	v_mov_b32_e32 v61, v53
	s_xor_b64 exec, exec, s[18:19]
	s_cbranch_execz .LBB97_1
; %bb.113:                              ;   in Loop: Header=BB97_2 Depth=1
	ds_read_u8 v61, v56 offset:1
	s_waitcnt lgkmcnt(1)
	v_add_u32_e32 v59, 1, v56
	v_mov_b32_e32 v57, v56
	v_mov_b32_e32 v58, v60
	;; [unrolled: 1-line block ×4, first 2 shown]
	s_branch .LBB97_1
.LBB97_114:
	s_add_u32 s0, s38, s33
	s_addc_u32 s1, s39, 0
	v_mov_b32_e32 v1, s1
	v_add_co_u32_e32 v0, vcc, s0, v0
	s_waitcnt lgkmcnt(3)
	v_add_u16_e32 v2, v47, v42
	v_addc_co_u32_e32 v1, vcc, 0, v1, vcc
	s_waitcnt lgkmcnt(0)
	v_add_u16_e32 v3, v48, v43
	v_add_u16_e32 v4, v49, v44
	;; [unrolled: 1-line block ×3, first 2 shown]
	global_store_byte v[0:1], v2, off
	global_store_byte v[0:1], v3, off offset:128
	global_store_byte v[0:1], v4, off offset:256
	;; [unrolled: 1-line block ×3, first 2 shown]
	s_endpgm
	.section	.rodata,"a",@progbits
	.p2align	6, 0x0
	.amdhsa_kernel _Z17sort_pairs_kernelIhLj128ELj4EN10test_utils4lessELj10EEvPKT_PS2_T2_
		.amdhsa_group_segment_fixed_size 513
		.amdhsa_private_segment_fixed_size 0
		.amdhsa_kernarg_size 20
		.amdhsa_user_sgpr_count 6
		.amdhsa_user_sgpr_private_segment_buffer 1
		.amdhsa_user_sgpr_dispatch_ptr 0
		.amdhsa_user_sgpr_queue_ptr 0
		.amdhsa_user_sgpr_kernarg_segment_ptr 1
		.amdhsa_user_sgpr_dispatch_id 0
		.amdhsa_user_sgpr_flat_scratch_init 0
		.amdhsa_user_sgpr_private_segment_size 0
		.amdhsa_uses_dynamic_stack 0
		.amdhsa_system_sgpr_private_segment_wavefront_offset 0
		.amdhsa_system_sgpr_workgroup_id_x 1
		.amdhsa_system_sgpr_workgroup_id_y 0
		.amdhsa_system_sgpr_workgroup_id_z 0
		.amdhsa_system_sgpr_workgroup_info 0
		.amdhsa_system_vgpr_workitem_id 0
		.amdhsa_next_free_vgpr 62
		.amdhsa_next_free_sgpr 46
		.amdhsa_reserve_vcc 1
		.amdhsa_reserve_flat_scratch 0
		.amdhsa_float_round_mode_32 0
		.amdhsa_float_round_mode_16_64 0
		.amdhsa_float_denorm_mode_32 3
		.amdhsa_float_denorm_mode_16_64 3
		.amdhsa_dx10_clamp 1
		.amdhsa_ieee_mode 1
		.amdhsa_fp16_overflow 0
		.amdhsa_exception_fp_ieee_invalid_op 0
		.amdhsa_exception_fp_denorm_src 0
		.amdhsa_exception_fp_ieee_div_zero 0
		.amdhsa_exception_fp_ieee_overflow 0
		.amdhsa_exception_fp_ieee_underflow 0
		.amdhsa_exception_fp_ieee_inexact 0
		.amdhsa_exception_int_div_zero 0
	.end_amdhsa_kernel
	.section	.text._Z17sort_pairs_kernelIhLj128ELj4EN10test_utils4lessELj10EEvPKT_PS2_T2_,"axG",@progbits,_Z17sort_pairs_kernelIhLj128ELj4EN10test_utils4lessELj10EEvPKT_PS2_T2_,comdat
.Lfunc_end97:
	.size	_Z17sort_pairs_kernelIhLj128ELj4EN10test_utils4lessELj10EEvPKT_PS2_T2_, .Lfunc_end97-_Z17sort_pairs_kernelIhLj128ELj4EN10test_utils4lessELj10EEvPKT_PS2_T2_
                                        ; -- End function
	.set _Z17sort_pairs_kernelIhLj128ELj4EN10test_utils4lessELj10EEvPKT_PS2_T2_.num_vgpr, 62
	.set _Z17sort_pairs_kernelIhLj128ELj4EN10test_utils4lessELj10EEvPKT_PS2_T2_.num_agpr, 0
	.set _Z17sort_pairs_kernelIhLj128ELj4EN10test_utils4lessELj10EEvPKT_PS2_T2_.numbered_sgpr, 46
	.set _Z17sort_pairs_kernelIhLj128ELj4EN10test_utils4lessELj10EEvPKT_PS2_T2_.num_named_barrier, 0
	.set _Z17sort_pairs_kernelIhLj128ELj4EN10test_utils4lessELj10EEvPKT_PS2_T2_.private_seg_size, 0
	.set _Z17sort_pairs_kernelIhLj128ELj4EN10test_utils4lessELj10EEvPKT_PS2_T2_.uses_vcc, 1
	.set _Z17sort_pairs_kernelIhLj128ELj4EN10test_utils4lessELj10EEvPKT_PS2_T2_.uses_flat_scratch, 0
	.set _Z17sort_pairs_kernelIhLj128ELj4EN10test_utils4lessELj10EEvPKT_PS2_T2_.has_dyn_sized_stack, 0
	.set _Z17sort_pairs_kernelIhLj128ELj4EN10test_utils4lessELj10EEvPKT_PS2_T2_.has_recursion, 0
	.set _Z17sort_pairs_kernelIhLj128ELj4EN10test_utils4lessELj10EEvPKT_PS2_T2_.has_indirect_call, 0
	.section	.AMDGPU.csdata,"",@progbits
; Kernel info:
; codeLenInByte = 6116
; TotalNumSgprs: 50
; NumVgprs: 62
; ScratchSize: 0
; MemoryBound: 0
; FloatMode: 240
; IeeeMode: 1
; LDSByteSize: 513 bytes/workgroup (compile time only)
; SGPRBlocks: 6
; VGPRBlocks: 15
; NumSGPRsForWavesPerEU: 50
; NumVGPRsForWavesPerEU: 62
; Occupancy: 4
; WaveLimiterHint : 1
; COMPUTE_PGM_RSRC2:SCRATCH_EN: 0
; COMPUTE_PGM_RSRC2:USER_SGPR: 6
; COMPUTE_PGM_RSRC2:TRAP_HANDLER: 0
; COMPUTE_PGM_RSRC2:TGID_X_EN: 1
; COMPUTE_PGM_RSRC2:TGID_Y_EN: 0
; COMPUTE_PGM_RSRC2:TGID_Z_EN: 0
; COMPUTE_PGM_RSRC2:TIDIG_COMP_CNT: 0
	.section	.text._Z16sort_keys_kernelIhLj128ELj8EN10test_utils4lessELj10EEvPKT_PS2_T2_,"axG",@progbits,_Z16sort_keys_kernelIhLj128ELj8EN10test_utils4lessELj10EEvPKT_PS2_T2_,comdat
	.protected	_Z16sort_keys_kernelIhLj128ELj8EN10test_utils4lessELj10EEvPKT_PS2_T2_ ; -- Begin function _Z16sort_keys_kernelIhLj128ELj8EN10test_utils4lessELj10EEvPKT_PS2_T2_
	.globl	_Z16sort_keys_kernelIhLj128ELj8EN10test_utils4lessELj10EEvPKT_PS2_T2_
	.p2align	8
	.type	_Z16sort_keys_kernelIhLj128ELj8EN10test_utils4lessELj10EEvPKT_PS2_T2_,@function
_Z16sort_keys_kernelIhLj128ELj8EN10test_utils4lessELj10EEvPKT_PS2_T2_: ; @_Z16sort_keys_kernelIhLj128ELj8EN10test_utils4lessELj10EEvPKT_PS2_T2_
; %bb.0:
	s_load_dwordx4 s[28:31], s[4:5], 0x0
	s_lshl_b32 s33, s6, 10
	v_lshlrev_b32_e32 v1, 3, v0
	v_and_b32_e32 v2, 0x3f0, v1
	v_and_b32_e32 v3, 0x3e0, v1
	s_waitcnt lgkmcnt(0)
	s_add_u32 s0, s28, s33
	s_addc_u32 s1, s29, 0
	global_load_ubyte v35, v0, s[0:1] offset:128
	global_load_ubyte v36, v0, s[0:1] offset:256
	;; [unrolled: 1-line block ×5, first 2 shown]
	global_load_ubyte v40, v0, s[0:1]
	global_load_ubyte v41, v0, s[0:1] offset:512
	global_load_ubyte v42, v0, s[0:1] offset:768
	v_or_b32_e32 v8, 8, v2
	v_add_u32_e32 v9, 16, v2
	v_and_b32_e32 v30, 8, v1
	v_and_b32_e32 v4, 0x3c0, v1
	v_or_b32_e32 v10, 16, v3
	v_add_u32_e32 v11, 32, v3
	v_sub_u32_e32 v43, v9, v8
	v_and_b32_e32 v31, 24, v1
	v_and_b32_e32 v5, 0x380, v1
	v_or_b32_e32 v12, 32, v4
	v_add_u32_e32 v13, 64, v4
	v_sub_u32_e32 v45, v11, v10
	v_sub_u32_e32 v25, v8, v2
	;; [unrolled: 1-line block ×3, first 2 shown]
	v_cmp_ge_i32_e32 vcc, v30, v43
	v_and_b32_e32 v32, 56, v1
	v_and_b32_e32 v6, 0x300, v1
	v_or_b32_e32 v14, 64, v5
	v_add_u32_e32 v15, 0x80, v5
	v_sub_u32_e32 v46, v13, v12
	v_add_u32_e32 v20, v8, v30
	v_sub_u32_e32 v26, v10, v3
	v_sub_u32_e32 v51, v31, v45
	v_min_i32_e32 v25, v30, v25
	v_cndmask_b32_e32 v30, 0, v50, vcc
	v_cmp_ge_i32_e32 vcc, v31, v45
	v_and_b32_e32 v33, 0x78, v1
	v_and_b32_e32 v7, 0x200, v1
	v_or_b32_e32 v16, 0x80, v6
	v_add_u32_e32 v17, 0x100, v6
	v_sub_u32_e32 v47, v15, v14
	v_add_u32_e32 v21, v10, v31
	v_sub_u32_e32 v27, v12, v4
	v_sub_u32_e32 v52, v32, v46
	v_min_i32_e32 v26, v31, v26
	v_cndmask_b32_e32 v31, 0, v51, vcc
	v_cmp_ge_i32_e32 vcc, v32, v46
	s_mov_b32 s10, 0xc0c0004
	v_and_b32_e32 v34, 0xf8, v1
	v_or_b32_e32 v18, 0x100, v7
	v_add_u32_e32 v19, 0x200, v7
	v_sub_u32_e32 v48, v17, v16
	v_add_u32_e32 v22, v12, v32
	v_sub_u32_e32 v28, v14, v5
	v_sub_u32_e32 v53, v33, v47
	v_min_i32_e32 v27, v32, v27
	v_cndmask_b32_e32 v32, 0, v52, vcc
	v_cmp_ge_i32_e32 vcc, v33, v47
	v_and_b32_e32 v44, 0x1f8, v1
	v_sub_u32_e32 v49, v19, v18
	v_add_u32_e32 v23, v14, v33
	v_sub_u32_e32 v29, v16, v6
	v_sub_u32_e32 v54, v34, v48
	v_min_i32_e32 v28, v33, v28
	v_cndmask_b32_e32 v33, 0, v53, vcc
	v_cmp_ge_i32_e32 vcc, v34, v48
	v_add_u32_e32 v24, v16, v34
	v_sub_u32_e32 v55, v44, v49
	v_min_i32_e32 v29, v34, v29
	v_cndmask_b32_e32 v34, 0, v54, vcc
	v_cmp_ge_i32_e32 vcc, v44, v49
	s_mov_b32 s28, 0
	v_cmp_lt_i32_e64 s[0:1], v30, v25
	v_cmp_lt_i32_e64 s[2:3], v31, v26
	;; [unrolled: 1-line block ×5, first 2 shown]
	s_mov_b32 s29, 0x7060405
	s_movk_i32 s34, 0xff
	s_mov_b32 s35, 0xc0c0001
	s_mov_b32 s36, 0xffff
	;; [unrolled: 1-line block ×3, first 2 shown]
	s_movk_i32 s38, 0xff00
	s_mov_b32 s39, 0xffff0000
	s_movk_i32 s40, 0x400
	s_waitcnt vmcnt(3)
	v_perm_b32 v36, v36, v39, s10
	s_waitcnt vmcnt(2)
	v_perm_b32 v35, v40, v35, s10
	;; [unrolled: 2-line block ×4, first 2 shown]
	v_lshl_or_b32 v43, v36, 16, v35
	v_lshl_or_b32 v42, v37, 16, v38
	v_sub_u32_e32 v36, v18, v7
	v_mov_b32_e32 v38, 0x200
	v_cndmask_b32_e32 v35, 0, v55, vcc
	v_min_i32_e32 v36, v44, v36
	v_sub_u32_e64 v39, v1, v38 clamp
	v_min_i32_e32 v40, 0x200, v1
	v_cmp_lt_i32_e64 s[10:11], v35, v36
	v_add_u32_e32 v37, v18, v44
	v_cmp_lt_i32_e64 s[12:13], v39, v40
	v_add_u32_e32 v41, 0x200, v1
	s_branch .LBB98_2
.LBB98_1:                               ;   in Loop: Header=BB98_2 Depth=1
	s_or_b64 exec, exec, s[26:27]
	v_cndmask_b32_e64 v44, v44, v45, s[14:15]
	v_cndmask_b32_e64 v45, v46, v47, s[16:17]
	v_cmp_ge_i32_e64 s[14:15], v58, v38
	s_waitcnt lgkmcnt(0)
	v_cmp_lt_u16_sdwa s[16:17], v60, v57 src0_sel:BYTE_0 src1_sel:BYTE_0
	v_cndmask_b32_e32 v59, v42, v43, vcc
	v_cndmask_b32_e64 v46, v48, v49, s[18:19]
	v_cmp_gt_i32_e32 vcc, s40, v56
	s_or_b64 s[14:15], s[14:15], s[16:17]
	s_and_b64 vcc, vcc, s[14:15]
	v_lshlrev_b16_e32 v42, 8, v44
	v_lshlrev_b16_e32 v43, 8, v46
	v_cndmask_b32_e64 v47, v50, v51, s[20:21]
	v_cndmask_b32_e64 v48, v52, v53, s[22:23]
	v_cndmask_b32_e32 v50, v57, v60, vcc
	v_or_b32_sdwa v42, v59, v42 dst_sel:DWORD dst_unused:UNUSED_PAD src0_sel:BYTE_0 src1_sel:DWORD
	v_or_b32_sdwa v43, v45, v43 dst_sel:WORD_1 dst_unused:UNUSED_PAD src0_sel:BYTE_0 src1_sel:DWORD
	v_cndmask_b32_e64 v49, v54, v55, s[24:25]
	v_or_b32_sdwa v43, v42, v43 dst_sel:DWORD dst_unused:UNUSED_PAD src0_sel:WORD_0 src1_sel:DWORD
	v_lshlrev_b16_e32 v42, 8, v48
	v_lshlrev_b16_e32 v51, 8, v50
	s_add_i32 s28, s28, 1
	v_or_b32_sdwa v42, v47, v42 dst_sel:DWORD dst_unused:UNUSED_PAD src0_sel:BYTE_0 src1_sel:DWORD
	v_or_b32_sdwa v51, v49, v51 dst_sel:WORD_1 dst_unused:UNUSED_PAD src0_sel:BYTE_0 src1_sel:DWORD
	s_cmp_eq_u32 s28, 10
	v_or_b32_sdwa v42, v42, v51 dst_sel:DWORD dst_unused:UNUSED_PAD src0_sel:WORD_0 src1_sel:DWORD
	s_cbranch_scc1 .LBB98_226
.LBB98_2:                               ; =>This Loop Header: Depth=1
                                        ;     Child Loop BB98_4 Depth 2
                                        ;     Child Loop BB98_36 Depth 2
	;; [unrolled: 1-line block ×7, first 2 shown]
	v_lshrrev_b32_e32 v45, 8, v43
	v_perm_b32 v44, v43, v43, s29
	v_cmp_lt_u16_sdwa vcc, v45, v43 src0_sel:BYTE_0 src1_sel:BYTE_0
	v_cndmask_b32_e32 v44, v43, v44, vcc
	v_lshrrev_b32_e32 v46, 16, v44
	v_perm_b32 v47, 0, v46, s35
	v_min_u16_sdwa v48, v45, v43 dst_sel:DWORD dst_unused:UNUSED_PAD src0_sel:BYTE_0 src1_sel:BYTE_0
	v_max_u16_sdwa v43, v45, v43 dst_sel:DWORD dst_unused:UNUSED_PAD src0_sel:BYTE_0 src1_sel:BYTE_0
	v_lshlrev_b32_e32 v45, 16, v47
	v_and_or_b32 v45, v44, s36, v45
	v_cmp_lt_u16_sdwa vcc, v44, v46 src0_sel:BYTE_3 src1_sel:BYTE_0
	v_cndmask_b32_e32 v45, v44, v45, vcc
	v_max_u16_sdwa v49, v44, v46 dst_sel:DWORD dst_unused:UNUSED_PAD src0_sel:BYTE_3 src1_sel:BYTE_0
	v_min_u16_sdwa v44, v44, v46 dst_sel:DWORD dst_unused:UNUSED_PAD src0_sel:BYTE_3 src1_sel:BYTE_0
	v_lshrrev_b32_e32 v46, 8, v42
	v_perm_b32 v47, v42, v42, s29
	v_cmp_lt_u16_sdwa vcc, v46, v42 src0_sel:BYTE_0 src1_sel:BYTE_0
	v_cndmask_b32_e32 v47, v42, v47, vcc
	v_max_u16_sdwa v50, v46, v42 dst_sel:DWORD dst_unused:UNUSED_PAD src0_sel:BYTE_0 src1_sel:BYTE_0
	v_min_u16_sdwa v42, v46, v42 dst_sel:DWORD dst_unused:UNUSED_PAD src0_sel:BYTE_0 src1_sel:BYTE_0
	v_and_b32_sdwa v46, v47, s34 dst_sel:DWORD dst_unused:UNUSED_PAD src0_sel:WORD_1 src1_sel:DWORD
	v_perm_b32 v51, v47, v47, s37
	v_cmp_lt_u16_sdwa vcc, v47, v46 src0_sel:BYTE_3 src1_sel:DWORD
	v_and_b32_sdwa v52, v45, s38 dst_sel:DWORD dst_unused:UNUSED_PAD src0_sel:WORD_1 src1_sel:DWORD
	v_cndmask_b32_e32 v51, v47, v51, vcc
	v_max_u16_sdwa v53, v47, v46 dst_sel:DWORD dst_unused:UNUSED_PAD src0_sel:BYTE_3 src1_sel:DWORD
	v_min_u16_sdwa v46, v47, v46 dst_sel:DWORD dst_unused:UNUSED_PAD src0_sel:BYTE_3 src1_sel:DWORD
	v_lshlrev_b16_e32 v47, 8, v44
	v_or_b32_sdwa v52, v43, v52 dst_sel:WORD_1 dst_unused:UNUSED_PAD src0_sel:DWORD src1_sel:DWORD
	v_or_b32_sdwa v47, v45, v47 dst_sel:DWORD dst_unused:UNUSED_PAD src0_sel:BYTE_0 src1_sel:DWORD
	v_or_b32_sdwa v47, v47, v52 dst_sel:DWORD dst_unused:UNUSED_PAD src0_sel:WORD_0 src1_sel:DWORD
	v_cmp_lt_u16_e32 vcc, v44, v43
	v_cndmask_b32_e32 v45, v45, v47, vcc
	v_and_b32_e32 v52, 0xffffff00, v51
	v_and_b32_sdwa v47, v45, s34 dst_sel:DWORD dst_unused:UNUSED_PAD src0_sel:WORD_1 src1_sel:DWORD
	v_or_b32_e32 v52, v49, v52
	v_lshlrev_b16_e32 v55, 8, v42
	v_and_b32_e32 v52, 0xffff, v52
	v_or_b32_sdwa v47, v47, v55 dst_sel:WORD_1 dst_unused:UNUSED_PAD src0_sel:DWORD src1_sel:DWORD
	v_and_or_b32 v52, v51, s39, v52
	v_and_or_b32 v47, v45, s36, v47
	v_cmp_lt_u16_e32 vcc, v42, v49
	v_cndmask_b32_e32 v45, v45, v47, vcc
	v_cndmask_b32_e32 v47, v51, v52, vcc
	v_and_b32_sdwa v51, v47, s38 dst_sel:DWORD dst_unused:UNUSED_PAD src0_sel:WORD_1 src1_sel:DWORD
	v_max_u16_e32 v52, v42, v49
	v_min_u16_e32 v42, v42, v49
	v_lshlrev_b16_e32 v49, 8, v46
	v_or_b32_sdwa v51, v50, v51 dst_sel:WORD_1 dst_unused:UNUSED_PAD src0_sel:DWORD src1_sel:DWORD
	v_or_b32_sdwa v49, v47, v49 dst_sel:DWORD dst_unused:UNUSED_PAD src0_sel:BYTE_0 src1_sel:DWORD
	v_max_u16_e32 v54, v44, v43
	v_min_u16_e32 v43, v44, v43
	v_or_b32_sdwa v49, v49, v51 dst_sel:DWORD dst_unused:UNUSED_PAD src0_sel:WORD_0 src1_sel:DWORD
	v_lshlrev_b16_e32 v51, 8, v48
	v_or_b32_e32 v51, v43, v51
	v_and_b32_e32 v51, 0xffff, v51
	v_cmp_lt_u16_e32 vcc, v46, v50
	v_and_or_b32 v51, v45, s39, v51
	v_cndmask_b32_e32 v47, v47, v49, vcc
	v_cmp_lt_u16_e32 vcc, v44, v48
	v_cndmask_b32_e32 v44, v45, v51, vcc
	v_cndmask_b32_e32 v45, v48, v43, vcc
	;; [unrolled: 1-line block ×3, first 2 shown]
	v_lshlrev_b16_e32 v48, 8, v54
	v_or_b32_sdwa v48, v42, v48 dst_sel:WORD_1 dst_unused:UNUSED_PAD src0_sel:DWORD src1_sel:DWORD
	v_and_or_b32 v48, v44, s36, v48
	v_cmp_lt_u16_e32 vcc, v42, v54
	v_max_u16_e32 v49, v46, v50
	v_min_u16_e32 v46, v46, v50
	v_cndmask_b32_e32 v44, v44, v48, vcc
	v_lshlrev_b16_e32 v48, 8, v52
	v_or_b32_e32 v48, v46, v48
	v_and_b32_e32 v48, 0xffff, v48
	v_and_or_b32 v48, v47, s39, v48
	v_cmp_lt_u16_e32 vcc, v46, v52
	v_cndmask_b32_e32 v47, v47, v48, vcc
	v_max_u16_e32 v48, v46, v52
	v_min_u16_e32 v46, v46, v52
	v_lshlrev_b16_e32 v52, 8, v49
	v_or_b32_sdwa v52, v53, v52 dst_sel:WORD_1 dst_unused:UNUSED_PAD src0_sel:DWORD src1_sel:DWORD
	v_max_u16_e32 v51, v42, v54
	v_min_u16_e32 v42, v42, v54
	v_and_or_b32 v52, v47, s36, v52
	v_cmp_gt_u16_e32 vcc, v50, v53
	v_and_b32_sdwa v54, v44, s38 dst_sel:DWORD dst_unused:UNUSED_PAD src0_sel:WORD_1 src1_sel:DWORD
	v_cndmask_b32_e32 v47, v47, v52, vcc
	v_lshlrev_b16_e32 v52, 8, v42
	v_or_b32_sdwa v54, v43, v54 dst_sel:WORD_1 dst_unused:UNUSED_PAD src0_sel:DWORD src1_sel:DWORD
	v_or_b32_sdwa v52, v44, v52 dst_sel:DWORD dst_unused:UNUSED_PAD src0_sel:BYTE_0 src1_sel:DWORD
	v_cndmask_b32_e32 v50, v53, v49, vcc
	v_cndmask_b32_e32 v49, v49, v53, vcc
	v_or_b32_sdwa v52, v52, v54 dst_sel:DWORD dst_unused:UNUSED_PAD src0_sel:WORD_0 src1_sel:DWORD
	v_cmp_lt_u16_e32 vcc, v42, v43
	v_cndmask_b32_e32 v44, v44, v52, vcc
	v_and_b32_e32 v53, 0xffffff00, v47
	v_and_b32_sdwa v52, v44, s34 dst_sel:DWORD dst_unused:UNUSED_PAD src0_sel:WORD_1 src1_sel:DWORD
	v_or_b32_e32 v53, v51, v53
	v_max_u16_e32 v54, v42, v43
	v_min_u16_e32 v42, v42, v43
	v_lshlrev_b16_e32 v43, 8, v46
	v_and_b32_e32 v53, 0xffff, v53
	v_or_b32_sdwa v43, v52, v43 dst_sel:WORD_1 dst_unused:UNUSED_PAD src0_sel:DWORD src1_sel:DWORD
	v_and_or_b32 v53, v47, s39, v53
	v_and_or_b32 v43, v44, s36, v43
	v_cmp_lt_u16_e32 vcc, v46, v51
	v_cndmask_b32_e32 v43, v44, v43, vcc
	v_cndmask_b32_e32 v44, v47, v53, vcc
	v_and_b32_sdwa v47, v44, s38 dst_sel:DWORD dst_unused:UNUSED_PAD src0_sel:WORD_1 src1_sel:DWORD
	v_max_u16_e32 v52, v46, v51
	v_min_u16_e32 v46, v46, v51
	v_lshlrev_b16_e32 v51, 8, v49
	v_or_b32_sdwa v47, v48, v47 dst_sel:WORD_1 dst_unused:UNUSED_PAD src0_sel:DWORD src1_sel:DWORD
	v_or_b32_sdwa v51, v44, v51 dst_sel:DWORD dst_unused:UNUSED_PAD src0_sel:BYTE_0 src1_sel:DWORD
	v_or_b32_sdwa v47, v51, v47 dst_sel:DWORD dst_unused:UNUSED_PAD src0_sel:WORD_0 src1_sel:DWORD
	v_lshlrev_b16_e32 v51, 8, v45
	v_or_b32_e32 v51, v42, v51
	v_and_b32_e32 v51, 0xffff, v51
	v_cmp_lt_u16_e32 vcc, v49, v48
	v_and_or_b32 v51, v43, s39, v51
	v_cndmask_b32_e32 v44, v44, v47, vcc
	v_max_u16_e32 v47, v49, v48
	v_min_u16_e32 v48, v49, v48
	v_cmp_lt_u16_e32 vcc, v42, v45
	v_min_u16_e32 v49, v42, v45
	v_max_u16_e32 v42, v42, v45
	v_lshlrev_b16_e32 v45, 8, v54
	v_cndmask_b32_e32 v43, v43, v51, vcc
	v_or_b32_sdwa v45, v46, v45 dst_sel:WORD_1 dst_unused:UNUSED_PAD src0_sel:DWORD src1_sel:DWORD
	v_and_or_b32 v45, v43, s36, v45
	v_cmp_lt_u16_e32 vcc, v46, v54
	v_cndmask_b32_e32 v43, v43, v45, vcc
	v_lshlrev_b16_e32 v45, 8, v52
	v_or_b32_e32 v45, v48, v45
	v_and_b32_e32 v45, 0xffff, v45
	v_and_or_b32 v45, v44, s39, v45
	v_cmp_lt_u16_e32 vcc, v48, v52
	v_cndmask_b32_e32 v44, v44, v45, vcc
	v_max_u16_e32 v45, v48, v52
	v_min_u16_e32 v48, v48, v52
	v_lshlrev_b16_e32 v52, 8, v47
	v_or_b32_sdwa v52, v50, v52 dst_sel:WORD_1 dst_unused:UNUSED_PAD src0_sel:DWORD src1_sel:DWORD
	v_max_u16_e32 v51, v46, v54
	v_min_u16_e32 v46, v46, v54
	v_and_or_b32 v52, v44, s36, v52
	v_cmp_lt_u16_e32 vcc, v50, v47
	v_and_b32_sdwa v53, v43, s38 dst_sel:DWORD dst_unused:UNUSED_PAD src0_sel:WORD_1 src1_sel:DWORD
	v_cndmask_b32_e32 v44, v44, v52, vcc
	v_max_u16_e32 v52, v50, v47
	v_min_u16_e32 v47, v50, v47
	v_lshlrev_b16_e32 v50, 8, v46
	v_or_b32_sdwa v53, v42, v53 dst_sel:WORD_1 dst_unused:UNUSED_PAD src0_sel:DWORD src1_sel:DWORD
	v_or_b32_sdwa v50, v43, v50 dst_sel:DWORD dst_unused:UNUSED_PAD src0_sel:BYTE_0 src1_sel:DWORD
	v_or_b32_sdwa v50, v50, v53 dst_sel:DWORD dst_unused:UNUSED_PAD src0_sel:WORD_0 src1_sel:DWORD
	v_cmp_lt_u16_e32 vcc, v46, v42
	v_and_b32_e32 v53, 0xffffff00, v44
	v_cndmask_b32_e32 v43, v43, v50, vcc
	v_or_b32_e32 v53, v51, v53
	v_and_b32_sdwa v50, v43, s34 dst_sel:DWORD dst_unused:UNUSED_PAD src0_sel:WORD_1 src1_sel:DWORD
	v_and_b32_e32 v53, 0xffff, v53
	v_lshlrev_b16_e32 v55, 8, v48
	v_and_or_b32 v53, v44, s39, v53
	v_or_b32_sdwa v50, v50, v55 dst_sel:WORD_1 dst_unused:UNUSED_PAD src0_sel:DWORD src1_sel:DWORD
	v_cmp_lt_u16_e32 vcc, v48, v51
	v_and_or_b32 v50, v43, s36, v50
	v_cndmask_b32_e32 v44, v44, v53, vcc
	v_cndmask_b32_e32 v43, v43, v50, vcc
	v_and_b32_sdwa v50, v44, s38 dst_sel:DWORD dst_unused:UNUSED_PAD src0_sel:WORD_1 src1_sel:DWORD
	v_max_u16_e32 v53, v48, v51
	v_min_u16_e32 v48, v48, v51
	v_lshlrev_b16_e32 v51, 8, v47
	v_or_b32_sdwa v50, v45, v50 dst_sel:WORD_1 dst_unused:UNUSED_PAD src0_sel:DWORD src1_sel:DWORD
	v_or_b32_sdwa v51, v44, v51 dst_sel:DWORD dst_unused:UNUSED_PAD src0_sel:BYTE_0 src1_sel:DWORD
	v_max_u16_e32 v54, v46, v42
	v_min_u16_e32 v42, v46, v42
	v_or_b32_sdwa v50, v51, v50 dst_sel:DWORD dst_unused:UNUSED_PAD src0_sel:WORD_0 src1_sel:DWORD
	v_lshlrev_b16_e32 v51, 8, v49
	v_or_b32_e32 v51, v42, v51
	v_and_b32_e32 v51, 0xffff, v51
	v_cmp_lt_u16_e32 vcc, v47, v45
	v_and_or_b32 v51, v43, s39, v51
	v_cndmask_b32_e32 v44, v44, v50, vcc
	v_cmp_lt_u16_e32 vcc, v46, v49
	v_lshlrev_b16_e32 v46, 8, v54
	v_cndmask_b32_e32 v43, v43, v51, vcc
	v_or_b32_sdwa v46, v48, v46 dst_sel:WORD_1 dst_unused:UNUSED_PAD src0_sel:DWORD src1_sel:DWORD
	v_cndmask_b32_e32 v42, v42, v49, vcc
	v_and_or_b32 v46, v43, s36, v46
	v_cmp_lt_u16_e32 vcc, v48, v54
	v_max_u16_e32 v50, v47, v45
	v_min_u16_e32 v47, v47, v45
	v_cndmask_b32_e32 v43, v43, v46, vcc
	v_lshlrev_b16_e32 v46, 8, v53
	v_or_b32_e32 v46, v47, v46
	v_and_b32_e32 v46, 0xffff, v46
	v_and_or_b32 v46, v44, s39, v46
	v_cmp_lt_u16_e32 vcc, v47, v53
	v_max_u16_e32 v49, v48, v54
	v_min_u16_e32 v48, v48, v54
	v_cndmask_b32_e32 v44, v44, v46, vcc
	v_lshlrev_b16_e32 v51, 8, v50
	v_cmp_gt_u16_e32 vcc, v45, v52
	v_max_u16_e32 v46, v47, v53
	v_min_u16_e32 v47, v47, v53
	v_or_b32_sdwa v51, v52, v51 dst_sel:WORD_1 dst_unused:UNUSED_PAD src0_sel:DWORD src1_sel:DWORD
	v_and_b32_sdwa v53, v43, s38 dst_sel:DWORD dst_unused:UNUSED_PAD src0_sel:WORD_1 src1_sel:DWORD
	v_cndmask_b32_e32 v45, v50, v52, vcc
	v_lshlrev_b16_e32 v50, 8, v48
	v_and_or_b32 v51, v44, s36, v51
	v_or_b32_sdwa v53, v42, v53 dst_sel:WORD_1 dst_unused:UNUSED_PAD src0_sel:DWORD src1_sel:DWORD
	v_or_b32_sdwa v50, v43, v50 dst_sel:DWORD dst_unused:UNUSED_PAD src0_sel:BYTE_0 src1_sel:DWORD
	v_cndmask_b32_e32 v44, v44, v51, vcc
	v_or_b32_sdwa v50, v50, v53 dst_sel:DWORD dst_unused:UNUSED_PAD src0_sel:WORD_0 src1_sel:DWORD
	v_cmp_lt_u16_e32 vcc, v48, v42
	v_cndmask_b32_e32 v42, v43, v50, vcc
	v_and_b32_e32 v48, 0xffffff00, v44
	v_and_b32_sdwa v43, v42, s34 dst_sel:DWORD dst_unused:UNUSED_PAD src0_sel:WORD_1 src1_sel:DWORD
	v_or_b32_e32 v48, v49, v48
	v_lshlrev_b16_e32 v50, 8, v47
	v_and_b32_e32 v48, 0xffff, v48
	v_or_b32_sdwa v43, v43, v50 dst_sel:WORD_1 dst_unused:UNUSED_PAD src0_sel:DWORD src1_sel:DWORD
	v_and_or_b32 v48, v44, s39, v48
	v_and_or_b32 v43, v42, s36, v43
	v_cmp_lt_u16_e32 vcc, v47, v49
	v_cndmask_b32_e32 v42, v42, v43, vcc
	v_cndmask_b32_e32 v43, v44, v48, vcc
	v_and_b32_sdwa v44, v43, s38 dst_sel:DWORD dst_unused:UNUSED_PAD src0_sel:WORD_1 src1_sel:DWORD
	v_lshlrev_b16_e32 v47, 8, v45
	v_or_b32_sdwa v44, v46, v44 dst_sel:WORD_1 dst_unused:UNUSED_PAD src0_sel:DWORD src1_sel:DWORD
	v_or_b32_sdwa v47, v43, v47 dst_sel:DWORD dst_unused:UNUSED_PAD src0_sel:BYTE_0 src1_sel:DWORD
	v_or_b32_sdwa v44, v47, v44 dst_sel:DWORD dst_unused:UNUSED_PAD src0_sel:WORD_0 src1_sel:DWORD
	v_cmp_lt_u16_e32 vcc, v45, v46
	v_cndmask_b32_e32 v43, v43, v44, vcc
	s_barrier
	ds_write_b64 v1, v[42:43]
	v_mov_b32_e32 v42, v30
	s_waitcnt lgkmcnt(0)
	s_barrier
	s_and_saveexec_b64 s[14:15], s[0:1]
	s_cbranch_execz .LBB98_6
; %bb.3:                                ;   in Loop: Header=BB98_2 Depth=1
	s_mov_b64 s[16:17], 0
	v_mov_b32_e32 v42, v30
	v_mov_b32_e32 v43, v25
.LBB98_4:                               ;   Parent Loop BB98_2 Depth=1
                                        ; =>  This Inner Loop Header: Depth=2
	v_sub_u32_e32 v44, v43, v42
	v_lshrrev_b32_e32 v44, 1, v44
	v_add_u32_e32 v44, v44, v42
	v_add_u32_e32 v45, v2, v44
	v_xad_u32 v46, v44, -1, v20
	ds_read_u8 v45, v45
	ds_read_u8 v46, v46
	v_add_u32_e32 v47, 1, v44
	s_waitcnt lgkmcnt(0)
	v_cmp_lt_u16_e32 vcc, v46, v45
	v_cndmask_b32_e32 v43, v43, v44, vcc
	v_cndmask_b32_e32 v42, v47, v42, vcc
	v_cmp_ge_i32_e32 vcc, v42, v43
	s_or_b64 s[16:17], vcc, s[16:17]
	s_andn2_b64 exec, exec, s[16:17]
	s_cbranch_execnz .LBB98_4
; %bb.5:                                ;   in Loop: Header=BB98_2 Depth=1
	s_or_b64 exec, exec, s[16:17]
.LBB98_6:                               ;   in Loop: Header=BB98_2 Depth=1
	s_or_b64 exec, exec, s[14:15]
	v_add_u32_e32 v46, v42, v2
	v_sub_u32_e32 v47, v20, v42
	ds_read_u8 v42, v46
	ds_read_u8 v43, v47
	v_cmp_le_i32_e64 s[14:15], v8, v46
	v_cmp_gt_i32_e32 vcc, v9, v47
                                        ; implicit-def: $vgpr44
	s_waitcnt lgkmcnt(0)
	v_cmp_lt_u16_sdwa s[16:17], v43, v42 src0_sel:BYTE_0 src1_sel:BYTE_0
	s_or_b64 s[14:15], s[14:15], s[16:17]
	s_and_b64 s[14:15], vcc, s[14:15]
	s_xor_b64 s[16:17], s[14:15], -1
	s_and_saveexec_b64 s[18:19], s[16:17]
	s_xor_b64 s[16:17], exec, s[18:19]
; %bb.7:                                ;   in Loop: Header=BB98_2 Depth=1
	ds_read_u8 v44, v46 offset:1
; %bb.8:                                ;   in Loop: Header=BB98_2 Depth=1
	s_or_saveexec_b64 s[16:17], s[16:17]
	v_mov_b32_e32 v45, v43
	s_xor_b64 exec, exec, s[16:17]
	s_cbranch_execz .LBB98_10
; %bb.9:                                ;   in Loop: Header=BB98_2 Depth=1
	ds_read_u8 v45, v47 offset:1
	s_waitcnt lgkmcnt(1)
	v_mov_b32_e32 v44, v42
.LBB98_10:                              ;   in Loop: Header=BB98_2 Depth=1
	s_or_b64 exec, exec, s[16:17]
	v_add_u32_e32 v49, 1, v46
	v_add_u32_e32 v48, 1, v47
	v_cndmask_b32_e64 v49, v49, v46, s[14:15]
	v_cndmask_b32_e64 v48, v47, v48, s[14:15]
	v_cmp_ge_i32_e64 s[16:17], v49, v8
	s_waitcnt lgkmcnt(0)
	v_cmp_lt_u16_sdwa s[18:19], v45, v44 src0_sel:BYTE_0 src1_sel:BYTE_0
	v_cmp_lt_i32_e32 vcc, v48, v9
	s_or_b64 s[16:17], s[16:17], s[18:19]
	s_and_b64 s[16:17], vcc, s[16:17]
	s_xor_b64 s[18:19], s[16:17], -1
                                        ; implicit-def: $vgpr46
	s_and_saveexec_b64 s[20:21], s[18:19]
	s_xor_b64 s[18:19], exec, s[20:21]
; %bb.11:                               ;   in Loop: Header=BB98_2 Depth=1
	ds_read_u8 v46, v49 offset:1
; %bb.12:                               ;   in Loop: Header=BB98_2 Depth=1
	s_or_saveexec_b64 s[18:19], s[18:19]
	v_mov_b32_e32 v47, v45
	s_xor_b64 exec, exec, s[18:19]
	s_cbranch_execz .LBB98_14
; %bb.13:                               ;   in Loop: Header=BB98_2 Depth=1
	ds_read_u8 v47, v48 offset:1
	s_waitcnt lgkmcnt(1)
	v_mov_b32_e32 v46, v44
.LBB98_14:                              ;   in Loop: Header=BB98_2 Depth=1
	s_or_b64 exec, exec, s[18:19]
	v_add_u32_e32 v51, 1, v49
	v_add_u32_e32 v50, 1, v48
	v_cndmask_b32_e64 v51, v51, v49, s[16:17]
	v_cndmask_b32_e64 v50, v48, v50, s[16:17]
	v_cmp_ge_i32_e64 s[18:19], v51, v8
	s_waitcnt lgkmcnt(0)
	v_cmp_lt_u16_sdwa s[20:21], v47, v46 src0_sel:BYTE_0 src1_sel:BYTE_0
	v_cmp_lt_i32_e32 vcc, v50, v9
	s_or_b64 s[18:19], s[18:19], s[20:21]
	s_and_b64 s[18:19], vcc, s[18:19]
	s_xor_b64 s[20:21], s[18:19], -1
                                        ; implicit-def: $vgpr48
	s_and_saveexec_b64 s[22:23], s[20:21]
	s_xor_b64 s[20:21], exec, s[22:23]
; %bb.15:                               ;   in Loop: Header=BB98_2 Depth=1
	ds_read_u8 v48, v51 offset:1
; %bb.16:                               ;   in Loop: Header=BB98_2 Depth=1
	s_or_saveexec_b64 s[20:21], s[20:21]
	v_mov_b32_e32 v49, v47
	s_xor_b64 exec, exec, s[20:21]
	s_cbranch_execz .LBB98_18
; %bb.17:                               ;   in Loop: Header=BB98_2 Depth=1
	ds_read_u8 v49, v50 offset:1
	s_waitcnt lgkmcnt(1)
	v_mov_b32_e32 v48, v46
.LBB98_18:                              ;   in Loop: Header=BB98_2 Depth=1
	s_or_b64 exec, exec, s[20:21]
	v_add_u32_e32 v53, 1, v51
	v_add_u32_e32 v52, 1, v50
	v_cndmask_b32_e64 v53, v53, v51, s[18:19]
	v_cndmask_b32_e64 v52, v50, v52, s[18:19]
	v_cmp_ge_i32_e64 s[20:21], v53, v8
	s_waitcnt lgkmcnt(0)
	v_cmp_lt_u16_sdwa s[22:23], v49, v48 src0_sel:BYTE_0 src1_sel:BYTE_0
	v_cmp_lt_i32_e32 vcc, v52, v9
	s_or_b64 s[20:21], s[20:21], s[22:23]
	s_and_b64 s[20:21], vcc, s[20:21]
	s_xor_b64 s[22:23], s[20:21], -1
                                        ; implicit-def: $vgpr50
	s_and_saveexec_b64 s[24:25], s[22:23]
	s_xor_b64 s[22:23], exec, s[24:25]
; %bb.19:                               ;   in Loop: Header=BB98_2 Depth=1
	ds_read_u8 v50, v53 offset:1
; %bb.20:                               ;   in Loop: Header=BB98_2 Depth=1
	s_or_saveexec_b64 s[22:23], s[22:23]
	v_mov_b32_e32 v51, v49
	s_xor_b64 exec, exec, s[22:23]
	s_cbranch_execz .LBB98_22
; %bb.21:                               ;   in Loop: Header=BB98_2 Depth=1
	ds_read_u8 v51, v52 offset:1
	s_waitcnt lgkmcnt(1)
	v_mov_b32_e32 v50, v48
.LBB98_22:                              ;   in Loop: Header=BB98_2 Depth=1
	s_or_b64 exec, exec, s[22:23]
	v_add_u32_e32 v55, 1, v53
	v_add_u32_e32 v54, 1, v52
	v_cndmask_b32_e64 v55, v55, v53, s[20:21]
	v_cndmask_b32_e64 v54, v52, v54, s[20:21]
	v_cmp_ge_i32_e64 s[22:23], v55, v8
	s_waitcnt lgkmcnt(0)
	v_cmp_lt_u16_sdwa s[24:25], v51, v50 src0_sel:BYTE_0 src1_sel:BYTE_0
	v_cmp_lt_i32_e32 vcc, v54, v9
	s_or_b64 s[22:23], s[22:23], s[24:25]
	s_and_b64 s[22:23], vcc, s[22:23]
	s_xor_b64 s[24:25], s[22:23], -1
                                        ; implicit-def: $vgpr52
	s_and_saveexec_b64 s[26:27], s[24:25]
	s_xor_b64 s[24:25], exec, s[26:27]
; %bb.23:                               ;   in Loop: Header=BB98_2 Depth=1
	ds_read_u8 v52, v55 offset:1
; %bb.24:                               ;   in Loop: Header=BB98_2 Depth=1
	s_or_saveexec_b64 s[24:25], s[24:25]
	v_mov_b32_e32 v53, v51
	s_xor_b64 exec, exec, s[24:25]
	s_cbranch_execz .LBB98_26
; %bb.25:                               ;   in Loop: Header=BB98_2 Depth=1
	ds_read_u8 v53, v54 offset:1
	s_waitcnt lgkmcnt(1)
	v_mov_b32_e32 v52, v50
.LBB98_26:                              ;   in Loop: Header=BB98_2 Depth=1
	s_or_b64 exec, exec, s[24:25]
	v_add_u32_e32 v57, 1, v55
	v_add_u32_e32 v56, 1, v54
	v_cndmask_b32_e64 v58, v57, v55, s[22:23]
	v_cndmask_b32_e64 v56, v54, v56, s[22:23]
	v_cmp_ge_i32_e64 s[24:25], v58, v8
	s_waitcnt lgkmcnt(0)
	v_cmp_lt_u16_sdwa s[26:27], v53, v52 src0_sel:BYTE_0 src1_sel:BYTE_0
	v_cmp_lt_i32_e32 vcc, v56, v9
	s_or_b64 s[24:25], s[24:25], s[26:27]
	s_and_b64 vcc, vcc, s[24:25]
	s_xor_b64 s[24:25], vcc, -1
                                        ; implicit-def: $vgpr54
	s_and_saveexec_b64 s[26:27], s[24:25]
	s_xor_b64 s[24:25], exec, s[26:27]
; %bb.27:                               ;   in Loop: Header=BB98_2 Depth=1
	ds_read_u8 v54, v58 offset:1
; %bb.28:                               ;   in Loop: Header=BB98_2 Depth=1
	s_or_saveexec_b64 s[24:25], s[24:25]
	v_mov_b32_e32 v55, v53
	s_xor_b64 exec, exec, s[24:25]
	s_cbranch_execz .LBB98_30
; %bb.29:                               ;   in Loop: Header=BB98_2 Depth=1
	ds_read_u8 v55, v56 offset:1
	s_waitcnt lgkmcnt(1)
	v_mov_b32_e32 v54, v52
.LBB98_30:                              ;   in Loop: Header=BB98_2 Depth=1
	s_or_b64 exec, exec, s[24:25]
	v_add_u32_e32 v59, 1, v58
	v_add_u32_e32 v57, 1, v56
	v_cndmask_b32_e32 v58, v59, v58, vcc
	v_cndmask_b32_e32 v57, v56, v57, vcc
	v_cmp_ge_i32_e64 s[26:27], v58, v8
	s_waitcnt lgkmcnt(0)
	v_cmp_lt_u16_sdwa s[42:43], v55, v54 src0_sel:BYTE_0 src1_sel:BYTE_0
	v_cmp_lt_i32_e64 s[24:25], v57, v9
	s_or_b64 s[26:27], s[26:27], s[42:43]
	s_and_b64 s[24:25], s[24:25], s[26:27]
	s_xor_b64 s[26:27], s[24:25], -1
                                        ; implicit-def: $vgpr56
	s_and_saveexec_b64 s[42:43], s[26:27]
	s_xor_b64 s[26:27], exec, s[42:43]
; %bb.31:                               ;   in Loop: Header=BB98_2 Depth=1
	ds_read_u8 v56, v58 offset:1
; %bb.32:                               ;   in Loop: Header=BB98_2 Depth=1
	s_or_saveexec_b64 s[26:27], s[26:27]
	v_mov_b32_e32 v59, v55
	s_xor_b64 exec, exec, s[26:27]
	s_cbranch_execz .LBB98_34
; %bb.33:                               ;   in Loop: Header=BB98_2 Depth=1
	ds_read_u8 v59, v57 offset:1
	s_waitcnt lgkmcnt(1)
	v_mov_b32_e32 v56, v54
.LBB98_34:                              ;   in Loop: Header=BB98_2 Depth=1
	s_or_b64 exec, exec, s[26:27]
	v_cndmask_b32_e64 v54, v54, v55, s[24:25]
	v_add_u32_e32 v55, 1, v57
	v_add_u32_e32 v60, 1, v58
	v_cndmask_b32_e64 v55, v57, v55, s[24:25]
	v_cndmask_b32_e64 v57, v60, v58, s[24:25]
	v_cndmask_b32_sdwa v52, v52, v53, vcc dst_sel:BYTE_1 dst_unused:UNUSED_PAD src0_sel:DWORD src1_sel:DWORD
	s_mov_b64 vcc, s[20:21]
	v_cndmask_b32_e64 v44, v44, v45, s[16:17]
	v_cndmask_b32_e64 v42, v42, v43, s[14:15]
	v_cmp_ge_i32_e64 s[14:15], v57, v8
	s_waitcnt lgkmcnt(0)
	v_cmp_lt_u16_sdwa s[16:17], v59, v56 src0_sel:BYTE_0 src1_sel:BYTE_0
	v_cndmask_b32_sdwa v48, v48, v49, vcc dst_sel:BYTE_1 dst_unused:UNUSED_PAD src0_sel:DWORD src1_sel:DWORD
	v_cmp_lt_i32_e32 vcc, v55, v9
	s_or_b64 s[14:15], s[14:15], s[16:17]
	s_and_b64 vcc, vcc, s[14:15]
	v_cndmask_b32_e64 v46, v46, v47, s[18:19]
	v_cndmask_b32_e32 v43, v56, v59, vcc
	v_lshlrev_b16_e32 v44, 8, v44
	v_cndmask_b32_e64 v50, v50, v51, s[22:23]
	v_or_b32_sdwa v42, v42, v44 dst_sel:DWORD dst_unused:UNUSED_PAD src0_sel:BYTE_0 src1_sel:DWORD
	v_or_b32_sdwa v44, v46, v48 dst_sel:WORD_1 dst_unused:UNUSED_PAD src0_sel:BYTE_0 src1_sel:DWORD
	v_lshlrev_b16_e32 v43, 8, v43
	v_or_b32_sdwa v42, v42, v44 dst_sel:DWORD dst_unused:UNUSED_PAD src0_sel:WORD_0 src1_sel:DWORD
	v_or_b32_sdwa v44, v50, v52 dst_sel:DWORD dst_unused:UNUSED_PAD src0_sel:BYTE_0 src1_sel:DWORD
	v_or_b32_sdwa v43, v54, v43 dst_sel:WORD_1 dst_unused:UNUSED_PAD src0_sel:BYTE_0 src1_sel:DWORD
	v_or_b32_sdwa v43, v44, v43 dst_sel:DWORD dst_unused:UNUSED_PAD src0_sel:WORD_0 src1_sel:DWORD
	s_barrier
	ds_write_b64 v1, v[42:43]
	v_mov_b32_e32 v42, v31
	s_waitcnt lgkmcnt(0)
	s_barrier
	s_and_saveexec_b64 s[14:15], s[2:3]
	s_cbranch_execz .LBB98_38
; %bb.35:                               ;   in Loop: Header=BB98_2 Depth=1
	s_mov_b64 s[16:17], 0
	v_mov_b32_e32 v42, v31
	v_mov_b32_e32 v43, v26
.LBB98_36:                              ;   Parent Loop BB98_2 Depth=1
                                        ; =>  This Inner Loop Header: Depth=2
	v_sub_u32_e32 v44, v43, v42
	v_lshrrev_b32_e32 v44, 1, v44
	v_add_u32_e32 v44, v44, v42
	v_add_u32_e32 v45, v3, v44
	v_xad_u32 v46, v44, -1, v21
	ds_read_u8 v45, v45
	ds_read_u8 v46, v46
	v_add_u32_e32 v47, 1, v44
	s_waitcnt lgkmcnt(0)
	v_cmp_lt_u16_e32 vcc, v46, v45
	v_cndmask_b32_e32 v43, v43, v44, vcc
	v_cndmask_b32_e32 v42, v47, v42, vcc
	v_cmp_ge_i32_e32 vcc, v42, v43
	s_or_b64 s[16:17], vcc, s[16:17]
	s_andn2_b64 exec, exec, s[16:17]
	s_cbranch_execnz .LBB98_36
; %bb.37:                               ;   in Loop: Header=BB98_2 Depth=1
	s_or_b64 exec, exec, s[16:17]
.LBB98_38:                              ;   in Loop: Header=BB98_2 Depth=1
	s_or_b64 exec, exec, s[14:15]
	v_add_u32_e32 v46, v42, v3
	v_sub_u32_e32 v47, v21, v42
	ds_read_u8 v42, v46
	ds_read_u8 v43, v47
	v_cmp_le_i32_e64 s[14:15], v10, v46
	v_cmp_gt_i32_e32 vcc, v11, v47
                                        ; implicit-def: $vgpr44
	s_waitcnt lgkmcnt(0)
	v_cmp_lt_u16_sdwa s[16:17], v43, v42 src0_sel:BYTE_0 src1_sel:BYTE_0
	s_or_b64 s[14:15], s[14:15], s[16:17]
	s_and_b64 s[14:15], vcc, s[14:15]
	s_xor_b64 s[16:17], s[14:15], -1
	s_and_saveexec_b64 s[18:19], s[16:17]
	s_xor_b64 s[16:17], exec, s[18:19]
; %bb.39:                               ;   in Loop: Header=BB98_2 Depth=1
	ds_read_u8 v44, v46 offset:1
; %bb.40:                               ;   in Loop: Header=BB98_2 Depth=1
	s_or_saveexec_b64 s[16:17], s[16:17]
	v_mov_b32_e32 v45, v43
	s_xor_b64 exec, exec, s[16:17]
	s_cbranch_execz .LBB98_42
; %bb.41:                               ;   in Loop: Header=BB98_2 Depth=1
	ds_read_u8 v45, v47 offset:1
	s_waitcnt lgkmcnt(1)
	v_mov_b32_e32 v44, v42
.LBB98_42:                              ;   in Loop: Header=BB98_2 Depth=1
	s_or_b64 exec, exec, s[16:17]
	v_add_u32_e32 v49, 1, v46
	v_add_u32_e32 v48, 1, v47
	v_cndmask_b32_e64 v49, v49, v46, s[14:15]
	v_cndmask_b32_e64 v48, v47, v48, s[14:15]
	v_cmp_ge_i32_e64 s[16:17], v49, v10
	s_waitcnt lgkmcnt(0)
	v_cmp_lt_u16_sdwa s[18:19], v45, v44 src0_sel:BYTE_0 src1_sel:BYTE_0
	v_cmp_lt_i32_e32 vcc, v48, v11
	s_or_b64 s[16:17], s[16:17], s[18:19]
	s_and_b64 s[16:17], vcc, s[16:17]
	s_xor_b64 s[18:19], s[16:17], -1
                                        ; implicit-def: $vgpr46
	s_and_saveexec_b64 s[20:21], s[18:19]
	s_xor_b64 s[18:19], exec, s[20:21]
; %bb.43:                               ;   in Loop: Header=BB98_2 Depth=1
	ds_read_u8 v46, v49 offset:1
; %bb.44:                               ;   in Loop: Header=BB98_2 Depth=1
	s_or_saveexec_b64 s[18:19], s[18:19]
	v_mov_b32_e32 v47, v45
	s_xor_b64 exec, exec, s[18:19]
	s_cbranch_execz .LBB98_46
; %bb.45:                               ;   in Loop: Header=BB98_2 Depth=1
	ds_read_u8 v47, v48 offset:1
	s_waitcnt lgkmcnt(1)
	v_mov_b32_e32 v46, v44
.LBB98_46:                              ;   in Loop: Header=BB98_2 Depth=1
	s_or_b64 exec, exec, s[18:19]
	v_add_u32_e32 v51, 1, v49
	v_add_u32_e32 v50, 1, v48
	v_cndmask_b32_e64 v51, v51, v49, s[16:17]
	v_cndmask_b32_e64 v50, v48, v50, s[16:17]
	v_cmp_ge_i32_e64 s[18:19], v51, v10
	s_waitcnt lgkmcnt(0)
	v_cmp_lt_u16_sdwa s[20:21], v47, v46 src0_sel:BYTE_0 src1_sel:BYTE_0
	v_cmp_lt_i32_e32 vcc, v50, v11
	s_or_b64 s[18:19], s[18:19], s[20:21]
	s_and_b64 s[18:19], vcc, s[18:19]
	s_xor_b64 s[20:21], s[18:19], -1
                                        ; implicit-def: $vgpr48
	s_and_saveexec_b64 s[22:23], s[20:21]
	s_xor_b64 s[20:21], exec, s[22:23]
; %bb.47:                               ;   in Loop: Header=BB98_2 Depth=1
	ds_read_u8 v48, v51 offset:1
; %bb.48:                               ;   in Loop: Header=BB98_2 Depth=1
	s_or_saveexec_b64 s[20:21], s[20:21]
	v_mov_b32_e32 v49, v47
	s_xor_b64 exec, exec, s[20:21]
	s_cbranch_execz .LBB98_50
; %bb.49:                               ;   in Loop: Header=BB98_2 Depth=1
	ds_read_u8 v49, v50 offset:1
	s_waitcnt lgkmcnt(1)
	v_mov_b32_e32 v48, v46
.LBB98_50:                              ;   in Loop: Header=BB98_2 Depth=1
	s_or_b64 exec, exec, s[20:21]
	v_add_u32_e32 v53, 1, v51
	v_add_u32_e32 v52, 1, v50
	v_cndmask_b32_e64 v53, v53, v51, s[18:19]
	v_cndmask_b32_e64 v52, v50, v52, s[18:19]
	v_cmp_ge_i32_e64 s[20:21], v53, v10
	s_waitcnt lgkmcnt(0)
	v_cmp_lt_u16_sdwa s[22:23], v49, v48 src0_sel:BYTE_0 src1_sel:BYTE_0
	v_cmp_lt_i32_e32 vcc, v52, v11
	s_or_b64 s[20:21], s[20:21], s[22:23]
	s_and_b64 s[20:21], vcc, s[20:21]
	s_xor_b64 s[22:23], s[20:21], -1
                                        ; implicit-def: $vgpr50
	s_and_saveexec_b64 s[24:25], s[22:23]
	s_xor_b64 s[22:23], exec, s[24:25]
; %bb.51:                               ;   in Loop: Header=BB98_2 Depth=1
	ds_read_u8 v50, v53 offset:1
; %bb.52:                               ;   in Loop: Header=BB98_2 Depth=1
	s_or_saveexec_b64 s[22:23], s[22:23]
	v_mov_b32_e32 v51, v49
	s_xor_b64 exec, exec, s[22:23]
	s_cbranch_execz .LBB98_54
; %bb.53:                               ;   in Loop: Header=BB98_2 Depth=1
	ds_read_u8 v51, v52 offset:1
	s_waitcnt lgkmcnt(1)
	v_mov_b32_e32 v50, v48
.LBB98_54:                              ;   in Loop: Header=BB98_2 Depth=1
	s_or_b64 exec, exec, s[22:23]
	v_add_u32_e32 v55, 1, v53
	v_add_u32_e32 v54, 1, v52
	v_cndmask_b32_e64 v55, v55, v53, s[20:21]
	v_cndmask_b32_e64 v54, v52, v54, s[20:21]
	v_cmp_ge_i32_e64 s[22:23], v55, v10
	s_waitcnt lgkmcnt(0)
	v_cmp_lt_u16_sdwa s[24:25], v51, v50 src0_sel:BYTE_0 src1_sel:BYTE_0
	v_cmp_lt_i32_e32 vcc, v54, v11
	s_or_b64 s[22:23], s[22:23], s[24:25]
	s_and_b64 s[22:23], vcc, s[22:23]
	s_xor_b64 s[24:25], s[22:23], -1
                                        ; implicit-def: $vgpr52
	s_and_saveexec_b64 s[26:27], s[24:25]
	s_xor_b64 s[24:25], exec, s[26:27]
; %bb.55:                               ;   in Loop: Header=BB98_2 Depth=1
	ds_read_u8 v52, v55 offset:1
; %bb.56:                               ;   in Loop: Header=BB98_2 Depth=1
	s_or_saveexec_b64 s[24:25], s[24:25]
	v_mov_b32_e32 v53, v51
	s_xor_b64 exec, exec, s[24:25]
	s_cbranch_execz .LBB98_58
; %bb.57:                               ;   in Loop: Header=BB98_2 Depth=1
	ds_read_u8 v53, v54 offset:1
	s_waitcnt lgkmcnt(1)
	v_mov_b32_e32 v52, v50
.LBB98_58:                              ;   in Loop: Header=BB98_2 Depth=1
	s_or_b64 exec, exec, s[24:25]
	v_add_u32_e32 v57, 1, v55
	v_add_u32_e32 v56, 1, v54
	v_cndmask_b32_e64 v58, v57, v55, s[22:23]
	v_cndmask_b32_e64 v56, v54, v56, s[22:23]
	v_cmp_ge_i32_e64 s[24:25], v58, v10
	s_waitcnt lgkmcnt(0)
	v_cmp_lt_u16_sdwa s[26:27], v53, v52 src0_sel:BYTE_0 src1_sel:BYTE_0
	v_cmp_lt_i32_e32 vcc, v56, v11
	s_or_b64 s[24:25], s[24:25], s[26:27]
	s_and_b64 vcc, vcc, s[24:25]
	s_xor_b64 s[24:25], vcc, -1
                                        ; implicit-def: $vgpr54
	s_and_saveexec_b64 s[26:27], s[24:25]
	s_xor_b64 s[24:25], exec, s[26:27]
; %bb.59:                               ;   in Loop: Header=BB98_2 Depth=1
	ds_read_u8 v54, v58 offset:1
; %bb.60:                               ;   in Loop: Header=BB98_2 Depth=1
	s_or_saveexec_b64 s[24:25], s[24:25]
	v_mov_b32_e32 v55, v53
	s_xor_b64 exec, exec, s[24:25]
	s_cbranch_execz .LBB98_62
; %bb.61:                               ;   in Loop: Header=BB98_2 Depth=1
	ds_read_u8 v55, v56 offset:1
	s_waitcnt lgkmcnt(1)
	v_mov_b32_e32 v54, v52
.LBB98_62:                              ;   in Loop: Header=BB98_2 Depth=1
	s_or_b64 exec, exec, s[24:25]
	v_add_u32_e32 v59, 1, v58
	v_add_u32_e32 v57, 1, v56
	v_cndmask_b32_e32 v58, v59, v58, vcc
	v_cndmask_b32_e32 v57, v56, v57, vcc
	v_cmp_ge_i32_e64 s[26:27], v58, v10
	s_waitcnt lgkmcnt(0)
	v_cmp_lt_u16_sdwa s[42:43], v55, v54 src0_sel:BYTE_0 src1_sel:BYTE_0
	v_cmp_lt_i32_e64 s[24:25], v57, v11
	s_or_b64 s[26:27], s[26:27], s[42:43]
	s_and_b64 s[24:25], s[24:25], s[26:27]
	s_xor_b64 s[26:27], s[24:25], -1
                                        ; implicit-def: $vgpr56
	s_and_saveexec_b64 s[42:43], s[26:27]
	s_xor_b64 s[26:27], exec, s[42:43]
; %bb.63:                               ;   in Loop: Header=BB98_2 Depth=1
	ds_read_u8 v56, v58 offset:1
; %bb.64:                               ;   in Loop: Header=BB98_2 Depth=1
	s_or_saveexec_b64 s[26:27], s[26:27]
	v_mov_b32_e32 v59, v55
	s_xor_b64 exec, exec, s[26:27]
	s_cbranch_execz .LBB98_66
; %bb.65:                               ;   in Loop: Header=BB98_2 Depth=1
	ds_read_u8 v59, v57 offset:1
	s_waitcnt lgkmcnt(1)
	v_mov_b32_e32 v56, v54
.LBB98_66:                              ;   in Loop: Header=BB98_2 Depth=1
	s_or_b64 exec, exec, s[26:27]
	v_cndmask_b32_e64 v54, v54, v55, s[24:25]
	v_add_u32_e32 v55, 1, v57
	v_add_u32_e32 v60, 1, v58
	v_cndmask_b32_e64 v55, v57, v55, s[24:25]
	v_cndmask_b32_e64 v57, v60, v58, s[24:25]
	v_cndmask_b32_sdwa v52, v52, v53, vcc dst_sel:BYTE_1 dst_unused:UNUSED_PAD src0_sel:DWORD src1_sel:DWORD
	s_mov_b64 vcc, s[20:21]
	v_cndmask_b32_e64 v44, v44, v45, s[16:17]
	v_cndmask_b32_e64 v42, v42, v43, s[14:15]
	v_cmp_ge_i32_e64 s[14:15], v57, v10
	s_waitcnt lgkmcnt(0)
	v_cmp_lt_u16_sdwa s[16:17], v59, v56 src0_sel:BYTE_0 src1_sel:BYTE_0
	v_cndmask_b32_sdwa v48, v48, v49, vcc dst_sel:BYTE_1 dst_unused:UNUSED_PAD src0_sel:DWORD src1_sel:DWORD
	v_cmp_lt_i32_e32 vcc, v55, v11
	s_or_b64 s[14:15], s[14:15], s[16:17]
	s_and_b64 vcc, vcc, s[14:15]
	v_cndmask_b32_e64 v46, v46, v47, s[18:19]
	v_cndmask_b32_e32 v43, v56, v59, vcc
	v_lshlrev_b16_e32 v44, 8, v44
	v_cndmask_b32_e64 v50, v50, v51, s[22:23]
	v_or_b32_sdwa v42, v42, v44 dst_sel:DWORD dst_unused:UNUSED_PAD src0_sel:BYTE_0 src1_sel:DWORD
	v_or_b32_sdwa v44, v46, v48 dst_sel:WORD_1 dst_unused:UNUSED_PAD src0_sel:BYTE_0 src1_sel:DWORD
	v_lshlrev_b16_e32 v43, 8, v43
	v_or_b32_sdwa v42, v42, v44 dst_sel:DWORD dst_unused:UNUSED_PAD src0_sel:WORD_0 src1_sel:DWORD
	v_or_b32_sdwa v44, v50, v52 dst_sel:DWORD dst_unused:UNUSED_PAD src0_sel:BYTE_0 src1_sel:DWORD
	v_or_b32_sdwa v43, v54, v43 dst_sel:WORD_1 dst_unused:UNUSED_PAD src0_sel:BYTE_0 src1_sel:DWORD
	v_or_b32_sdwa v43, v44, v43 dst_sel:DWORD dst_unused:UNUSED_PAD src0_sel:WORD_0 src1_sel:DWORD
	s_barrier
	ds_write_b64 v1, v[42:43]
	v_mov_b32_e32 v42, v32
	s_waitcnt lgkmcnt(0)
	s_barrier
	s_and_saveexec_b64 s[14:15], s[4:5]
	s_cbranch_execz .LBB98_70
; %bb.67:                               ;   in Loop: Header=BB98_2 Depth=1
	s_mov_b64 s[16:17], 0
	v_mov_b32_e32 v42, v32
	v_mov_b32_e32 v43, v27
.LBB98_68:                              ;   Parent Loop BB98_2 Depth=1
                                        ; =>  This Inner Loop Header: Depth=2
	v_sub_u32_e32 v44, v43, v42
	v_lshrrev_b32_e32 v44, 1, v44
	v_add_u32_e32 v44, v44, v42
	v_add_u32_e32 v45, v4, v44
	v_xad_u32 v46, v44, -1, v22
	ds_read_u8 v45, v45
	ds_read_u8 v46, v46
	v_add_u32_e32 v47, 1, v44
	s_waitcnt lgkmcnt(0)
	v_cmp_lt_u16_e32 vcc, v46, v45
	v_cndmask_b32_e32 v43, v43, v44, vcc
	v_cndmask_b32_e32 v42, v47, v42, vcc
	v_cmp_ge_i32_e32 vcc, v42, v43
	s_or_b64 s[16:17], vcc, s[16:17]
	s_andn2_b64 exec, exec, s[16:17]
	s_cbranch_execnz .LBB98_68
; %bb.69:                               ;   in Loop: Header=BB98_2 Depth=1
	s_or_b64 exec, exec, s[16:17]
.LBB98_70:                              ;   in Loop: Header=BB98_2 Depth=1
	s_or_b64 exec, exec, s[14:15]
	v_add_u32_e32 v46, v42, v4
	v_sub_u32_e32 v47, v22, v42
	ds_read_u8 v42, v46
	ds_read_u8 v43, v47
	v_cmp_le_i32_e64 s[14:15], v12, v46
	v_cmp_gt_i32_e32 vcc, v13, v47
                                        ; implicit-def: $vgpr44
	s_waitcnt lgkmcnt(0)
	v_cmp_lt_u16_sdwa s[16:17], v43, v42 src0_sel:BYTE_0 src1_sel:BYTE_0
	s_or_b64 s[14:15], s[14:15], s[16:17]
	s_and_b64 s[14:15], vcc, s[14:15]
	s_xor_b64 s[16:17], s[14:15], -1
	s_and_saveexec_b64 s[18:19], s[16:17]
	s_xor_b64 s[16:17], exec, s[18:19]
; %bb.71:                               ;   in Loop: Header=BB98_2 Depth=1
	ds_read_u8 v44, v46 offset:1
; %bb.72:                               ;   in Loop: Header=BB98_2 Depth=1
	s_or_saveexec_b64 s[16:17], s[16:17]
	v_mov_b32_e32 v45, v43
	s_xor_b64 exec, exec, s[16:17]
	s_cbranch_execz .LBB98_74
; %bb.73:                               ;   in Loop: Header=BB98_2 Depth=1
	ds_read_u8 v45, v47 offset:1
	s_waitcnt lgkmcnt(1)
	v_mov_b32_e32 v44, v42
.LBB98_74:                              ;   in Loop: Header=BB98_2 Depth=1
	s_or_b64 exec, exec, s[16:17]
	v_add_u32_e32 v49, 1, v46
	v_add_u32_e32 v48, 1, v47
	v_cndmask_b32_e64 v49, v49, v46, s[14:15]
	v_cndmask_b32_e64 v48, v47, v48, s[14:15]
	v_cmp_ge_i32_e64 s[16:17], v49, v12
	s_waitcnt lgkmcnt(0)
	v_cmp_lt_u16_sdwa s[18:19], v45, v44 src0_sel:BYTE_0 src1_sel:BYTE_0
	v_cmp_lt_i32_e32 vcc, v48, v13
	s_or_b64 s[16:17], s[16:17], s[18:19]
	s_and_b64 s[16:17], vcc, s[16:17]
	s_xor_b64 s[18:19], s[16:17], -1
                                        ; implicit-def: $vgpr46
	s_and_saveexec_b64 s[20:21], s[18:19]
	s_xor_b64 s[18:19], exec, s[20:21]
; %bb.75:                               ;   in Loop: Header=BB98_2 Depth=1
	ds_read_u8 v46, v49 offset:1
; %bb.76:                               ;   in Loop: Header=BB98_2 Depth=1
	s_or_saveexec_b64 s[18:19], s[18:19]
	v_mov_b32_e32 v47, v45
	s_xor_b64 exec, exec, s[18:19]
	s_cbranch_execz .LBB98_78
; %bb.77:                               ;   in Loop: Header=BB98_2 Depth=1
	ds_read_u8 v47, v48 offset:1
	s_waitcnt lgkmcnt(1)
	v_mov_b32_e32 v46, v44
.LBB98_78:                              ;   in Loop: Header=BB98_2 Depth=1
	s_or_b64 exec, exec, s[18:19]
	v_add_u32_e32 v51, 1, v49
	v_add_u32_e32 v50, 1, v48
	v_cndmask_b32_e64 v51, v51, v49, s[16:17]
	v_cndmask_b32_e64 v50, v48, v50, s[16:17]
	v_cmp_ge_i32_e64 s[18:19], v51, v12
	s_waitcnt lgkmcnt(0)
	v_cmp_lt_u16_sdwa s[20:21], v47, v46 src0_sel:BYTE_0 src1_sel:BYTE_0
	v_cmp_lt_i32_e32 vcc, v50, v13
	s_or_b64 s[18:19], s[18:19], s[20:21]
	s_and_b64 s[18:19], vcc, s[18:19]
	s_xor_b64 s[20:21], s[18:19], -1
                                        ; implicit-def: $vgpr48
	s_and_saveexec_b64 s[22:23], s[20:21]
	s_xor_b64 s[20:21], exec, s[22:23]
; %bb.79:                               ;   in Loop: Header=BB98_2 Depth=1
	ds_read_u8 v48, v51 offset:1
; %bb.80:                               ;   in Loop: Header=BB98_2 Depth=1
	s_or_saveexec_b64 s[20:21], s[20:21]
	v_mov_b32_e32 v49, v47
	s_xor_b64 exec, exec, s[20:21]
	s_cbranch_execz .LBB98_82
; %bb.81:                               ;   in Loop: Header=BB98_2 Depth=1
	ds_read_u8 v49, v50 offset:1
	s_waitcnt lgkmcnt(1)
	v_mov_b32_e32 v48, v46
.LBB98_82:                              ;   in Loop: Header=BB98_2 Depth=1
	s_or_b64 exec, exec, s[20:21]
	v_add_u32_e32 v53, 1, v51
	v_add_u32_e32 v52, 1, v50
	v_cndmask_b32_e64 v53, v53, v51, s[18:19]
	v_cndmask_b32_e64 v52, v50, v52, s[18:19]
	v_cmp_ge_i32_e64 s[20:21], v53, v12
	s_waitcnt lgkmcnt(0)
	v_cmp_lt_u16_sdwa s[22:23], v49, v48 src0_sel:BYTE_0 src1_sel:BYTE_0
	v_cmp_lt_i32_e32 vcc, v52, v13
	s_or_b64 s[20:21], s[20:21], s[22:23]
	s_and_b64 s[20:21], vcc, s[20:21]
	s_xor_b64 s[22:23], s[20:21], -1
                                        ; implicit-def: $vgpr50
	s_and_saveexec_b64 s[24:25], s[22:23]
	s_xor_b64 s[22:23], exec, s[24:25]
; %bb.83:                               ;   in Loop: Header=BB98_2 Depth=1
	ds_read_u8 v50, v53 offset:1
; %bb.84:                               ;   in Loop: Header=BB98_2 Depth=1
	s_or_saveexec_b64 s[22:23], s[22:23]
	v_mov_b32_e32 v51, v49
	s_xor_b64 exec, exec, s[22:23]
	s_cbranch_execz .LBB98_86
; %bb.85:                               ;   in Loop: Header=BB98_2 Depth=1
	ds_read_u8 v51, v52 offset:1
	s_waitcnt lgkmcnt(1)
	v_mov_b32_e32 v50, v48
.LBB98_86:                              ;   in Loop: Header=BB98_2 Depth=1
	s_or_b64 exec, exec, s[22:23]
	v_add_u32_e32 v55, 1, v53
	v_add_u32_e32 v54, 1, v52
	v_cndmask_b32_e64 v55, v55, v53, s[20:21]
	v_cndmask_b32_e64 v54, v52, v54, s[20:21]
	v_cmp_ge_i32_e64 s[22:23], v55, v12
	s_waitcnt lgkmcnt(0)
	v_cmp_lt_u16_sdwa s[24:25], v51, v50 src0_sel:BYTE_0 src1_sel:BYTE_0
	v_cmp_lt_i32_e32 vcc, v54, v13
	s_or_b64 s[22:23], s[22:23], s[24:25]
	s_and_b64 s[22:23], vcc, s[22:23]
	s_xor_b64 s[24:25], s[22:23], -1
                                        ; implicit-def: $vgpr52
	s_and_saveexec_b64 s[26:27], s[24:25]
	s_xor_b64 s[24:25], exec, s[26:27]
; %bb.87:                               ;   in Loop: Header=BB98_2 Depth=1
	ds_read_u8 v52, v55 offset:1
; %bb.88:                               ;   in Loop: Header=BB98_2 Depth=1
	s_or_saveexec_b64 s[24:25], s[24:25]
	v_mov_b32_e32 v53, v51
	s_xor_b64 exec, exec, s[24:25]
	s_cbranch_execz .LBB98_90
; %bb.89:                               ;   in Loop: Header=BB98_2 Depth=1
	ds_read_u8 v53, v54 offset:1
	s_waitcnt lgkmcnt(1)
	v_mov_b32_e32 v52, v50
.LBB98_90:                              ;   in Loop: Header=BB98_2 Depth=1
	s_or_b64 exec, exec, s[24:25]
	v_add_u32_e32 v57, 1, v55
	v_add_u32_e32 v56, 1, v54
	v_cndmask_b32_e64 v58, v57, v55, s[22:23]
	v_cndmask_b32_e64 v56, v54, v56, s[22:23]
	v_cmp_ge_i32_e64 s[24:25], v58, v12
	s_waitcnt lgkmcnt(0)
	v_cmp_lt_u16_sdwa s[26:27], v53, v52 src0_sel:BYTE_0 src1_sel:BYTE_0
	v_cmp_lt_i32_e32 vcc, v56, v13
	s_or_b64 s[24:25], s[24:25], s[26:27]
	s_and_b64 vcc, vcc, s[24:25]
	s_xor_b64 s[24:25], vcc, -1
                                        ; implicit-def: $vgpr54
	s_and_saveexec_b64 s[26:27], s[24:25]
	s_xor_b64 s[24:25], exec, s[26:27]
; %bb.91:                               ;   in Loop: Header=BB98_2 Depth=1
	ds_read_u8 v54, v58 offset:1
; %bb.92:                               ;   in Loop: Header=BB98_2 Depth=1
	s_or_saveexec_b64 s[24:25], s[24:25]
	v_mov_b32_e32 v55, v53
	s_xor_b64 exec, exec, s[24:25]
	s_cbranch_execz .LBB98_94
; %bb.93:                               ;   in Loop: Header=BB98_2 Depth=1
	ds_read_u8 v55, v56 offset:1
	s_waitcnt lgkmcnt(1)
	v_mov_b32_e32 v54, v52
.LBB98_94:                              ;   in Loop: Header=BB98_2 Depth=1
	s_or_b64 exec, exec, s[24:25]
	v_add_u32_e32 v59, 1, v58
	v_add_u32_e32 v57, 1, v56
	v_cndmask_b32_e32 v58, v59, v58, vcc
	v_cndmask_b32_e32 v57, v56, v57, vcc
	v_cmp_ge_i32_e64 s[26:27], v58, v12
	s_waitcnt lgkmcnt(0)
	v_cmp_lt_u16_sdwa s[42:43], v55, v54 src0_sel:BYTE_0 src1_sel:BYTE_0
	v_cmp_lt_i32_e64 s[24:25], v57, v13
	s_or_b64 s[26:27], s[26:27], s[42:43]
	s_and_b64 s[24:25], s[24:25], s[26:27]
	s_xor_b64 s[26:27], s[24:25], -1
                                        ; implicit-def: $vgpr56
	s_and_saveexec_b64 s[42:43], s[26:27]
	s_xor_b64 s[26:27], exec, s[42:43]
; %bb.95:                               ;   in Loop: Header=BB98_2 Depth=1
	ds_read_u8 v56, v58 offset:1
; %bb.96:                               ;   in Loop: Header=BB98_2 Depth=1
	s_or_saveexec_b64 s[26:27], s[26:27]
	v_mov_b32_e32 v59, v55
	s_xor_b64 exec, exec, s[26:27]
	s_cbranch_execz .LBB98_98
; %bb.97:                               ;   in Loop: Header=BB98_2 Depth=1
	ds_read_u8 v59, v57 offset:1
	s_waitcnt lgkmcnt(1)
	v_mov_b32_e32 v56, v54
.LBB98_98:                              ;   in Loop: Header=BB98_2 Depth=1
	s_or_b64 exec, exec, s[26:27]
	v_cndmask_b32_e64 v54, v54, v55, s[24:25]
	v_add_u32_e32 v55, 1, v57
	v_add_u32_e32 v60, 1, v58
	v_cndmask_b32_e64 v55, v57, v55, s[24:25]
	v_cndmask_b32_e64 v57, v60, v58, s[24:25]
	v_cndmask_b32_sdwa v52, v52, v53, vcc dst_sel:BYTE_1 dst_unused:UNUSED_PAD src0_sel:DWORD src1_sel:DWORD
	s_mov_b64 vcc, s[20:21]
	v_cndmask_b32_e64 v44, v44, v45, s[16:17]
	v_cndmask_b32_e64 v42, v42, v43, s[14:15]
	v_cmp_ge_i32_e64 s[14:15], v57, v12
	s_waitcnt lgkmcnt(0)
	v_cmp_lt_u16_sdwa s[16:17], v59, v56 src0_sel:BYTE_0 src1_sel:BYTE_0
	v_cndmask_b32_sdwa v48, v48, v49, vcc dst_sel:BYTE_1 dst_unused:UNUSED_PAD src0_sel:DWORD src1_sel:DWORD
	v_cmp_lt_i32_e32 vcc, v55, v13
	s_or_b64 s[14:15], s[14:15], s[16:17]
	s_and_b64 vcc, vcc, s[14:15]
	v_cndmask_b32_e64 v46, v46, v47, s[18:19]
	v_cndmask_b32_e32 v43, v56, v59, vcc
	v_lshlrev_b16_e32 v44, 8, v44
	v_cndmask_b32_e64 v50, v50, v51, s[22:23]
	v_or_b32_sdwa v42, v42, v44 dst_sel:DWORD dst_unused:UNUSED_PAD src0_sel:BYTE_0 src1_sel:DWORD
	v_or_b32_sdwa v44, v46, v48 dst_sel:WORD_1 dst_unused:UNUSED_PAD src0_sel:BYTE_0 src1_sel:DWORD
	v_lshlrev_b16_e32 v43, 8, v43
	v_or_b32_sdwa v42, v42, v44 dst_sel:DWORD dst_unused:UNUSED_PAD src0_sel:WORD_0 src1_sel:DWORD
	v_or_b32_sdwa v44, v50, v52 dst_sel:DWORD dst_unused:UNUSED_PAD src0_sel:BYTE_0 src1_sel:DWORD
	v_or_b32_sdwa v43, v54, v43 dst_sel:WORD_1 dst_unused:UNUSED_PAD src0_sel:BYTE_0 src1_sel:DWORD
	v_or_b32_sdwa v43, v44, v43 dst_sel:DWORD dst_unused:UNUSED_PAD src0_sel:WORD_0 src1_sel:DWORD
	s_barrier
	ds_write_b64 v1, v[42:43]
	v_mov_b32_e32 v42, v33
	s_waitcnt lgkmcnt(0)
	s_barrier
	s_and_saveexec_b64 s[14:15], s[6:7]
	s_cbranch_execz .LBB98_102
; %bb.99:                               ;   in Loop: Header=BB98_2 Depth=1
	s_mov_b64 s[16:17], 0
	v_mov_b32_e32 v42, v33
	v_mov_b32_e32 v43, v28
.LBB98_100:                             ;   Parent Loop BB98_2 Depth=1
                                        ; =>  This Inner Loop Header: Depth=2
	v_sub_u32_e32 v44, v43, v42
	v_lshrrev_b32_e32 v44, 1, v44
	v_add_u32_e32 v44, v44, v42
	v_add_u32_e32 v45, v5, v44
	v_xad_u32 v46, v44, -1, v23
	ds_read_u8 v45, v45
	ds_read_u8 v46, v46
	v_add_u32_e32 v47, 1, v44
	s_waitcnt lgkmcnt(0)
	v_cmp_lt_u16_e32 vcc, v46, v45
	v_cndmask_b32_e32 v43, v43, v44, vcc
	v_cndmask_b32_e32 v42, v47, v42, vcc
	v_cmp_ge_i32_e32 vcc, v42, v43
	s_or_b64 s[16:17], vcc, s[16:17]
	s_andn2_b64 exec, exec, s[16:17]
	s_cbranch_execnz .LBB98_100
; %bb.101:                              ;   in Loop: Header=BB98_2 Depth=1
	s_or_b64 exec, exec, s[16:17]
.LBB98_102:                             ;   in Loop: Header=BB98_2 Depth=1
	s_or_b64 exec, exec, s[14:15]
	v_add_u32_e32 v46, v42, v5
	v_sub_u32_e32 v47, v23, v42
	ds_read_u8 v42, v46
	ds_read_u8 v43, v47
	v_cmp_le_i32_e64 s[14:15], v14, v46
	v_cmp_gt_i32_e32 vcc, v15, v47
                                        ; implicit-def: $vgpr44
	s_waitcnt lgkmcnt(0)
	v_cmp_lt_u16_sdwa s[16:17], v43, v42 src0_sel:BYTE_0 src1_sel:BYTE_0
	s_or_b64 s[14:15], s[14:15], s[16:17]
	s_and_b64 s[14:15], vcc, s[14:15]
	s_xor_b64 s[16:17], s[14:15], -1
	s_and_saveexec_b64 s[18:19], s[16:17]
	s_xor_b64 s[16:17], exec, s[18:19]
; %bb.103:                              ;   in Loop: Header=BB98_2 Depth=1
	ds_read_u8 v44, v46 offset:1
; %bb.104:                              ;   in Loop: Header=BB98_2 Depth=1
	s_or_saveexec_b64 s[16:17], s[16:17]
	v_mov_b32_e32 v45, v43
	s_xor_b64 exec, exec, s[16:17]
	s_cbranch_execz .LBB98_106
; %bb.105:                              ;   in Loop: Header=BB98_2 Depth=1
	ds_read_u8 v45, v47 offset:1
	s_waitcnt lgkmcnt(1)
	v_mov_b32_e32 v44, v42
.LBB98_106:                             ;   in Loop: Header=BB98_2 Depth=1
	s_or_b64 exec, exec, s[16:17]
	v_add_u32_e32 v49, 1, v46
	v_add_u32_e32 v48, 1, v47
	v_cndmask_b32_e64 v49, v49, v46, s[14:15]
	v_cndmask_b32_e64 v48, v47, v48, s[14:15]
	v_cmp_ge_i32_e64 s[16:17], v49, v14
	s_waitcnt lgkmcnt(0)
	v_cmp_lt_u16_sdwa s[18:19], v45, v44 src0_sel:BYTE_0 src1_sel:BYTE_0
	v_cmp_lt_i32_e32 vcc, v48, v15
	s_or_b64 s[16:17], s[16:17], s[18:19]
	s_and_b64 s[16:17], vcc, s[16:17]
	s_xor_b64 s[18:19], s[16:17], -1
                                        ; implicit-def: $vgpr46
	s_and_saveexec_b64 s[20:21], s[18:19]
	s_xor_b64 s[18:19], exec, s[20:21]
; %bb.107:                              ;   in Loop: Header=BB98_2 Depth=1
	ds_read_u8 v46, v49 offset:1
; %bb.108:                              ;   in Loop: Header=BB98_2 Depth=1
	s_or_saveexec_b64 s[18:19], s[18:19]
	v_mov_b32_e32 v47, v45
	s_xor_b64 exec, exec, s[18:19]
	s_cbranch_execz .LBB98_110
; %bb.109:                              ;   in Loop: Header=BB98_2 Depth=1
	ds_read_u8 v47, v48 offset:1
	s_waitcnt lgkmcnt(1)
	v_mov_b32_e32 v46, v44
.LBB98_110:                             ;   in Loop: Header=BB98_2 Depth=1
	s_or_b64 exec, exec, s[18:19]
	v_add_u32_e32 v51, 1, v49
	v_add_u32_e32 v50, 1, v48
	v_cndmask_b32_e64 v51, v51, v49, s[16:17]
	v_cndmask_b32_e64 v50, v48, v50, s[16:17]
	v_cmp_ge_i32_e64 s[18:19], v51, v14
	s_waitcnt lgkmcnt(0)
	v_cmp_lt_u16_sdwa s[20:21], v47, v46 src0_sel:BYTE_0 src1_sel:BYTE_0
	v_cmp_lt_i32_e32 vcc, v50, v15
	s_or_b64 s[18:19], s[18:19], s[20:21]
	s_and_b64 s[18:19], vcc, s[18:19]
	s_xor_b64 s[20:21], s[18:19], -1
                                        ; implicit-def: $vgpr48
	s_and_saveexec_b64 s[22:23], s[20:21]
	s_xor_b64 s[20:21], exec, s[22:23]
; %bb.111:                              ;   in Loop: Header=BB98_2 Depth=1
	ds_read_u8 v48, v51 offset:1
; %bb.112:                              ;   in Loop: Header=BB98_2 Depth=1
	s_or_saveexec_b64 s[20:21], s[20:21]
	v_mov_b32_e32 v49, v47
	s_xor_b64 exec, exec, s[20:21]
	s_cbranch_execz .LBB98_114
; %bb.113:                              ;   in Loop: Header=BB98_2 Depth=1
	ds_read_u8 v49, v50 offset:1
	s_waitcnt lgkmcnt(1)
	v_mov_b32_e32 v48, v46
.LBB98_114:                             ;   in Loop: Header=BB98_2 Depth=1
	s_or_b64 exec, exec, s[20:21]
	v_add_u32_e32 v53, 1, v51
	v_add_u32_e32 v52, 1, v50
	v_cndmask_b32_e64 v53, v53, v51, s[18:19]
	v_cndmask_b32_e64 v52, v50, v52, s[18:19]
	v_cmp_ge_i32_e64 s[20:21], v53, v14
	s_waitcnt lgkmcnt(0)
	v_cmp_lt_u16_sdwa s[22:23], v49, v48 src0_sel:BYTE_0 src1_sel:BYTE_0
	v_cmp_lt_i32_e32 vcc, v52, v15
	s_or_b64 s[20:21], s[20:21], s[22:23]
	s_and_b64 s[20:21], vcc, s[20:21]
	s_xor_b64 s[22:23], s[20:21], -1
                                        ; implicit-def: $vgpr50
	s_and_saveexec_b64 s[24:25], s[22:23]
	s_xor_b64 s[22:23], exec, s[24:25]
; %bb.115:                              ;   in Loop: Header=BB98_2 Depth=1
	ds_read_u8 v50, v53 offset:1
; %bb.116:                              ;   in Loop: Header=BB98_2 Depth=1
	s_or_saveexec_b64 s[22:23], s[22:23]
	v_mov_b32_e32 v51, v49
	s_xor_b64 exec, exec, s[22:23]
	s_cbranch_execz .LBB98_118
; %bb.117:                              ;   in Loop: Header=BB98_2 Depth=1
	ds_read_u8 v51, v52 offset:1
	s_waitcnt lgkmcnt(1)
	v_mov_b32_e32 v50, v48
.LBB98_118:                             ;   in Loop: Header=BB98_2 Depth=1
	s_or_b64 exec, exec, s[22:23]
	v_add_u32_e32 v55, 1, v53
	v_add_u32_e32 v54, 1, v52
	v_cndmask_b32_e64 v55, v55, v53, s[20:21]
	v_cndmask_b32_e64 v54, v52, v54, s[20:21]
	v_cmp_ge_i32_e64 s[22:23], v55, v14
	s_waitcnt lgkmcnt(0)
	v_cmp_lt_u16_sdwa s[24:25], v51, v50 src0_sel:BYTE_0 src1_sel:BYTE_0
	v_cmp_lt_i32_e32 vcc, v54, v15
	s_or_b64 s[22:23], s[22:23], s[24:25]
	s_and_b64 s[22:23], vcc, s[22:23]
	s_xor_b64 s[24:25], s[22:23], -1
                                        ; implicit-def: $vgpr52
	s_and_saveexec_b64 s[26:27], s[24:25]
	s_xor_b64 s[24:25], exec, s[26:27]
; %bb.119:                              ;   in Loop: Header=BB98_2 Depth=1
	ds_read_u8 v52, v55 offset:1
; %bb.120:                              ;   in Loop: Header=BB98_2 Depth=1
	s_or_saveexec_b64 s[24:25], s[24:25]
	v_mov_b32_e32 v53, v51
	s_xor_b64 exec, exec, s[24:25]
	s_cbranch_execz .LBB98_122
; %bb.121:                              ;   in Loop: Header=BB98_2 Depth=1
	ds_read_u8 v53, v54 offset:1
	s_waitcnt lgkmcnt(1)
	v_mov_b32_e32 v52, v50
.LBB98_122:                             ;   in Loop: Header=BB98_2 Depth=1
	s_or_b64 exec, exec, s[24:25]
	v_add_u32_e32 v57, 1, v55
	v_add_u32_e32 v56, 1, v54
	v_cndmask_b32_e64 v58, v57, v55, s[22:23]
	v_cndmask_b32_e64 v56, v54, v56, s[22:23]
	v_cmp_ge_i32_e64 s[24:25], v58, v14
	s_waitcnt lgkmcnt(0)
	v_cmp_lt_u16_sdwa s[26:27], v53, v52 src0_sel:BYTE_0 src1_sel:BYTE_0
	v_cmp_lt_i32_e32 vcc, v56, v15
	s_or_b64 s[24:25], s[24:25], s[26:27]
	s_and_b64 vcc, vcc, s[24:25]
	s_xor_b64 s[24:25], vcc, -1
                                        ; implicit-def: $vgpr54
	s_and_saveexec_b64 s[26:27], s[24:25]
	s_xor_b64 s[24:25], exec, s[26:27]
; %bb.123:                              ;   in Loop: Header=BB98_2 Depth=1
	ds_read_u8 v54, v58 offset:1
; %bb.124:                              ;   in Loop: Header=BB98_2 Depth=1
	s_or_saveexec_b64 s[24:25], s[24:25]
	v_mov_b32_e32 v55, v53
	s_xor_b64 exec, exec, s[24:25]
	s_cbranch_execz .LBB98_126
; %bb.125:                              ;   in Loop: Header=BB98_2 Depth=1
	ds_read_u8 v55, v56 offset:1
	s_waitcnt lgkmcnt(1)
	v_mov_b32_e32 v54, v52
.LBB98_126:                             ;   in Loop: Header=BB98_2 Depth=1
	s_or_b64 exec, exec, s[24:25]
	v_add_u32_e32 v59, 1, v58
	v_add_u32_e32 v57, 1, v56
	v_cndmask_b32_e32 v58, v59, v58, vcc
	v_cndmask_b32_e32 v57, v56, v57, vcc
	v_cmp_ge_i32_e64 s[26:27], v58, v14
	s_waitcnt lgkmcnt(0)
	v_cmp_lt_u16_sdwa s[42:43], v55, v54 src0_sel:BYTE_0 src1_sel:BYTE_0
	v_cmp_lt_i32_e64 s[24:25], v57, v15
	s_or_b64 s[26:27], s[26:27], s[42:43]
	s_and_b64 s[24:25], s[24:25], s[26:27]
	s_xor_b64 s[26:27], s[24:25], -1
                                        ; implicit-def: $vgpr56
	s_and_saveexec_b64 s[42:43], s[26:27]
	s_xor_b64 s[26:27], exec, s[42:43]
; %bb.127:                              ;   in Loop: Header=BB98_2 Depth=1
	ds_read_u8 v56, v58 offset:1
; %bb.128:                              ;   in Loop: Header=BB98_2 Depth=1
	s_or_saveexec_b64 s[26:27], s[26:27]
	v_mov_b32_e32 v59, v55
	s_xor_b64 exec, exec, s[26:27]
	s_cbranch_execz .LBB98_130
; %bb.129:                              ;   in Loop: Header=BB98_2 Depth=1
	ds_read_u8 v59, v57 offset:1
	s_waitcnt lgkmcnt(1)
	v_mov_b32_e32 v56, v54
.LBB98_130:                             ;   in Loop: Header=BB98_2 Depth=1
	s_or_b64 exec, exec, s[26:27]
	v_cndmask_b32_e64 v54, v54, v55, s[24:25]
	v_add_u32_e32 v55, 1, v57
	v_add_u32_e32 v60, 1, v58
	v_cndmask_b32_e64 v55, v57, v55, s[24:25]
	v_cndmask_b32_e64 v57, v60, v58, s[24:25]
	v_cndmask_b32_sdwa v52, v52, v53, vcc dst_sel:BYTE_1 dst_unused:UNUSED_PAD src0_sel:DWORD src1_sel:DWORD
	s_mov_b64 vcc, s[20:21]
	v_cndmask_b32_e64 v44, v44, v45, s[16:17]
	v_cndmask_b32_e64 v42, v42, v43, s[14:15]
	v_cmp_ge_i32_e64 s[14:15], v57, v14
	s_waitcnt lgkmcnt(0)
	v_cmp_lt_u16_sdwa s[16:17], v59, v56 src0_sel:BYTE_0 src1_sel:BYTE_0
	v_cndmask_b32_sdwa v48, v48, v49, vcc dst_sel:BYTE_1 dst_unused:UNUSED_PAD src0_sel:DWORD src1_sel:DWORD
	v_cmp_lt_i32_e32 vcc, v55, v15
	s_or_b64 s[14:15], s[14:15], s[16:17]
	s_and_b64 vcc, vcc, s[14:15]
	v_cndmask_b32_e64 v46, v46, v47, s[18:19]
	v_cndmask_b32_e32 v43, v56, v59, vcc
	v_lshlrev_b16_e32 v44, 8, v44
	v_cndmask_b32_e64 v50, v50, v51, s[22:23]
	v_or_b32_sdwa v42, v42, v44 dst_sel:DWORD dst_unused:UNUSED_PAD src0_sel:BYTE_0 src1_sel:DWORD
	v_or_b32_sdwa v44, v46, v48 dst_sel:WORD_1 dst_unused:UNUSED_PAD src0_sel:BYTE_0 src1_sel:DWORD
	v_lshlrev_b16_e32 v43, 8, v43
	v_or_b32_sdwa v42, v42, v44 dst_sel:DWORD dst_unused:UNUSED_PAD src0_sel:WORD_0 src1_sel:DWORD
	v_or_b32_sdwa v44, v50, v52 dst_sel:DWORD dst_unused:UNUSED_PAD src0_sel:BYTE_0 src1_sel:DWORD
	v_or_b32_sdwa v43, v54, v43 dst_sel:WORD_1 dst_unused:UNUSED_PAD src0_sel:BYTE_0 src1_sel:DWORD
	v_or_b32_sdwa v43, v44, v43 dst_sel:DWORD dst_unused:UNUSED_PAD src0_sel:WORD_0 src1_sel:DWORD
	s_barrier
	ds_write_b64 v1, v[42:43]
	v_mov_b32_e32 v42, v34
	s_waitcnt lgkmcnt(0)
	s_barrier
	s_and_saveexec_b64 s[14:15], s[8:9]
	s_cbranch_execz .LBB98_134
; %bb.131:                              ;   in Loop: Header=BB98_2 Depth=1
	s_mov_b64 s[16:17], 0
	v_mov_b32_e32 v42, v34
	v_mov_b32_e32 v43, v29
.LBB98_132:                             ;   Parent Loop BB98_2 Depth=1
                                        ; =>  This Inner Loop Header: Depth=2
	v_sub_u32_e32 v44, v43, v42
	v_lshrrev_b32_e32 v44, 1, v44
	v_add_u32_e32 v44, v44, v42
	v_add_u32_e32 v45, v6, v44
	v_xad_u32 v46, v44, -1, v24
	ds_read_u8 v45, v45
	ds_read_u8 v46, v46
	v_add_u32_e32 v47, 1, v44
	s_waitcnt lgkmcnt(0)
	v_cmp_lt_u16_e32 vcc, v46, v45
	v_cndmask_b32_e32 v43, v43, v44, vcc
	v_cndmask_b32_e32 v42, v47, v42, vcc
	v_cmp_ge_i32_e32 vcc, v42, v43
	s_or_b64 s[16:17], vcc, s[16:17]
	s_andn2_b64 exec, exec, s[16:17]
	s_cbranch_execnz .LBB98_132
; %bb.133:                              ;   in Loop: Header=BB98_2 Depth=1
	s_or_b64 exec, exec, s[16:17]
.LBB98_134:                             ;   in Loop: Header=BB98_2 Depth=1
	s_or_b64 exec, exec, s[14:15]
	v_add_u32_e32 v46, v42, v6
	v_sub_u32_e32 v47, v24, v42
	ds_read_u8 v42, v46
	ds_read_u8 v43, v47
	v_cmp_le_i32_e64 s[14:15], v16, v46
	v_cmp_gt_i32_e32 vcc, v17, v47
                                        ; implicit-def: $vgpr44
	s_waitcnt lgkmcnt(0)
	v_cmp_lt_u16_sdwa s[16:17], v43, v42 src0_sel:BYTE_0 src1_sel:BYTE_0
	s_or_b64 s[14:15], s[14:15], s[16:17]
	s_and_b64 s[14:15], vcc, s[14:15]
	s_xor_b64 s[16:17], s[14:15], -1
	s_and_saveexec_b64 s[18:19], s[16:17]
	s_xor_b64 s[16:17], exec, s[18:19]
; %bb.135:                              ;   in Loop: Header=BB98_2 Depth=1
	ds_read_u8 v44, v46 offset:1
; %bb.136:                              ;   in Loop: Header=BB98_2 Depth=1
	s_or_saveexec_b64 s[16:17], s[16:17]
	v_mov_b32_e32 v45, v43
	s_xor_b64 exec, exec, s[16:17]
	s_cbranch_execz .LBB98_138
; %bb.137:                              ;   in Loop: Header=BB98_2 Depth=1
	ds_read_u8 v45, v47 offset:1
	s_waitcnt lgkmcnt(1)
	v_mov_b32_e32 v44, v42
.LBB98_138:                             ;   in Loop: Header=BB98_2 Depth=1
	s_or_b64 exec, exec, s[16:17]
	v_add_u32_e32 v49, 1, v46
	v_add_u32_e32 v48, 1, v47
	v_cndmask_b32_e64 v49, v49, v46, s[14:15]
	v_cndmask_b32_e64 v48, v47, v48, s[14:15]
	v_cmp_ge_i32_e64 s[16:17], v49, v16
	s_waitcnt lgkmcnt(0)
	v_cmp_lt_u16_sdwa s[18:19], v45, v44 src0_sel:BYTE_0 src1_sel:BYTE_0
	v_cmp_lt_i32_e32 vcc, v48, v17
	s_or_b64 s[16:17], s[16:17], s[18:19]
	s_and_b64 s[16:17], vcc, s[16:17]
	s_xor_b64 s[18:19], s[16:17], -1
                                        ; implicit-def: $vgpr46
	s_and_saveexec_b64 s[20:21], s[18:19]
	s_xor_b64 s[18:19], exec, s[20:21]
; %bb.139:                              ;   in Loop: Header=BB98_2 Depth=1
	ds_read_u8 v46, v49 offset:1
; %bb.140:                              ;   in Loop: Header=BB98_2 Depth=1
	s_or_saveexec_b64 s[18:19], s[18:19]
	v_mov_b32_e32 v47, v45
	s_xor_b64 exec, exec, s[18:19]
	s_cbranch_execz .LBB98_142
; %bb.141:                              ;   in Loop: Header=BB98_2 Depth=1
	ds_read_u8 v47, v48 offset:1
	s_waitcnt lgkmcnt(1)
	v_mov_b32_e32 v46, v44
.LBB98_142:                             ;   in Loop: Header=BB98_2 Depth=1
	s_or_b64 exec, exec, s[18:19]
	v_add_u32_e32 v51, 1, v49
	v_add_u32_e32 v50, 1, v48
	v_cndmask_b32_e64 v51, v51, v49, s[16:17]
	v_cndmask_b32_e64 v50, v48, v50, s[16:17]
	v_cmp_ge_i32_e64 s[18:19], v51, v16
	s_waitcnt lgkmcnt(0)
	v_cmp_lt_u16_sdwa s[20:21], v47, v46 src0_sel:BYTE_0 src1_sel:BYTE_0
	v_cmp_lt_i32_e32 vcc, v50, v17
	s_or_b64 s[18:19], s[18:19], s[20:21]
	s_and_b64 s[18:19], vcc, s[18:19]
	s_xor_b64 s[20:21], s[18:19], -1
                                        ; implicit-def: $vgpr48
	s_and_saveexec_b64 s[22:23], s[20:21]
	s_xor_b64 s[20:21], exec, s[22:23]
; %bb.143:                              ;   in Loop: Header=BB98_2 Depth=1
	ds_read_u8 v48, v51 offset:1
; %bb.144:                              ;   in Loop: Header=BB98_2 Depth=1
	s_or_saveexec_b64 s[20:21], s[20:21]
	v_mov_b32_e32 v49, v47
	s_xor_b64 exec, exec, s[20:21]
	s_cbranch_execz .LBB98_146
; %bb.145:                              ;   in Loop: Header=BB98_2 Depth=1
	ds_read_u8 v49, v50 offset:1
	s_waitcnt lgkmcnt(1)
	v_mov_b32_e32 v48, v46
.LBB98_146:                             ;   in Loop: Header=BB98_2 Depth=1
	s_or_b64 exec, exec, s[20:21]
	v_add_u32_e32 v53, 1, v51
	v_add_u32_e32 v52, 1, v50
	v_cndmask_b32_e64 v53, v53, v51, s[18:19]
	v_cndmask_b32_e64 v52, v50, v52, s[18:19]
	v_cmp_ge_i32_e64 s[20:21], v53, v16
	s_waitcnt lgkmcnt(0)
	v_cmp_lt_u16_sdwa s[22:23], v49, v48 src0_sel:BYTE_0 src1_sel:BYTE_0
	v_cmp_lt_i32_e32 vcc, v52, v17
	s_or_b64 s[20:21], s[20:21], s[22:23]
	s_and_b64 s[20:21], vcc, s[20:21]
	s_xor_b64 s[22:23], s[20:21], -1
                                        ; implicit-def: $vgpr50
	s_and_saveexec_b64 s[24:25], s[22:23]
	s_xor_b64 s[22:23], exec, s[24:25]
; %bb.147:                              ;   in Loop: Header=BB98_2 Depth=1
	ds_read_u8 v50, v53 offset:1
; %bb.148:                              ;   in Loop: Header=BB98_2 Depth=1
	s_or_saveexec_b64 s[22:23], s[22:23]
	v_mov_b32_e32 v51, v49
	s_xor_b64 exec, exec, s[22:23]
	s_cbranch_execz .LBB98_150
; %bb.149:                              ;   in Loop: Header=BB98_2 Depth=1
	ds_read_u8 v51, v52 offset:1
	s_waitcnt lgkmcnt(1)
	v_mov_b32_e32 v50, v48
.LBB98_150:                             ;   in Loop: Header=BB98_2 Depth=1
	s_or_b64 exec, exec, s[22:23]
	v_add_u32_e32 v55, 1, v53
	v_add_u32_e32 v54, 1, v52
	v_cndmask_b32_e64 v55, v55, v53, s[20:21]
	v_cndmask_b32_e64 v54, v52, v54, s[20:21]
	v_cmp_ge_i32_e64 s[22:23], v55, v16
	s_waitcnt lgkmcnt(0)
	v_cmp_lt_u16_sdwa s[24:25], v51, v50 src0_sel:BYTE_0 src1_sel:BYTE_0
	v_cmp_lt_i32_e32 vcc, v54, v17
	s_or_b64 s[22:23], s[22:23], s[24:25]
	s_and_b64 s[22:23], vcc, s[22:23]
	s_xor_b64 s[24:25], s[22:23], -1
                                        ; implicit-def: $vgpr52
	s_and_saveexec_b64 s[26:27], s[24:25]
	s_xor_b64 s[24:25], exec, s[26:27]
; %bb.151:                              ;   in Loop: Header=BB98_2 Depth=1
	ds_read_u8 v52, v55 offset:1
; %bb.152:                              ;   in Loop: Header=BB98_2 Depth=1
	s_or_saveexec_b64 s[24:25], s[24:25]
	v_mov_b32_e32 v53, v51
	s_xor_b64 exec, exec, s[24:25]
	s_cbranch_execz .LBB98_154
; %bb.153:                              ;   in Loop: Header=BB98_2 Depth=1
	ds_read_u8 v53, v54 offset:1
	s_waitcnt lgkmcnt(1)
	v_mov_b32_e32 v52, v50
.LBB98_154:                             ;   in Loop: Header=BB98_2 Depth=1
	s_or_b64 exec, exec, s[24:25]
	v_add_u32_e32 v57, 1, v55
	v_add_u32_e32 v56, 1, v54
	v_cndmask_b32_e64 v58, v57, v55, s[22:23]
	v_cndmask_b32_e64 v56, v54, v56, s[22:23]
	v_cmp_ge_i32_e64 s[24:25], v58, v16
	s_waitcnt lgkmcnt(0)
	v_cmp_lt_u16_sdwa s[26:27], v53, v52 src0_sel:BYTE_0 src1_sel:BYTE_0
	v_cmp_lt_i32_e32 vcc, v56, v17
	s_or_b64 s[24:25], s[24:25], s[26:27]
	s_and_b64 vcc, vcc, s[24:25]
	s_xor_b64 s[24:25], vcc, -1
                                        ; implicit-def: $vgpr54
	s_and_saveexec_b64 s[26:27], s[24:25]
	s_xor_b64 s[24:25], exec, s[26:27]
; %bb.155:                              ;   in Loop: Header=BB98_2 Depth=1
	ds_read_u8 v54, v58 offset:1
; %bb.156:                              ;   in Loop: Header=BB98_2 Depth=1
	s_or_saveexec_b64 s[24:25], s[24:25]
	v_mov_b32_e32 v55, v53
	s_xor_b64 exec, exec, s[24:25]
	s_cbranch_execz .LBB98_158
; %bb.157:                              ;   in Loop: Header=BB98_2 Depth=1
	ds_read_u8 v55, v56 offset:1
	s_waitcnt lgkmcnt(1)
	v_mov_b32_e32 v54, v52
.LBB98_158:                             ;   in Loop: Header=BB98_2 Depth=1
	s_or_b64 exec, exec, s[24:25]
	v_add_u32_e32 v59, 1, v58
	v_add_u32_e32 v57, 1, v56
	v_cndmask_b32_e32 v58, v59, v58, vcc
	v_cndmask_b32_e32 v57, v56, v57, vcc
	v_cmp_ge_i32_e64 s[26:27], v58, v16
	s_waitcnt lgkmcnt(0)
	v_cmp_lt_u16_sdwa s[42:43], v55, v54 src0_sel:BYTE_0 src1_sel:BYTE_0
	v_cmp_lt_i32_e64 s[24:25], v57, v17
	s_or_b64 s[26:27], s[26:27], s[42:43]
	s_and_b64 s[24:25], s[24:25], s[26:27]
	s_xor_b64 s[26:27], s[24:25], -1
                                        ; implicit-def: $vgpr56
	s_and_saveexec_b64 s[42:43], s[26:27]
	s_xor_b64 s[26:27], exec, s[42:43]
; %bb.159:                              ;   in Loop: Header=BB98_2 Depth=1
	ds_read_u8 v56, v58 offset:1
; %bb.160:                              ;   in Loop: Header=BB98_2 Depth=1
	s_or_saveexec_b64 s[26:27], s[26:27]
	v_mov_b32_e32 v59, v55
	s_xor_b64 exec, exec, s[26:27]
	s_cbranch_execz .LBB98_162
; %bb.161:                              ;   in Loop: Header=BB98_2 Depth=1
	ds_read_u8 v59, v57 offset:1
	s_waitcnt lgkmcnt(1)
	v_mov_b32_e32 v56, v54
.LBB98_162:                             ;   in Loop: Header=BB98_2 Depth=1
	s_or_b64 exec, exec, s[26:27]
	v_cndmask_b32_e64 v54, v54, v55, s[24:25]
	v_add_u32_e32 v55, 1, v57
	v_add_u32_e32 v60, 1, v58
	v_cndmask_b32_e64 v55, v57, v55, s[24:25]
	v_cndmask_b32_e64 v57, v60, v58, s[24:25]
	v_cndmask_b32_sdwa v52, v52, v53, vcc dst_sel:BYTE_1 dst_unused:UNUSED_PAD src0_sel:DWORD src1_sel:DWORD
	s_mov_b64 vcc, s[20:21]
	v_cndmask_b32_e64 v44, v44, v45, s[16:17]
	v_cndmask_b32_e64 v42, v42, v43, s[14:15]
	v_cmp_ge_i32_e64 s[14:15], v57, v16
	s_waitcnt lgkmcnt(0)
	v_cmp_lt_u16_sdwa s[16:17], v59, v56 src0_sel:BYTE_0 src1_sel:BYTE_0
	v_cndmask_b32_sdwa v48, v48, v49, vcc dst_sel:BYTE_1 dst_unused:UNUSED_PAD src0_sel:DWORD src1_sel:DWORD
	v_cmp_lt_i32_e32 vcc, v55, v17
	s_or_b64 s[14:15], s[14:15], s[16:17]
	s_and_b64 vcc, vcc, s[14:15]
	v_cndmask_b32_e64 v46, v46, v47, s[18:19]
	v_cndmask_b32_e32 v43, v56, v59, vcc
	v_lshlrev_b16_e32 v44, 8, v44
	v_cndmask_b32_e64 v50, v50, v51, s[22:23]
	v_or_b32_sdwa v42, v42, v44 dst_sel:DWORD dst_unused:UNUSED_PAD src0_sel:BYTE_0 src1_sel:DWORD
	v_or_b32_sdwa v44, v46, v48 dst_sel:WORD_1 dst_unused:UNUSED_PAD src0_sel:BYTE_0 src1_sel:DWORD
	v_lshlrev_b16_e32 v43, 8, v43
	v_or_b32_sdwa v42, v42, v44 dst_sel:DWORD dst_unused:UNUSED_PAD src0_sel:WORD_0 src1_sel:DWORD
	v_or_b32_sdwa v44, v50, v52 dst_sel:DWORD dst_unused:UNUSED_PAD src0_sel:BYTE_0 src1_sel:DWORD
	v_or_b32_sdwa v43, v54, v43 dst_sel:WORD_1 dst_unused:UNUSED_PAD src0_sel:BYTE_0 src1_sel:DWORD
	v_or_b32_sdwa v43, v44, v43 dst_sel:DWORD dst_unused:UNUSED_PAD src0_sel:WORD_0 src1_sel:DWORD
	s_barrier
	ds_write_b64 v1, v[42:43]
	v_mov_b32_e32 v42, v35
	s_waitcnt lgkmcnt(0)
	s_barrier
	s_and_saveexec_b64 s[14:15], s[10:11]
	s_cbranch_execz .LBB98_166
; %bb.163:                              ;   in Loop: Header=BB98_2 Depth=1
	s_mov_b64 s[16:17], 0
	v_mov_b32_e32 v42, v35
	v_mov_b32_e32 v43, v36
.LBB98_164:                             ;   Parent Loop BB98_2 Depth=1
                                        ; =>  This Inner Loop Header: Depth=2
	v_sub_u32_e32 v44, v43, v42
	v_lshrrev_b32_e32 v44, 1, v44
	v_add_u32_e32 v44, v44, v42
	v_add_u32_e32 v45, v7, v44
	v_xad_u32 v46, v44, -1, v37
	ds_read_u8 v45, v45
	ds_read_u8 v46, v46
	v_add_u32_e32 v47, 1, v44
	s_waitcnt lgkmcnt(0)
	v_cmp_lt_u16_e32 vcc, v46, v45
	v_cndmask_b32_e32 v43, v43, v44, vcc
	v_cndmask_b32_e32 v42, v47, v42, vcc
	v_cmp_ge_i32_e32 vcc, v42, v43
	s_or_b64 s[16:17], vcc, s[16:17]
	s_andn2_b64 exec, exec, s[16:17]
	s_cbranch_execnz .LBB98_164
; %bb.165:                              ;   in Loop: Header=BB98_2 Depth=1
	s_or_b64 exec, exec, s[16:17]
.LBB98_166:                             ;   in Loop: Header=BB98_2 Depth=1
	s_or_b64 exec, exec, s[14:15]
	v_add_u32_e32 v46, v42, v7
	v_sub_u32_e32 v47, v37, v42
	ds_read_u8 v42, v46
	ds_read_u8 v43, v47
	v_cmp_le_i32_e64 s[14:15], v18, v46
	v_cmp_gt_i32_e32 vcc, v19, v47
                                        ; implicit-def: $vgpr44
	s_waitcnt lgkmcnt(0)
	v_cmp_lt_u16_sdwa s[16:17], v43, v42 src0_sel:BYTE_0 src1_sel:BYTE_0
	s_or_b64 s[14:15], s[14:15], s[16:17]
	s_and_b64 s[14:15], vcc, s[14:15]
	s_xor_b64 s[16:17], s[14:15], -1
	s_and_saveexec_b64 s[18:19], s[16:17]
	s_xor_b64 s[16:17], exec, s[18:19]
; %bb.167:                              ;   in Loop: Header=BB98_2 Depth=1
	ds_read_u8 v44, v46 offset:1
; %bb.168:                              ;   in Loop: Header=BB98_2 Depth=1
	s_or_saveexec_b64 s[16:17], s[16:17]
	v_mov_b32_e32 v45, v43
	s_xor_b64 exec, exec, s[16:17]
	s_cbranch_execz .LBB98_170
; %bb.169:                              ;   in Loop: Header=BB98_2 Depth=1
	ds_read_u8 v45, v47 offset:1
	s_waitcnt lgkmcnt(1)
	v_mov_b32_e32 v44, v42
.LBB98_170:                             ;   in Loop: Header=BB98_2 Depth=1
	s_or_b64 exec, exec, s[16:17]
	v_add_u32_e32 v49, 1, v46
	v_add_u32_e32 v48, 1, v47
	v_cndmask_b32_e64 v49, v49, v46, s[14:15]
	v_cndmask_b32_e64 v48, v47, v48, s[14:15]
	v_cmp_ge_i32_e64 s[16:17], v49, v18
	s_waitcnt lgkmcnt(0)
	v_cmp_lt_u16_sdwa s[18:19], v45, v44 src0_sel:BYTE_0 src1_sel:BYTE_0
	v_cmp_lt_i32_e32 vcc, v48, v19
	s_or_b64 s[16:17], s[16:17], s[18:19]
	s_and_b64 s[16:17], vcc, s[16:17]
	s_xor_b64 s[18:19], s[16:17], -1
                                        ; implicit-def: $vgpr46
	s_and_saveexec_b64 s[20:21], s[18:19]
	s_xor_b64 s[18:19], exec, s[20:21]
; %bb.171:                              ;   in Loop: Header=BB98_2 Depth=1
	ds_read_u8 v46, v49 offset:1
; %bb.172:                              ;   in Loop: Header=BB98_2 Depth=1
	s_or_saveexec_b64 s[18:19], s[18:19]
	v_mov_b32_e32 v47, v45
	s_xor_b64 exec, exec, s[18:19]
	s_cbranch_execz .LBB98_174
; %bb.173:                              ;   in Loop: Header=BB98_2 Depth=1
	ds_read_u8 v47, v48 offset:1
	s_waitcnt lgkmcnt(1)
	v_mov_b32_e32 v46, v44
.LBB98_174:                             ;   in Loop: Header=BB98_2 Depth=1
	s_or_b64 exec, exec, s[18:19]
	v_add_u32_e32 v51, 1, v49
	v_add_u32_e32 v50, 1, v48
	v_cndmask_b32_e64 v51, v51, v49, s[16:17]
	v_cndmask_b32_e64 v50, v48, v50, s[16:17]
	v_cmp_ge_i32_e64 s[18:19], v51, v18
	s_waitcnt lgkmcnt(0)
	v_cmp_lt_u16_sdwa s[20:21], v47, v46 src0_sel:BYTE_0 src1_sel:BYTE_0
	v_cmp_lt_i32_e32 vcc, v50, v19
	s_or_b64 s[18:19], s[18:19], s[20:21]
	s_and_b64 s[18:19], vcc, s[18:19]
	s_xor_b64 s[20:21], s[18:19], -1
                                        ; implicit-def: $vgpr48
	s_and_saveexec_b64 s[22:23], s[20:21]
	s_xor_b64 s[20:21], exec, s[22:23]
; %bb.175:                              ;   in Loop: Header=BB98_2 Depth=1
	ds_read_u8 v48, v51 offset:1
; %bb.176:                              ;   in Loop: Header=BB98_2 Depth=1
	s_or_saveexec_b64 s[20:21], s[20:21]
	v_mov_b32_e32 v49, v47
	s_xor_b64 exec, exec, s[20:21]
	s_cbranch_execz .LBB98_178
; %bb.177:                              ;   in Loop: Header=BB98_2 Depth=1
	ds_read_u8 v49, v50 offset:1
	s_waitcnt lgkmcnt(1)
	v_mov_b32_e32 v48, v46
.LBB98_178:                             ;   in Loop: Header=BB98_2 Depth=1
	s_or_b64 exec, exec, s[20:21]
	v_add_u32_e32 v53, 1, v51
	v_add_u32_e32 v52, 1, v50
	v_cndmask_b32_e64 v53, v53, v51, s[18:19]
	v_cndmask_b32_e64 v52, v50, v52, s[18:19]
	v_cmp_ge_i32_e64 s[20:21], v53, v18
	s_waitcnt lgkmcnt(0)
	v_cmp_lt_u16_sdwa s[22:23], v49, v48 src0_sel:BYTE_0 src1_sel:BYTE_0
	v_cmp_lt_i32_e32 vcc, v52, v19
	s_or_b64 s[20:21], s[20:21], s[22:23]
	s_and_b64 s[20:21], vcc, s[20:21]
	s_xor_b64 s[22:23], s[20:21], -1
                                        ; implicit-def: $vgpr50
	s_and_saveexec_b64 s[24:25], s[22:23]
	s_xor_b64 s[22:23], exec, s[24:25]
; %bb.179:                              ;   in Loop: Header=BB98_2 Depth=1
	ds_read_u8 v50, v53 offset:1
; %bb.180:                              ;   in Loop: Header=BB98_2 Depth=1
	s_or_saveexec_b64 s[22:23], s[22:23]
	v_mov_b32_e32 v51, v49
	s_xor_b64 exec, exec, s[22:23]
	s_cbranch_execz .LBB98_182
; %bb.181:                              ;   in Loop: Header=BB98_2 Depth=1
	ds_read_u8 v51, v52 offset:1
	s_waitcnt lgkmcnt(1)
	v_mov_b32_e32 v50, v48
.LBB98_182:                             ;   in Loop: Header=BB98_2 Depth=1
	s_or_b64 exec, exec, s[22:23]
	v_add_u32_e32 v55, 1, v53
	v_add_u32_e32 v54, 1, v52
	v_cndmask_b32_e64 v55, v55, v53, s[20:21]
	v_cndmask_b32_e64 v54, v52, v54, s[20:21]
	v_cmp_ge_i32_e64 s[22:23], v55, v18
	s_waitcnt lgkmcnt(0)
	v_cmp_lt_u16_sdwa s[24:25], v51, v50 src0_sel:BYTE_0 src1_sel:BYTE_0
	v_cmp_lt_i32_e32 vcc, v54, v19
	s_or_b64 s[22:23], s[22:23], s[24:25]
	s_and_b64 s[22:23], vcc, s[22:23]
	s_xor_b64 s[24:25], s[22:23], -1
                                        ; implicit-def: $vgpr52
	s_and_saveexec_b64 s[26:27], s[24:25]
	s_xor_b64 s[24:25], exec, s[26:27]
; %bb.183:                              ;   in Loop: Header=BB98_2 Depth=1
	ds_read_u8 v52, v55 offset:1
; %bb.184:                              ;   in Loop: Header=BB98_2 Depth=1
	s_or_saveexec_b64 s[24:25], s[24:25]
	v_mov_b32_e32 v53, v51
	s_xor_b64 exec, exec, s[24:25]
	s_cbranch_execz .LBB98_186
; %bb.185:                              ;   in Loop: Header=BB98_2 Depth=1
	ds_read_u8 v53, v54 offset:1
	s_waitcnt lgkmcnt(1)
	v_mov_b32_e32 v52, v50
.LBB98_186:                             ;   in Loop: Header=BB98_2 Depth=1
	s_or_b64 exec, exec, s[24:25]
	v_add_u32_e32 v57, 1, v55
	v_add_u32_e32 v56, 1, v54
	v_cndmask_b32_e64 v58, v57, v55, s[22:23]
	v_cndmask_b32_e64 v56, v54, v56, s[22:23]
	v_cmp_ge_i32_e64 s[24:25], v58, v18
	s_waitcnt lgkmcnt(0)
	v_cmp_lt_u16_sdwa s[26:27], v53, v52 src0_sel:BYTE_0 src1_sel:BYTE_0
	v_cmp_lt_i32_e32 vcc, v56, v19
	s_or_b64 s[24:25], s[24:25], s[26:27]
	s_and_b64 vcc, vcc, s[24:25]
	s_xor_b64 s[24:25], vcc, -1
                                        ; implicit-def: $vgpr54
	s_and_saveexec_b64 s[26:27], s[24:25]
	s_xor_b64 s[24:25], exec, s[26:27]
; %bb.187:                              ;   in Loop: Header=BB98_2 Depth=1
	ds_read_u8 v54, v58 offset:1
; %bb.188:                              ;   in Loop: Header=BB98_2 Depth=1
	s_or_saveexec_b64 s[24:25], s[24:25]
	v_mov_b32_e32 v55, v53
	s_xor_b64 exec, exec, s[24:25]
	s_cbranch_execz .LBB98_190
; %bb.189:                              ;   in Loop: Header=BB98_2 Depth=1
	ds_read_u8 v55, v56 offset:1
	s_waitcnt lgkmcnt(1)
	v_mov_b32_e32 v54, v52
.LBB98_190:                             ;   in Loop: Header=BB98_2 Depth=1
	s_or_b64 exec, exec, s[24:25]
	v_add_u32_e32 v59, 1, v58
	v_add_u32_e32 v57, 1, v56
	v_cndmask_b32_e32 v58, v59, v58, vcc
	v_cndmask_b32_e32 v57, v56, v57, vcc
	v_cmp_ge_i32_e64 s[26:27], v58, v18
	s_waitcnt lgkmcnt(0)
	v_cmp_lt_u16_sdwa s[42:43], v55, v54 src0_sel:BYTE_0 src1_sel:BYTE_0
	v_cmp_lt_i32_e64 s[24:25], v57, v19
	s_or_b64 s[26:27], s[26:27], s[42:43]
	s_and_b64 s[24:25], s[24:25], s[26:27]
	s_xor_b64 s[26:27], s[24:25], -1
                                        ; implicit-def: $vgpr56
	s_and_saveexec_b64 s[42:43], s[26:27]
	s_xor_b64 s[26:27], exec, s[42:43]
; %bb.191:                              ;   in Loop: Header=BB98_2 Depth=1
	ds_read_u8 v56, v58 offset:1
; %bb.192:                              ;   in Loop: Header=BB98_2 Depth=1
	s_or_saveexec_b64 s[26:27], s[26:27]
	v_mov_b32_e32 v59, v55
	s_xor_b64 exec, exec, s[26:27]
	s_cbranch_execz .LBB98_194
; %bb.193:                              ;   in Loop: Header=BB98_2 Depth=1
	ds_read_u8 v59, v57 offset:1
	s_waitcnt lgkmcnt(1)
	v_mov_b32_e32 v56, v54
.LBB98_194:                             ;   in Loop: Header=BB98_2 Depth=1
	s_or_b64 exec, exec, s[26:27]
	v_cndmask_b32_e64 v54, v54, v55, s[24:25]
	v_add_u32_e32 v55, 1, v57
	v_add_u32_e32 v60, 1, v58
	v_cndmask_b32_e64 v55, v57, v55, s[24:25]
	v_cndmask_b32_e64 v57, v60, v58, s[24:25]
	v_cndmask_b32_sdwa v52, v52, v53, vcc dst_sel:BYTE_1 dst_unused:UNUSED_PAD src0_sel:DWORD src1_sel:DWORD
	s_mov_b64 vcc, s[20:21]
	v_cndmask_b32_e64 v44, v44, v45, s[16:17]
	v_cndmask_b32_e64 v42, v42, v43, s[14:15]
	v_cmp_ge_i32_e64 s[14:15], v57, v18
	s_waitcnt lgkmcnt(0)
	v_cmp_lt_u16_sdwa s[16:17], v59, v56 src0_sel:BYTE_0 src1_sel:BYTE_0
	v_cndmask_b32_sdwa v48, v48, v49, vcc dst_sel:BYTE_1 dst_unused:UNUSED_PAD src0_sel:DWORD src1_sel:DWORD
	v_cmp_lt_i32_e32 vcc, v55, v19
	s_or_b64 s[14:15], s[14:15], s[16:17]
	s_and_b64 vcc, vcc, s[14:15]
	v_cndmask_b32_e64 v46, v46, v47, s[18:19]
	v_cndmask_b32_e32 v43, v56, v59, vcc
	v_lshlrev_b16_e32 v44, 8, v44
	v_cndmask_b32_e64 v50, v50, v51, s[22:23]
	v_or_b32_sdwa v42, v42, v44 dst_sel:DWORD dst_unused:UNUSED_PAD src0_sel:BYTE_0 src1_sel:DWORD
	v_or_b32_sdwa v44, v46, v48 dst_sel:WORD_1 dst_unused:UNUSED_PAD src0_sel:BYTE_0 src1_sel:DWORD
	v_lshlrev_b16_e32 v43, 8, v43
	v_or_b32_sdwa v42, v42, v44 dst_sel:DWORD dst_unused:UNUSED_PAD src0_sel:WORD_0 src1_sel:DWORD
	v_or_b32_sdwa v44, v50, v52 dst_sel:DWORD dst_unused:UNUSED_PAD src0_sel:BYTE_0 src1_sel:DWORD
	v_or_b32_sdwa v43, v54, v43 dst_sel:WORD_1 dst_unused:UNUSED_PAD src0_sel:BYTE_0 src1_sel:DWORD
	v_or_b32_sdwa v43, v44, v43 dst_sel:DWORD dst_unused:UNUSED_PAD src0_sel:WORD_0 src1_sel:DWORD
	v_mov_b32_e32 v46, v39
	s_barrier
	ds_write_b64 v1, v[42:43]
	s_waitcnt lgkmcnt(0)
	s_barrier
	s_and_saveexec_b64 s[14:15], s[12:13]
	s_cbranch_execz .LBB98_198
; %bb.195:                              ;   in Loop: Header=BB98_2 Depth=1
	s_mov_b64 s[16:17], 0
	v_mov_b32_e32 v46, v39
	v_mov_b32_e32 v42, v40
.LBB98_196:                             ;   Parent Loop BB98_2 Depth=1
                                        ; =>  This Inner Loop Header: Depth=2
	v_sub_u32_e32 v43, v42, v46
	v_lshrrev_b32_e32 v43, 1, v43
	v_add_u32_e32 v43, v43, v46
	v_xad_u32 v44, v43, -1, v41
	ds_read_u8 v45, v43
	ds_read_u8 v44, v44
	v_add_u32_e32 v47, 1, v43
	s_waitcnt lgkmcnt(0)
	v_cmp_lt_u16_e32 vcc, v44, v45
	v_cndmask_b32_e32 v42, v42, v43, vcc
	v_cndmask_b32_e32 v46, v47, v46, vcc
	v_cmp_ge_i32_e32 vcc, v46, v42
	s_or_b64 s[16:17], vcc, s[16:17]
	s_andn2_b64 exec, exec, s[16:17]
	s_cbranch_execnz .LBB98_196
; %bb.197:                              ;   in Loop: Header=BB98_2 Depth=1
	s_or_b64 exec, exec, s[16:17]
.LBB98_198:                             ;   in Loop: Header=BB98_2 Depth=1
	s_or_b64 exec, exec, s[14:15]
	v_sub_u32_e32 v47, v41, v46
	ds_read_u8 v42, v46
	ds_read_u8 v43, v47
	v_cmp_le_i32_e64 s[14:15], v38, v46
	v_cmp_gt_i32_e32 vcc, s40, v47
                                        ; implicit-def: $vgpr44
	s_waitcnt lgkmcnt(0)
	v_cmp_lt_u16_sdwa s[16:17], v43, v42 src0_sel:BYTE_0 src1_sel:BYTE_0
	s_or_b64 s[14:15], s[14:15], s[16:17]
	s_and_b64 vcc, vcc, s[14:15]
	s_xor_b64 s[14:15], vcc, -1
	s_and_saveexec_b64 s[16:17], s[14:15]
	s_xor_b64 s[14:15], exec, s[16:17]
; %bb.199:                              ;   in Loop: Header=BB98_2 Depth=1
	ds_read_u8 v44, v46 offset:1
; %bb.200:                              ;   in Loop: Header=BB98_2 Depth=1
	s_or_saveexec_b64 s[14:15], s[14:15]
	v_mov_b32_e32 v45, v43
	s_xor_b64 exec, exec, s[14:15]
	s_cbranch_execz .LBB98_202
; %bb.201:                              ;   in Loop: Header=BB98_2 Depth=1
	ds_read_u8 v45, v47 offset:1
	s_waitcnt lgkmcnt(1)
	v_mov_b32_e32 v44, v42
.LBB98_202:                             ;   in Loop: Header=BB98_2 Depth=1
	s_or_b64 exec, exec, s[14:15]
	v_add_u32_e32 v49, 1, v46
	v_add_u32_e32 v48, 1, v47
	v_cndmask_b32_e32 v49, v49, v46, vcc
	v_cndmask_b32_e32 v48, v47, v48, vcc
	v_cmp_ge_i32_e64 s[16:17], v49, v38
	s_waitcnt lgkmcnt(0)
	v_cmp_lt_u16_sdwa s[18:19], v45, v44 src0_sel:BYTE_0 src1_sel:BYTE_0
	v_cmp_gt_i32_e64 s[14:15], s40, v48
	s_or_b64 s[16:17], s[16:17], s[18:19]
	s_and_b64 s[14:15], s[14:15], s[16:17]
	s_xor_b64 s[16:17], s[14:15], -1
                                        ; implicit-def: $vgpr46
	s_and_saveexec_b64 s[18:19], s[16:17]
	s_xor_b64 s[16:17], exec, s[18:19]
; %bb.203:                              ;   in Loop: Header=BB98_2 Depth=1
	ds_read_u8 v46, v49 offset:1
; %bb.204:                              ;   in Loop: Header=BB98_2 Depth=1
	s_or_saveexec_b64 s[16:17], s[16:17]
	v_mov_b32_e32 v47, v45
	s_xor_b64 exec, exec, s[16:17]
	s_cbranch_execz .LBB98_206
; %bb.205:                              ;   in Loop: Header=BB98_2 Depth=1
	ds_read_u8 v47, v48 offset:1
	s_waitcnt lgkmcnt(1)
	v_mov_b32_e32 v46, v44
.LBB98_206:                             ;   in Loop: Header=BB98_2 Depth=1
	s_or_b64 exec, exec, s[16:17]
	v_add_u32_e32 v51, 1, v49
	v_add_u32_e32 v50, 1, v48
	v_cndmask_b32_e64 v51, v51, v49, s[14:15]
	v_cndmask_b32_e64 v50, v48, v50, s[14:15]
	v_cmp_ge_i32_e64 s[18:19], v51, v38
	s_waitcnt lgkmcnt(0)
	v_cmp_lt_u16_sdwa s[20:21], v47, v46 src0_sel:BYTE_0 src1_sel:BYTE_0
	v_cmp_gt_i32_e64 s[16:17], s40, v50
	s_or_b64 s[18:19], s[18:19], s[20:21]
	s_and_b64 s[16:17], s[16:17], s[18:19]
	s_xor_b64 s[18:19], s[16:17], -1
                                        ; implicit-def: $vgpr48
	s_and_saveexec_b64 s[20:21], s[18:19]
	s_xor_b64 s[18:19], exec, s[20:21]
; %bb.207:                              ;   in Loop: Header=BB98_2 Depth=1
	ds_read_u8 v48, v51 offset:1
; %bb.208:                              ;   in Loop: Header=BB98_2 Depth=1
	s_or_saveexec_b64 s[18:19], s[18:19]
	v_mov_b32_e32 v49, v47
	s_xor_b64 exec, exec, s[18:19]
	s_cbranch_execz .LBB98_210
; %bb.209:                              ;   in Loop: Header=BB98_2 Depth=1
	ds_read_u8 v49, v50 offset:1
	s_waitcnt lgkmcnt(1)
	v_mov_b32_e32 v48, v46
.LBB98_210:                             ;   in Loop: Header=BB98_2 Depth=1
	s_or_b64 exec, exec, s[18:19]
	v_add_u32_e32 v53, 1, v51
	v_add_u32_e32 v52, 1, v50
	v_cndmask_b32_e64 v53, v53, v51, s[16:17]
	v_cndmask_b32_e64 v52, v50, v52, s[16:17]
	v_cmp_ge_i32_e64 s[20:21], v53, v38
	s_waitcnt lgkmcnt(0)
	v_cmp_lt_u16_sdwa s[22:23], v49, v48 src0_sel:BYTE_0 src1_sel:BYTE_0
	v_cmp_gt_i32_e64 s[18:19], s40, v52
	s_or_b64 s[20:21], s[20:21], s[22:23]
	s_and_b64 s[18:19], s[18:19], s[20:21]
	s_xor_b64 s[20:21], s[18:19], -1
                                        ; implicit-def: $vgpr50
	s_and_saveexec_b64 s[22:23], s[20:21]
	s_xor_b64 s[20:21], exec, s[22:23]
; %bb.211:                              ;   in Loop: Header=BB98_2 Depth=1
	ds_read_u8 v50, v53 offset:1
; %bb.212:                              ;   in Loop: Header=BB98_2 Depth=1
	s_or_saveexec_b64 s[20:21], s[20:21]
	v_mov_b32_e32 v51, v49
	s_xor_b64 exec, exec, s[20:21]
	s_cbranch_execz .LBB98_214
; %bb.213:                              ;   in Loop: Header=BB98_2 Depth=1
	ds_read_u8 v51, v52 offset:1
	s_waitcnt lgkmcnt(1)
	v_mov_b32_e32 v50, v48
.LBB98_214:                             ;   in Loop: Header=BB98_2 Depth=1
	s_or_b64 exec, exec, s[20:21]
	v_add_u32_e32 v55, 1, v53
	v_add_u32_e32 v54, 1, v52
	v_cndmask_b32_e64 v55, v55, v53, s[18:19]
	v_cndmask_b32_e64 v54, v52, v54, s[18:19]
	v_cmp_ge_i32_e64 s[22:23], v55, v38
	s_waitcnt lgkmcnt(0)
	v_cmp_lt_u16_sdwa s[24:25], v51, v50 src0_sel:BYTE_0 src1_sel:BYTE_0
	v_cmp_gt_i32_e64 s[20:21], s40, v54
	s_or_b64 s[22:23], s[22:23], s[24:25]
	s_and_b64 s[20:21], s[20:21], s[22:23]
	s_xor_b64 s[22:23], s[20:21], -1
                                        ; implicit-def: $vgpr52
	s_and_saveexec_b64 s[24:25], s[22:23]
	s_xor_b64 s[22:23], exec, s[24:25]
; %bb.215:                              ;   in Loop: Header=BB98_2 Depth=1
	ds_read_u8 v52, v55 offset:1
; %bb.216:                              ;   in Loop: Header=BB98_2 Depth=1
	s_or_saveexec_b64 s[22:23], s[22:23]
	v_mov_b32_e32 v53, v51
	s_xor_b64 exec, exec, s[22:23]
	s_cbranch_execz .LBB98_218
; %bb.217:                              ;   in Loop: Header=BB98_2 Depth=1
	ds_read_u8 v53, v54 offset:1
	s_waitcnt lgkmcnt(1)
	v_mov_b32_e32 v52, v50
.LBB98_218:                             ;   in Loop: Header=BB98_2 Depth=1
	s_or_b64 exec, exec, s[22:23]
	v_add_u32_e32 v57, 1, v55
	v_add_u32_e32 v56, 1, v54
	v_cndmask_b32_e64 v57, v57, v55, s[20:21]
	v_cndmask_b32_e64 v56, v54, v56, s[20:21]
	v_cmp_ge_i32_e64 s[24:25], v57, v38
	s_waitcnt lgkmcnt(0)
	v_cmp_lt_u16_sdwa s[26:27], v53, v52 src0_sel:BYTE_0 src1_sel:BYTE_0
	v_cmp_gt_i32_e64 s[22:23], s40, v56
	s_or_b64 s[24:25], s[24:25], s[26:27]
	s_and_b64 s[22:23], s[22:23], s[24:25]
	s_xor_b64 s[24:25], s[22:23], -1
                                        ; implicit-def: $vgpr54
	s_and_saveexec_b64 s[26:27], s[24:25]
	s_xor_b64 s[24:25], exec, s[26:27]
; %bb.219:                              ;   in Loop: Header=BB98_2 Depth=1
	ds_read_u8 v54, v57 offset:1
; %bb.220:                              ;   in Loop: Header=BB98_2 Depth=1
	s_or_saveexec_b64 s[24:25], s[24:25]
	v_mov_b32_e32 v55, v53
	s_xor_b64 exec, exec, s[24:25]
	s_cbranch_execz .LBB98_222
; %bb.221:                              ;   in Loop: Header=BB98_2 Depth=1
	ds_read_u8 v55, v56 offset:1
	s_waitcnt lgkmcnt(1)
	v_mov_b32_e32 v54, v52
.LBB98_222:                             ;   in Loop: Header=BB98_2 Depth=1
	s_or_b64 exec, exec, s[24:25]
	v_add_u32_e32 v59, 1, v57
	v_add_u32_e32 v58, 1, v56
	v_cndmask_b32_e64 v59, v59, v57, s[22:23]
	v_cndmask_b32_e64 v56, v56, v58, s[22:23]
	v_cmp_ge_i32_e64 s[26:27], v59, v38
	s_waitcnt lgkmcnt(0)
	v_cmp_lt_u16_sdwa s[42:43], v55, v54 src0_sel:BYTE_0 src1_sel:BYTE_0
	v_cmp_gt_i32_e64 s[24:25], s40, v56
	s_or_b64 s[26:27], s[26:27], s[42:43]
	s_and_b64 s[24:25], s[24:25], s[26:27]
	s_xor_b64 s[26:27], s[24:25], -1
                                        ; implicit-def: $vgpr57
                                        ; implicit-def: $vgpr58
	s_and_saveexec_b64 s[42:43], s[26:27]
	s_xor_b64 s[26:27], exec, s[42:43]
; %bb.223:                              ;   in Loop: Header=BB98_2 Depth=1
	ds_read_u8 v57, v59 offset:1
	v_add_u32_e32 v58, 1, v59
                                        ; implicit-def: $vgpr59
; %bb.224:                              ;   in Loop: Header=BB98_2 Depth=1
	s_or_saveexec_b64 s[26:27], s[26:27]
	v_mov_b32_e32 v60, v55
	s_xor_b64 exec, exec, s[26:27]
	s_cbranch_execz .LBB98_1
; %bb.225:                              ;   in Loop: Header=BB98_2 Depth=1
	ds_read_u8 v60, v56 offset:1
	v_add_u32_e32 v56, 1, v56
	v_mov_b32_e32 v58, v59
	s_waitcnt lgkmcnt(1)
	v_mov_b32_e32 v57, v54
	s_branch .LBB98_1
.LBB98_226:
	s_add_u32 s0, s30, s33
	s_addc_u32 s1, s31, 0
	v_mov_b32_e32 v1, s1
	v_add_co_u32_e32 v0, vcc, s0, v0
	v_addc_co_u32_e32 v1, vcc, 0, v1, vcc
	global_store_byte v[0:1], v59, off
	global_store_byte v[0:1], v44, off offset:128
	global_store_byte v[0:1], v45, off offset:256
	;; [unrolled: 1-line block ×7, first 2 shown]
	s_endpgm
	.section	.rodata,"a",@progbits
	.p2align	6, 0x0
	.amdhsa_kernel _Z16sort_keys_kernelIhLj128ELj8EN10test_utils4lessELj10EEvPKT_PS2_T2_
		.amdhsa_group_segment_fixed_size 1025
		.amdhsa_private_segment_fixed_size 0
		.amdhsa_kernarg_size 20
		.amdhsa_user_sgpr_count 6
		.amdhsa_user_sgpr_private_segment_buffer 1
		.amdhsa_user_sgpr_dispatch_ptr 0
		.amdhsa_user_sgpr_queue_ptr 0
		.amdhsa_user_sgpr_kernarg_segment_ptr 1
		.amdhsa_user_sgpr_dispatch_id 0
		.amdhsa_user_sgpr_flat_scratch_init 0
		.amdhsa_user_sgpr_private_segment_size 0
		.amdhsa_uses_dynamic_stack 0
		.amdhsa_system_sgpr_private_segment_wavefront_offset 0
		.amdhsa_system_sgpr_workgroup_id_x 1
		.amdhsa_system_sgpr_workgroup_id_y 0
		.amdhsa_system_sgpr_workgroup_id_z 0
		.amdhsa_system_sgpr_workgroup_info 0
		.amdhsa_system_vgpr_workitem_id 0
		.amdhsa_next_free_vgpr 61
		.amdhsa_next_free_sgpr 44
		.amdhsa_reserve_vcc 1
		.amdhsa_reserve_flat_scratch 0
		.amdhsa_float_round_mode_32 0
		.amdhsa_float_round_mode_16_64 0
		.amdhsa_float_denorm_mode_32 3
		.amdhsa_float_denorm_mode_16_64 3
		.amdhsa_dx10_clamp 1
		.amdhsa_ieee_mode 1
		.amdhsa_fp16_overflow 0
		.amdhsa_exception_fp_ieee_invalid_op 0
		.amdhsa_exception_fp_denorm_src 0
		.amdhsa_exception_fp_ieee_div_zero 0
		.amdhsa_exception_fp_ieee_overflow 0
		.amdhsa_exception_fp_ieee_underflow 0
		.amdhsa_exception_fp_ieee_inexact 0
		.amdhsa_exception_int_div_zero 0
	.end_amdhsa_kernel
	.section	.text._Z16sort_keys_kernelIhLj128ELj8EN10test_utils4lessELj10EEvPKT_PS2_T2_,"axG",@progbits,_Z16sort_keys_kernelIhLj128ELj8EN10test_utils4lessELj10EEvPKT_PS2_T2_,comdat
.Lfunc_end98:
	.size	_Z16sort_keys_kernelIhLj128ELj8EN10test_utils4lessELj10EEvPKT_PS2_T2_, .Lfunc_end98-_Z16sort_keys_kernelIhLj128ELj8EN10test_utils4lessELj10EEvPKT_PS2_T2_
                                        ; -- End function
	.set _Z16sort_keys_kernelIhLj128ELj8EN10test_utils4lessELj10EEvPKT_PS2_T2_.num_vgpr, 61
	.set _Z16sort_keys_kernelIhLj128ELj8EN10test_utils4lessELj10EEvPKT_PS2_T2_.num_agpr, 0
	.set _Z16sort_keys_kernelIhLj128ELj8EN10test_utils4lessELj10EEvPKT_PS2_T2_.numbered_sgpr, 44
	.set _Z16sort_keys_kernelIhLj128ELj8EN10test_utils4lessELj10EEvPKT_PS2_T2_.num_named_barrier, 0
	.set _Z16sort_keys_kernelIhLj128ELj8EN10test_utils4lessELj10EEvPKT_PS2_T2_.private_seg_size, 0
	.set _Z16sort_keys_kernelIhLj128ELj8EN10test_utils4lessELj10EEvPKT_PS2_T2_.uses_vcc, 1
	.set _Z16sort_keys_kernelIhLj128ELj8EN10test_utils4lessELj10EEvPKT_PS2_T2_.uses_flat_scratch, 0
	.set _Z16sort_keys_kernelIhLj128ELj8EN10test_utils4lessELj10EEvPKT_PS2_T2_.has_dyn_sized_stack, 0
	.set _Z16sort_keys_kernelIhLj128ELj8EN10test_utils4lessELj10EEvPKT_PS2_T2_.has_recursion, 0
	.set _Z16sort_keys_kernelIhLj128ELj8EN10test_utils4lessELj10EEvPKT_PS2_T2_.has_indirect_call, 0
	.section	.AMDGPU.csdata,"",@progbits
; Kernel info:
; codeLenInByte = 9644
; TotalNumSgprs: 48
; NumVgprs: 61
; ScratchSize: 0
; MemoryBound: 0
; FloatMode: 240
; IeeeMode: 1
; LDSByteSize: 1025 bytes/workgroup (compile time only)
; SGPRBlocks: 5
; VGPRBlocks: 15
; NumSGPRsForWavesPerEU: 48
; NumVGPRsForWavesPerEU: 61
; Occupancy: 4
; WaveLimiterHint : 1
; COMPUTE_PGM_RSRC2:SCRATCH_EN: 0
; COMPUTE_PGM_RSRC2:USER_SGPR: 6
; COMPUTE_PGM_RSRC2:TRAP_HANDLER: 0
; COMPUTE_PGM_RSRC2:TGID_X_EN: 1
; COMPUTE_PGM_RSRC2:TGID_Y_EN: 0
; COMPUTE_PGM_RSRC2:TGID_Z_EN: 0
; COMPUTE_PGM_RSRC2:TIDIG_COMP_CNT: 0
	.section	.text._Z17sort_pairs_kernelIhLj128ELj8EN10test_utils4lessELj10EEvPKT_PS2_T2_,"axG",@progbits,_Z17sort_pairs_kernelIhLj128ELj8EN10test_utils4lessELj10EEvPKT_PS2_T2_,comdat
	.protected	_Z17sort_pairs_kernelIhLj128ELj8EN10test_utils4lessELj10EEvPKT_PS2_T2_ ; -- Begin function _Z17sort_pairs_kernelIhLj128ELj8EN10test_utils4lessELj10EEvPKT_PS2_T2_
	.globl	_Z17sort_pairs_kernelIhLj128ELj8EN10test_utils4lessELj10EEvPKT_PS2_T2_
	.p2align	8
	.type	_Z17sort_pairs_kernelIhLj128ELj8EN10test_utils4lessELj10EEvPKT_PS2_T2_,@function
_Z17sort_pairs_kernelIhLj128ELj8EN10test_utils4lessELj10EEvPKT_PS2_T2_: ; @_Z17sort_pairs_kernelIhLj128ELj8EN10test_utils4lessELj10EEvPKT_PS2_T2_
; %bb.0:
	s_load_dwordx4 s[0:3], s[4:5], 0x0
	s_lshl_b32 s4, s6, 10
                                        ; implicit-def: $vgpr82 : SGPR spill to VGPR lane
	v_lshlrev_b32_e32 v5, 3, v0
	v_writelane_b32 v82, s4, 0
	v_and_b32_e32 v6, 0x3f0, v5
	s_waitcnt lgkmcnt(0)
	s_add_u32 s0, s0, s4
	v_writelane_b32 v82, s0, 1
	v_writelane_b32 v82, s1, 2
	;; [unrolled: 1-line block ×4, first 2 shown]
	s_addc_u32 s1, s1, 0
	s_nop 0
	global_load_ubyte v1, v0, s[0:1]
	global_load_ubyte v2, v0, s[0:1] offset:256
	global_load_ubyte v3, v0, s[0:1] offset:512
	;; [unrolled: 1-line block ×7, first 2 shown]
	v_and_b32_e32 v7, 0x3e0, v5
	v_or_b32_e32 v12, 8, v6
	v_add_u32_e32 v13, 16, v6
	v_and_b32_e32 v28, 8, v5
	v_or_b32_e32 v14, 16, v7
	v_add_u32_e32 v15, 32, v7
	v_sub_u32_e32 v36, v13, v12
	v_and_b32_e32 v29, 24, v5
	v_sub_u32_e32 v37, v15, v14
	v_sub_u32_e32 v26, v12, v6
	;; [unrolled: 1-line block ×3, first 2 shown]
	v_cmp_ge_i32_e32 vcc, v28, v36
	v_and_b32_e32 v8, 0x3c0, v5
	v_add_u32_e32 v24, v12, v28
	v_sub_u32_e32 v27, v14, v7
	v_sub_u32_e32 v45, v29, v37
	v_min_i32_e32 v26, v28, v26
	v_cndmask_b32_e32 v28, 0, v44, vcc
	v_cmp_ge_i32_e32 vcc, v29, v37
	s_mov_b32 s88, 0xc0c0004
	v_and_b32_e32 v9, 0x380, v5
	v_or_b32_e32 v16, 32, v8
	v_add_u32_e32 v17, 64, v8
	v_add_u32_e32 v25, v14, v29
	v_min_i32_e32 v27, v29, v27
	v_cndmask_b32_e32 v29, 0, v45, vcc
	s_movk_i32 s0, 0x100
	v_and_b32_e32 v34, 56, v5
	v_and_b32_e32 v10, 0x300, v5
	v_or_b32_e32 v18, 64, v9
	v_add_u32_e32 v19, 0x80, v9
	v_sub_u32_e32 v39, v17, v16
	v_and_b32_e32 v35, 0x78, v5
	v_and_b32_e32 v11, 0x200, v5
	v_or_b32_e32 v20, 0x80, v10
	v_add_u32_e32 v21, 0x100, v10
	v_sub_u32_e32 v40, v19, v18
	v_sub_u32_e32 v46, v34, v39
	v_cmp_ge_i32_e32 vcc, v34, v39
	v_and_b32_e32 v38, 0xf8, v5
	v_or_b32_e32 v22, 0x100, v11
	v_add_u32_e32 v23, 0x200, v11
	v_sub_u32_e32 v42, v21, v20
	v_sub_u32_e32 v47, v35, v40
	v_and_b32_e32 v41, 0x1f8, v5
	v_sub_u32_e32 v43, v23, v22
	v_sub_u32_e32 v48, v38, v42
	;; [unrolled: 1-line block ×3, first 2 shown]
	v_cmp_lt_i32_e64 s[2:3], v28, v26
	v_writelane_b32 v82, s2, 5
	s_mov_b32 s89, 0
	v_writelane_b32 v82, s3, 6
	v_cmp_lt_i32_e64 s[2:3], v29, v27
	s_movk_i32 s90, 0xff
	s_mov_b32 s91, 0x7060405
	s_mov_b32 s92, 0xc0c0001
	;; [unrolled: 1-line block ×7, first 2 shown]
	s_movk_i32 s87, 0x400
	s_waitcnt vmcnt(7)
	v_add_u16_e32 v36, 1, v1
	s_waitcnt vmcnt(6)
	v_add_u16_e32 v37, 1, v2
	;; [unrolled: 2-line block ×4, first 2 shown]
	s_waitcnt vmcnt(3)
	v_lshlrev_b16_e32 v53, 8, v30
	s_waitcnt vmcnt(2)
	v_lshlrev_b16_e32 v52, 8, v31
	;; [unrolled: 2-line block ×4, first 2 shown]
	v_perm_b32 v1, v1, v33, s88
	v_perm_b32 v2, v2, v32, s88
	;; [unrolled: 1-line block ×4, first 2 shown]
	v_or_b32_sdwa v31, v50, v36 dst_sel:DWORD dst_unused:UNUSED_PAD src0_sel:DWORD src1_sel:BYTE_0
	v_or_b32_sdwa v32, v51, v37 dst_sel:DWORD dst_unused:UNUSED_PAD src0_sel:DWORD src1_sel:BYTE_0
	;; [unrolled: 1-line block ×4, first 2 shown]
	v_lshl_or_b32 v4, v2, 16, v1
	v_lshl_or_b32 v3, v30, 16, v3
	v_add_u16_e32 v1, 0x100, v31
	v_add_u16_sdwa v2, v32, s0 dst_sel:WORD_1 dst_unused:UNUSED_PAD src0_sel:DWORD src1_sel:DWORD
	v_add_u16_e32 v30, 0x100, v33
	v_add_u16_sdwa v31, v36, s0 dst_sel:WORD_1 dst_unused:UNUSED_PAD src0_sel:DWORD src1_sel:DWORD
	v_or_b32_e32 v1, v1, v2
	v_or_b32_e32 v2, v30, v31
	v_cndmask_b32_e32 v30, 0, v46, vcc
	v_cmp_ge_i32_e32 vcc, v35, v40
	v_sub_u32_e32 v31, v16, v8
	v_cndmask_b32_e32 v33, 0, v47, vcc
	v_cmp_ge_i32_e32 vcc, v38, v42
	v_min_i32_e32 v31, v34, v31
	v_add_u32_e32 v32, v16, v34
	v_sub_u32_e32 v34, v18, v9
	v_cndmask_b32_e32 v36, 0, v48, vcc
	v_sub_u32_e32 v37, v20, v10
	v_cmp_ge_i32_e32 vcc, v41, v43
	v_sub_u32_e32 v40, v22, v11
	v_mov_b32_e32 v42, 0x200
	v_min_i32_e32 v34, v35, v34
	v_min_i32_e32 v37, v38, v37
	v_cndmask_b32_e32 v39, 0, v49, vcc
	v_min_i32_e32 v40, v41, v40
	v_sub_u32_e64 v43, v5, v42 clamp
	v_min_i32_e32 v44, 0x200, v5
	v_cmp_lt_i32_e64 s[4:5], v30, v31
	v_cmp_lt_i32_e64 s[6:7], v33, v34
	v_add_u32_e32 v35, v18, v35
	v_cmp_lt_i32_e64 s[8:9], v36, v37
	v_add_u32_e32 v38, v20, v38
	;; [unrolled: 2-line block ×4, first 2 shown]
	s_branch .LBB99_2
.LBB99_1:                               ;   in Loop: Header=BB99_2 Depth=1
	s_or_b64 exec, exec, s[26:27]
	v_cndmask_b32_e32 v52, v52, v53, vcc
	v_cndmask_b32_e64 v53, v54, v55, s[14:15]
	v_cndmask_b32_e64 v56, v57, v56, s[14:15]
	v_cmp_ge_i32_e64 s[14:15], v78, v42
	s_waitcnt lgkmcnt(0)
	v_cmp_lt_u16_sdwa s[0:1], v81, v79 src0_sel:BYTE_0 src1_sel:BYTE_0
	v_cndmask_b32_e32 v51, v50, v51, vcc
	v_cmp_gt_i32_e32 vcc, s87, v76
	s_or_b64 s[0:1], s[14:15], s[0:1]
	s_and_b64 vcc, vcc, s[0:1]
	v_perm_b32 v47, v47, v48, s88
	v_perm_b32 v46, v49, v46, s88
	;; [unrolled: 1-line block ×4, first 2 shown]
	v_cndmask_b32_e64 v55, v62, v63, s[18:19]
	v_cndmask_b32_e64 v60, v61, v60, s[16:17]
	v_cndmask_b32_e32 v57, v78, v76, vcc
	v_lshl_or_b32 v47, v46, 16, v47
	v_lshl_or_b32 v46, v2, 16, v1
	v_cndmask_b32_e64 v54, v58, v59, s[16:17]
	v_cndmask_b32_e64 v58, v66, v67, s[20:21]
	;; [unrolled: 1-line block ×5, first 2 shown]
	s_barrier
	ds_write_b64 v5, v[46:47]
	s_waitcnt lgkmcnt(0)
	s_barrier
	ds_read_u8 v46, v51
	ds_read_u8 v47, v77
	ds_read_u8 v48, v57
	ds_read_u8 v49, v56
	ds_read_u8 v51, v60
	ds_read_u8 v56, v64
	ds_read_u8 v57, v66
	ds_read_u8 v60, v63
	v_lshlrev_b16_e32 v1, 8, v53
	v_lshlrev_b16_e32 v2, 8, v55
	v_cndmask_b32_e64 v59, v70, v71, s[22:23]
	v_cndmask_b32_e32 v50, v79, v81, vcc
	v_or_b32_sdwa v1, v52, v1 dst_sel:DWORD dst_unused:UNUSED_PAD src0_sel:BYTE_0 src1_sel:DWORD
	v_or_b32_sdwa v2, v54, v2 dst_sel:WORD_1 dst_unused:UNUSED_PAD src0_sel:BYTE_0 src1_sel:DWORD
	v_cndmask_b32_e64 v62, v74, v75, s[24:25]
	v_or_b32_sdwa v4, v1, v2 dst_sel:DWORD dst_unused:UNUSED_PAD src0_sel:WORD_0 src1_sel:DWORD
	v_lshlrev_b16_e32 v1, 8, v59
	v_lshlrev_b16_e32 v2, 8, v50
	v_or_b32_sdwa v1, v58, v1 dst_sel:DWORD dst_unused:UNUSED_PAD src0_sel:BYTE_0 src1_sel:DWORD
	v_or_b32_sdwa v2, v62, v2 dst_sel:WORD_1 dst_unused:UNUSED_PAD src0_sel:BYTE_0 src1_sel:DWORD
	v_or_b32_sdwa v3, v1, v2 dst_sel:DWORD dst_unused:UNUSED_PAD src0_sel:WORD_0 src1_sel:DWORD
	s_waitcnt lgkmcnt(4)
	v_perm_b32 v1, v46, v49, s88
	s_waitcnt lgkmcnt(2)
	v_perm_b32 v2, v51, v56, s88
	s_add_i32 s89, s89, 1
	v_lshl_or_b32 v1, v2, 16, v1
	s_waitcnt lgkmcnt(0)
	v_perm_b32 v2, v57, v60, s88
	v_perm_b32 v61, v47, v48, s88
	s_cmp_eq_u32 s89, 10
	v_lshl_or_b32 v2, v61, 16, v2
	s_cbranch_scc1 .LBB99_226
.LBB99_2:                               ; =>This Loop Header: Depth=1
                                        ;     Child Loop BB99_4 Depth 2
                                        ;     Child Loop BB99_36 Depth 2
	;; [unrolled: 1-line block ×7, first 2 shown]
	v_lshrrev_b32_e32 v47, 8, v4
	v_perm_b32 v46, v4, v4, s91
	v_cmp_lt_u16_sdwa s[14:15], v47, v4 src0_sel:BYTE_0 src1_sel:BYTE_0
	v_cndmask_b32_e64 v4, v4, v46, s[14:15]
	v_lshrrev_b32_e32 v46, 16, v4
	v_perm_b32 v47, 0, v46, s92
	v_lshlrev_b32_e32 v47, 16, v47
	v_and_or_b32 v47, v4, s93, v47
	v_cmp_lt_u16_sdwa s[16:17], v4, v46 src0_sel:BYTE_3 src1_sel:BYTE_0
	v_cndmask_b32_e64 v4, v4, v47, s[16:17]
	v_lshrrev_b32_e32 v47, 8, v3
	v_perm_b32 v46, v3, v3, s91
	v_cmp_lt_u16_sdwa s[18:19], v47, v3 src0_sel:BYTE_0 src1_sel:BYTE_0
	v_cndmask_b32_e64 v3, v3, v46, s[18:19]
	v_and_b32_sdwa v46, v3, s90 dst_sel:DWORD dst_unused:UNUSED_PAD src0_sel:WORD_1 src1_sel:DWORD
	v_perm_b32 v47, v3, v3, s94
	v_cmp_lt_u16_sdwa s[20:21], v3, v46 src0_sel:BYTE_3 src1_sel:DWORD
	v_cndmask_b32_e64 v3, v3, v47, s[20:21]
	v_and_b32_sdwa v46, v4, s90 dst_sel:DWORD dst_unused:UNUSED_PAD src0_sel:WORD_1 src1_sel:DWORD
	v_lshrrev_b32_e32 v47, 8, v4
	v_perm_b32 v48, v4, v4, s95
	v_cmp_lt_u16_sdwa s[22:23], v46, v47 src0_sel:DWORD src1_sel:BYTE_0
	v_cndmask_b32_e64 v4, v4, v48, s[22:23]
	v_and_b32_sdwa v47, v4, s90 dst_sel:DWORD dst_unused:UNUSED_PAD src0_sel:WORD_1 src1_sel:DWORD
	v_lshlrev_b16_e32 v48, 8, v3
	v_perm_b32 v46, v4, v3, s33
	v_or_b32_sdwa v47, v47, v48 dst_sel:WORD_1 dst_unused:UNUSED_PAD src0_sel:DWORD src1_sel:DWORD
	v_cmp_lt_u16_sdwa s[24:25], v3, v4 src0_sel:BYTE_0 src1_sel:BYTE_3
	v_and_or_b32 v47, v4, s93, v47
	v_cndmask_b32_e64 v3, v3, v46, s[24:25]
	v_cndmask_b32_e64 v4, v4, v47, s[24:25]
	v_and_b32_sdwa v46, v3, s90 dst_sel:DWORD dst_unused:UNUSED_PAD src0_sel:WORD_1 src1_sel:DWORD
	v_lshrrev_b32_e32 v47, 8, v3
	v_cmp_lt_u16_sdwa s[26:27], v46, v47 src0_sel:DWORD src1_sel:BYTE_0
	v_perm_b32 v46, 0, v4, s92
	v_lshrrev_b32_e32 v47, 8, v4
	v_and_or_b32 v46, v4, s86, v46
	v_cmp_lt_u16_sdwa s[28:29], v47, v4 src0_sel:BYTE_0 src1_sel:BYTE_0
	v_cndmask_b32_e64 v4, v4, v46, s[28:29]
	v_lshrrev_b32_e32 v46, 16, v4
	v_perm_b32 v47, 0, v46, s92
	v_perm_b32 v48, v3, v3, s95
	v_lshlrev_b32_e32 v47, 16, v47
	v_cndmask_b32_e64 v3, v3, v48, s[26:27]
	v_and_or_b32 v47, v4, s93, v47
	v_cmp_lt_u16_sdwa s[30:31], v4, v46 src0_sel:BYTE_3 src1_sel:BYTE_0
	v_cndmask_b32_e64 v4, v4, v47, s[30:31]
	v_lshrrev_b32_e32 v47, 8, v3
	v_perm_b32 v46, v3, v3, s91
	v_cmp_lt_u16_sdwa s[34:35], v47, v3 src0_sel:BYTE_0 src1_sel:BYTE_0
	v_cndmask_b32_e64 v3, v3, v46, s[34:35]
	v_and_b32_sdwa v46, v3, s90 dst_sel:DWORD dst_unused:UNUSED_PAD src0_sel:WORD_1 src1_sel:DWORD
	v_perm_b32 v47, v3, v3, s94
	v_cmp_lt_u16_sdwa s[36:37], v3, v46 src0_sel:BYTE_3 src1_sel:DWORD
	v_cndmask_b32_e64 v3, v3, v47, s[36:37]
	v_and_b32_sdwa v46, v4, s90 dst_sel:DWORD dst_unused:UNUSED_PAD src0_sel:WORD_1 src1_sel:DWORD
	v_lshrrev_b32_e32 v47, 8, v4
	v_perm_b32 v48, v4, v4, s95
	v_cmp_lt_u16_sdwa s[38:39], v46, v47 src0_sel:DWORD src1_sel:BYTE_0
	v_cndmask_b32_e64 v4, v4, v48, s[38:39]
	v_and_b32_sdwa v47, v4, s90 dst_sel:DWORD dst_unused:UNUSED_PAD src0_sel:WORD_1 src1_sel:DWORD
	v_lshlrev_b16_e32 v48, 8, v3
	v_perm_b32 v46, v4, v3, s33
	v_or_b32_sdwa v47, v47, v48 dst_sel:WORD_1 dst_unused:UNUSED_PAD src0_sel:DWORD src1_sel:DWORD
	v_cmp_lt_u16_sdwa s[40:41], v3, v4 src0_sel:BYTE_0 src1_sel:BYTE_3
	v_and_or_b32 v47, v4, s93, v47
	v_cndmask_b32_e64 v3, v3, v46, s[40:41]
	v_cndmask_b32_e64 v4, v4, v47, s[40:41]
	v_and_b32_sdwa v46, v3, s90 dst_sel:DWORD dst_unused:UNUSED_PAD src0_sel:WORD_1 src1_sel:DWORD
	v_lshrrev_b32_e32 v47, 8, v3
	v_cmp_lt_u16_sdwa s[42:43], v46, v47 src0_sel:DWORD src1_sel:BYTE_0
	v_perm_b32 v46, 0, v4, s92
	v_lshrrev_b32_e32 v47, 8, v4
	v_and_or_b32 v46, v4, s86, v46
	v_cmp_lt_u16_sdwa s[44:45], v47, v4 src0_sel:BYTE_0 src1_sel:BYTE_0
	v_cndmask_b32_e64 v4, v4, v46, s[44:45]
	v_lshrrev_b32_e32 v46, 16, v4
	v_perm_b32 v47, 0, v46, s92
	v_perm_b32 v48, v3, v3, s95
	v_lshlrev_b32_e32 v47, 16, v47
	v_cndmask_b32_e64 v3, v3, v48, s[42:43]
	;; [unrolled: 37-line block ×3, first 2 shown]
	v_and_or_b32 v47, v4, s93, v47
	v_cmp_lt_u16_sdwa s[60:61], v4, v46 src0_sel:BYTE_3 src1_sel:BYTE_0
	v_cndmask_b32_e64 v4, v4, v47, s[60:61]
	v_lshrrev_b32_e32 v47, 8, v3
	v_perm_b32 v46, v3, v3, s91
	v_cmp_lt_u16_sdwa s[62:63], v47, v3 src0_sel:BYTE_0 src1_sel:BYTE_0
	v_cndmask_b32_e64 v3, v3, v46, s[62:63]
	v_and_b32_sdwa v46, v3, s90 dst_sel:DWORD dst_unused:UNUSED_PAD src0_sel:WORD_1 src1_sel:DWORD
	v_perm_b32 v47, v3, v3, s94
	v_cmp_lt_u16_sdwa s[64:65], v3, v46 src0_sel:BYTE_3 src1_sel:DWORD
	v_cndmask_b32_e64 v46, v3, v47, s[64:65]
	v_and_b32_sdwa v3, v4, s90 dst_sel:DWORD dst_unused:UNUSED_PAD src0_sel:WORD_1 src1_sel:DWORD
	v_lshrrev_b32_e32 v47, 8, v4
	v_perm_b32 v48, v4, v4, s95
	v_cmp_lt_u16_sdwa s[66:67], v3, v47 src0_sel:DWORD src1_sel:BYTE_0
	v_cndmask_b32_e64 v3, v4, v48, s[66:67]
	v_and_b32_sdwa v47, v3, s90 dst_sel:DWORD dst_unused:UNUSED_PAD src0_sel:WORD_1 src1_sel:DWORD
	v_lshlrev_b16_e32 v48, 8, v46
	v_perm_b32 v4, v3, v46, s33
	v_or_b32_sdwa v47, v47, v48 dst_sel:WORD_1 dst_unused:UNUSED_PAD src0_sel:DWORD src1_sel:DWORD
	v_cmp_lt_u16_sdwa s[68:69], v46, v3 src0_sel:BYTE_0 src1_sel:BYTE_3
	v_and_or_b32 v47, v3, s93, v47
	v_cndmask_b32_e64 v4, v46, v4, s[68:69]
	v_cndmask_b32_e64 v3, v3, v47, s[68:69]
	v_and_b32_sdwa v46, v4, s90 dst_sel:DWORD dst_unused:UNUSED_PAD src0_sel:WORD_1 src1_sel:DWORD
	v_lshrrev_b32_e32 v47, 8, v4
	v_perm_b32 v48, v4, v4, s95
	v_cmp_lt_u16_sdwa s[70:71], v46, v47 src0_sel:DWORD src1_sel:BYTE_0
	v_readlane_b32 s0, v82, 5
	v_cndmask_b32_e64 v4, v4, v48, s[70:71]
	v_mov_b32_e32 v51, v28
	v_readlane_b32 s1, v82, 6
	s_barrier
	ds_write_b64 v5, v[3:4]
	s_waitcnt lgkmcnt(0)
	s_barrier
	s_and_saveexec_b64 s[72:73], s[0:1]
	s_cbranch_execz .LBB99_6
; %bb.3:                                ;   in Loop: Header=BB99_2 Depth=1
	s_mov_b64 s[74:75], 0
	v_mov_b32_e32 v51, v28
	v_mov_b32_e32 v3, v26
.LBB99_4:                               ;   Parent Loop BB99_2 Depth=1
                                        ; =>  This Inner Loop Header: Depth=2
	v_sub_u32_e32 v4, v3, v51
	v_lshrrev_b32_e32 v4, 1, v4
	v_add_u32_e32 v4, v4, v51
	v_add_u32_e32 v46, v6, v4
	v_xad_u32 v47, v4, -1, v24
	ds_read_u8 v46, v46
	ds_read_u8 v47, v47
	v_add_u32_e32 v48, 1, v4
	s_waitcnt lgkmcnt(0)
	v_cmp_lt_u16_e32 vcc, v47, v46
	v_cndmask_b32_e32 v3, v3, v4, vcc
	v_cndmask_b32_e32 v51, v48, v51, vcc
	v_cmp_ge_i32_e32 vcc, v51, v3
	s_or_b64 s[74:75], vcc, s[74:75]
	s_andn2_b64 exec, exec, s[74:75]
	s_cbranch_execnz .LBB99_4
; %bb.5:                                ;   in Loop: Header=BB99_2 Depth=1
	s_or_b64 exec, exec, s[74:75]
.LBB99_6:                               ;   in Loop: Header=BB99_2 Depth=1
	s_or_b64 exec, exec, s[72:73]
	v_add_u32_e32 v50, v51, v6
	v_sub_u32_e32 v51, v24, v51
	ds_read_u8 v52, v50
	ds_read_u8 v53, v51
	v_cmp_le_i32_e64 s[72:73], v12, v50
	v_cmp_gt_i32_e32 vcc, v13, v51
	v_lshrrev_b64 v[3:4], 24, v[1:2]
	v_lshrrev_b32_e32 v46, 8, v2
	s_waitcnt lgkmcnt(0)
	v_cmp_lt_u16_sdwa s[74:75], v53, v52 src0_sel:BYTE_0 src1_sel:BYTE_0
	s_or_b64 s[72:73], s[72:73], s[74:75]
	s_and_b64 s[72:73], vcc, s[72:73]
	v_lshrrev_b32_e32 v47, 16, v2
	v_lshrrev_b32_e32 v49, 24, v2
	;; [unrolled: 1-line block ×4, first 2 shown]
	s_xor_b64 s[74:75], s[72:73], -1
                                        ; implicit-def: $vgpr54
	s_and_saveexec_b64 s[76:77], s[74:75]
	s_xor_b64 s[74:75], exec, s[76:77]
; %bb.7:                                ;   in Loop: Header=BB99_2 Depth=1
	ds_read_u8 v54, v50 offset:1
; %bb.8:                                ;   in Loop: Header=BB99_2 Depth=1
	s_or_saveexec_b64 s[74:75], s[74:75]
	v_mov_b32_e32 v55, v53
	s_xor_b64 exec, exec, s[74:75]
	s_cbranch_execz .LBB99_10
; %bb.9:                                ;   in Loop: Header=BB99_2 Depth=1
	ds_read_u8 v55, v51 offset:1
	s_waitcnt lgkmcnt(1)
	v_mov_b32_e32 v54, v52
.LBB99_10:                              ;   in Loop: Header=BB99_2 Depth=1
	s_or_b64 exec, exec, s[74:75]
	v_add_u32_e32 v57, 1, v50
	v_add_u32_e32 v56, 1, v51
	v_cndmask_b32_e64 v57, v57, v50, s[72:73]
	v_cndmask_b32_e64 v56, v51, v56, s[72:73]
	v_cmp_ge_i32_e64 s[74:75], v57, v12
	s_waitcnt lgkmcnt(0)
	v_cmp_lt_u16_sdwa s[76:77], v55, v54 src0_sel:BYTE_0 src1_sel:BYTE_0
	v_cmp_lt_i32_e32 vcc, v56, v13
	s_or_b64 s[74:75], s[74:75], s[76:77]
	s_and_b64 s[74:75], vcc, s[74:75]
	s_xor_b64 s[76:77], s[74:75], -1
                                        ; implicit-def: $vgpr58
	s_and_saveexec_b64 s[78:79], s[76:77]
	s_xor_b64 s[76:77], exec, s[78:79]
; %bb.11:                               ;   in Loop: Header=BB99_2 Depth=1
	ds_read_u8 v58, v57 offset:1
; %bb.12:                               ;   in Loop: Header=BB99_2 Depth=1
	s_or_saveexec_b64 s[76:77], s[76:77]
	v_mov_b32_e32 v59, v55
	s_xor_b64 exec, exec, s[76:77]
	s_cbranch_execz .LBB99_14
; %bb.13:                               ;   in Loop: Header=BB99_2 Depth=1
	ds_read_u8 v59, v56 offset:1
	s_waitcnt lgkmcnt(1)
	v_mov_b32_e32 v58, v54
.LBB99_14:                              ;   in Loop: Header=BB99_2 Depth=1
	s_or_b64 exec, exec, s[76:77]
	v_add_u32_e32 v61, 1, v57
	v_add_u32_e32 v60, 1, v56
	v_cndmask_b32_e64 v61, v61, v57, s[74:75]
	v_cndmask_b32_e64 v60, v56, v60, s[74:75]
	v_cmp_ge_i32_e64 s[76:77], v61, v12
	s_waitcnt lgkmcnt(0)
	v_cmp_lt_u16_sdwa s[78:79], v59, v58 src0_sel:BYTE_0 src1_sel:BYTE_0
	v_cmp_lt_i32_e32 vcc, v60, v13
	s_or_b64 s[76:77], s[76:77], s[78:79]
	s_and_b64 s[76:77], vcc, s[76:77]
	s_xor_b64 s[78:79], s[76:77], -1
                                        ; implicit-def: $vgpr62
	s_and_saveexec_b64 s[80:81], s[78:79]
	s_xor_b64 s[78:79], exec, s[80:81]
; %bb.15:                               ;   in Loop: Header=BB99_2 Depth=1
	ds_read_u8 v62, v61 offset:1
; %bb.16:                               ;   in Loop: Header=BB99_2 Depth=1
	s_or_saveexec_b64 s[78:79], s[78:79]
	v_mov_b32_e32 v63, v59
	s_xor_b64 exec, exec, s[78:79]
	s_cbranch_execz .LBB99_18
; %bb.17:                               ;   in Loop: Header=BB99_2 Depth=1
	ds_read_u8 v63, v60 offset:1
	s_waitcnt lgkmcnt(1)
	v_mov_b32_e32 v62, v58
.LBB99_18:                              ;   in Loop: Header=BB99_2 Depth=1
	s_or_b64 exec, exec, s[78:79]
	v_add_u32_e32 v65, 1, v61
	v_add_u32_e32 v64, 1, v60
	v_cndmask_b32_e64 v65, v65, v61, s[76:77]
	v_cndmask_b32_e64 v64, v60, v64, s[76:77]
	v_cmp_ge_i32_e64 s[78:79], v65, v12
	s_waitcnt lgkmcnt(0)
	v_cmp_lt_u16_sdwa s[80:81], v63, v62 src0_sel:BYTE_0 src1_sel:BYTE_0
	v_cmp_lt_i32_e32 vcc, v64, v13
	s_or_b64 s[78:79], s[78:79], s[80:81]
	s_and_b64 s[78:79], vcc, s[78:79]
	s_xor_b64 s[80:81], s[78:79], -1
                                        ; implicit-def: $vgpr66
	s_and_saveexec_b64 s[82:83], s[80:81]
	s_xor_b64 s[80:81], exec, s[82:83]
; %bb.19:                               ;   in Loop: Header=BB99_2 Depth=1
	ds_read_u8 v66, v65 offset:1
; %bb.20:                               ;   in Loop: Header=BB99_2 Depth=1
	s_or_saveexec_b64 s[80:81], s[80:81]
	v_mov_b32_e32 v68, v63
	s_xor_b64 exec, exec, s[80:81]
	s_cbranch_execz .LBB99_22
; %bb.21:                               ;   in Loop: Header=BB99_2 Depth=1
	ds_read_u8 v68, v64 offset:1
	s_waitcnt lgkmcnt(1)
	v_mov_b32_e32 v66, v62
.LBB99_22:                              ;   in Loop: Header=BB99_2 Depth=1
	s_or_b64 exec, exec, s[80:81]
	v_add_u32_e32 v69, 1, v65
	v_add_u32_e32 v67, 1, v64
	v_cndmask_b32_e64 v71, v69, v65, s[78:79]
	v_cndmask_b32_e64 v70, v64, v67, s[78:79]
	v_cmp_ge_i32_e64 s[80:81], v71, v12
	s_waitcnt lgkmcnt(0)
	v_cmp_lt_u16_sdwa s[82:83], v68, v66 src0_sel:BYTE_0 src1_sel:BYTE_0
	v_cmp_lt_i32_e32 vcc, v70, v13
	s_or_b64 s[80:81], s[80:81], s[82:83]
	s_and_b64 s[80:81], vcc, s[80:81]
	s_xor_b64 s[82:83], s[80:81], -1
                                        ; implicit-def: $vgpr72
	s_and_saveexec_b64 s[84:85], s[82:83]
	s_xor_b64 s[82:83], exec, s[84:85]
; %bb.23:                               ;   in Loop: Header=BB99_2 Depth=1
	ds_read_u8 v72, v71 offset:1
; %bb.24:                               ;   in Loop: Header=BB99_2 Depth=1
	s_or_saveexec_b64 s[82:83], s[82:83]
	v_mov_b32_e32 v73, v68
	s_xor_b64 exec, exec, s[82:83]
	s_cbranch_execz .LBB99_26
; %bb.25:                               ;   in Loop: Header=BB99_2 Depth=1
	ds_read_u8 v73, v70 offset:1
	s_waitcnt lgkmcnt(1)
	v_mov_b32_e32 v72, v66
.LBB99_26:                              ;   in Loop: Header=BB99_2 Depth=1
	s_or_b64 exec, exec, s[82:83]
	v_add_u32_e32 v69, 1, v71
	v_add_u32_e32 v67, 1, v70
	v_cndmask_b32_e64 v75, v69, v71, s[80:81]
	v_cndmask_b32_e64 v74, v70, v67, s[80:81]
	v_cmp_ge_i32_e64 s[82:83], v75, v12
	s_waitcnt lgkmcnt(0)
	v_cmp_lt_u16_sdwa s[84:85], v73, v72 src0_sel:BYTE_0 src1_sel:BYTE_0
	v_cmp_lt_i32_e32 vcc, v74, v13
	s_or_b64 s[82:83], s[82:83], s[84:85]
	s_and_b64 vcc, vcc, s[82:83]
	s_xor_b64 s[82:83], vcc, -1
                                        ; implicit-def: $vgpr76
	s_and_saveexec_b64 s[84:85], s[82:83]
	s_xor_b64 s[82:83], exec, s[84:85]
; %bb.27:                               ;   in Loop: Header=BB99_2 Depth=1
	ds_read_u8 v76, v75 offset:1
; %bb.28:                               ;   in Loop: Header=BB99_2 Depth=1
	s_or_saveexec_b64 s[82:83], s[82:83]
	v_mov_b32_e32 v77, v73
	s_xor_b64 exec, exec, s[82:83]
	s_cbranch_execz .LBB99_30
; %bb.29:                               ;   in Loop: Header=BB99_2 Depth=1
	ds_read_u8 v77, v74 offset:1
	s_waitcnt lgkmcnt(1)
	v_mov_b32_e32 v76, v72
.LBB99_30:                              ;   in Loop: Header=BB99_2 Depth=1
	s_or_b64 exec, exec, s[82:83]
	v_add_u32_e32 v69, 1, v75
	v_add_u32_e32 v67, 1, v74
	v_cndmask_b32_e32 v79, v69, v75, vcc
	v_cndmask_b32_e32 v78, v74, v67, vcc
	v_cmp_ge_i32_e64 s[84:85], v79, v12
	s_waitcnt lgkmcnt(0)
	v_cmp_lt_u16_sdwa s[0:1], v77, v76 src0_sel:BYTE_0 src1_sel:BYTE_0
	v_cmp_lt_i32_e64 s[82:83], v78, v13
	s_or_b64 s[0:1], s[84:85], s[0:1]
	s_and_b64 s[82:83], s[82:83], s[0:1]
	s_xor_b64 s[0:1], s[82:83], -1
                                        ; implicit-def: $vgpr67
	s_and_saveexec_b64 s[84:85], s[0:1]
	s_xor_b64 s[84:85], exec, s[84:85]
; %bb.31:                               ;   in Loop: Header=BB99_2 Depth=1
	ds_read_u8 v67, v79 offset:1
; %bb.32:                               ;   in Loop: Header=BB99_2 Depth=1
	s_or_saveexec_b64 s[84:85], s[84:85]
	v_mov_b32_e32 v69, v77
	s_xor_b64 exec, exec, s[84:85]
	s_cbranch_execz .LBB99_34
; %bb.33:                               ;   in Loop: Header=BB99_2 Depth=1
	ds_read_u8 v69, v78 offset:1
	s_waitcnt lgkmcnt(1)
	v_mov_b32_e32 v67, v76
.LBB99_34:                              ;   in Loop: Header=BB99_2 Depth=1
	s_or_b64 exec, exec, s[84:85]
	v_perm_b32 v2, v2, v46, s88
	v_perm_b32 v46, v47, v49, s88
	v_lshl_or_b32 v2, v46, 16, v2
	v_perm_b32 v46, v4, v1, s88
	v_perm_b32 v1, v1, v4, s88
	;; [unrolled: 1-line block ×3, first 2 shown]
	v_cndmask_b32_e64 v1, v1, v46, s[14:15]
	v_lshl_or_b32 v1, v3, 16, v1
	v_perm_b32 v3, 0, v3, s92
	v_lshlrev_b32_e32 v3, 16, v3
	v_and_or_b32 v3, v1, s93, v3
	v_cndmask_b32_e64 v1, v1, v3, s[16:17]
	v_perm_b32 v3, v2, v2, s91
	v_cndmask_b32_e64 v2, v2, v3, s[18:19]
	v_perm_b32 v3, v2, v2, s94
	v_cndmask_b32_e64 v2, v2, v3, s[20:21]
	v_perm_b32 v3, v1, v1, s95
	v_cndmask_b32_e64 v1, v1, v3, s[22:23]
	v_and_b32_sdwa v4, v1, s90 dst_sel:DWORD dst_unused:UNUSED_PAD src0_sel:WORD_1 src1_sel:DWORD
	v_lshlrev_b16_e32 v46, 8, v2
	v_or_b32_sdwa v4, v4, v46 dst_sel:WORD_1 dst_unused:UNUSED_PAD src0_sel:DWORD src1_sel:DWORD
	v_and_or_b32 v4, v1, s93, v4
	v_perm_b32 v3, v1, v2, s33
	v_cndmask_b32_e64 v1, v1, v4, s[24:25]
	v_perm_b32 v4, 0, v1, s92
	v_cndmask_b32_e64 v2, v2, v3, s[24:25]
	v_and_or_b32 v4, v1, s86, v4
	v_perm_b32 v3, v2, v2, s95
	v_cndmask_b32_e64 v1, v1, v4, s[28:29]
	v_cndmask_b32_e64 v2, v2, v3, s[26:27]
	v_lshrrev_b32_e32 v3, 16, v1
	v_perm_b32 v3, 0, v3, s92
	v_lshlrev_b32_e32 v3, 16, v3
	v_and_or_b32 v3, v1, s93, v3
	v_cndmask_b32_e64 v1, v1, v3, s[30:31]
	v_perm_b32 v3, v2, v2, s91
	v_cndmask_b32_e64 v2, v2, v3, s[34:35]
	v_perm_b32 v3, v2, v2, s94
	v_cndmask_b32_e64 v2, v2, v3, s[36:37]
	v_perm_b32 v3, v1, v1, s95
	v_cndmask_b32_e64 v1, v1, v3, s[38:39]
	v_and_b32_sdwa v4, v1, s90 dst_sel:DWORD dst_unused:UNUSED_PAD src0_sel:WORD_1 src1_sel:DWORD
	v_lshlrev_b16_e32 v46, 8, v2
	v_or_b32_sdwa v4, v4, v46 dst_sel:WORD_1 dst_unused:UNUSED_PAD src0_sel:DWORD src1_sel:DWORD
	v_and_or_b32 v4, v1, s93, v4
	v_perm_b32 v3, v1, v2, s33
	v_cndmask_b32_e64 v1, v1, v4, s[40:41]
	v_perm_b32 v4, 0, v1, s92
	v_cndmask_b32_e64 v2, v2, v3, s[40:41]
	v_and_or_b32 v4, v1, s86, v4
	v_perm_b32 v3, v2, v2, s95
	v_cndmask_b32_e64 v1, v1, v4, s[44:45]
	v_cndmask_b32_e64 v2, v2, v3, s[42:43]
	v_lshrrev_b32_e32 v3, 16, v1
	;; [unrolled: 23-line block ×3, first 2 shown]
	v_perm_b32 v3, 0, v3, s92
	v_lshlrev_b32_e32 v3, 16, v3
	v_and_or_b32 v3, v1, s93, v3
	v_cndmask_b32_e64 v1, v1, v3, s[60:61]
	v_perm_b32 v3, v2, v2, s91
	v_cndmask_b32_e64 v2, v2, v3, s[62:63]
	v_perm_b32 v3, v2, v2, s94
	v_add_u32_e32 v80, 1, v79
	v_cndmask_b32_e64 v2, v2, v3, s[64:65]
	v_perm_b32 v3, v1, v1, s95
	v_cndmask_b32_e64 v76, v76, v77, s[82:83]
	v_add_u32_e32 v77, 1, v78
	v_cndmask_b32_e64 v80, v80, v79, s[82:83]
	v_cndmask_b32_e64 v1, v1, v3, s[66:67]
	;; [unrolled: 1-line block ×3, first 2 shown]
	v_perm_b32 v3, v1, v2, s33
	v_and_b32_sdwa v4, v1, s90 dst_sel:DWORD dst_unused:UNUSED_PAD src0_sel:WORD_1 src1_sel:DWORD
	v_lshlrev_b16_e32 v46, 8, v2
	v_cmp_ge_i32_e64 s[14:15], v80, v12
	s_waitcnt lgkmcnt(0)
	v_cmp_lt_u16_sdwa s[0:1], v69, v67 src0_sel:BYTE_0 src1_sel:BYTE_0
	v_cndmask_b32_sdwa v72, v72, v73, vcc dst_sel:BYTE_1 dst_unused:UNUSED_PAD src0_sel:DWORD src1_sel:DWORD
	v_cndmask_b32_e32 v73, v75, v74, vcc
	v_or_b32_sdwa v4, v4, v46 dst_sel:WORD_1 dst_unused:UNUSED_PAD src0_sel:DWORD src1_sel:DWORD
	v_cndmask_b32_e64 v2, v2, v3, s[68:69]
	v_cmp_lt_i32_e32 vcc, v77, v13
	s_or_b64 s[0:1], s[14:15], s[0:1]
	v_and_or_b32 v4, v1, s93, v4
	v_perm_b32 v3, v2, v2, s95
	s_and_b64 vcc, vcc, s[0:1]
	v_cndmask_b32_e64 v50, v50, v51, s[72:73]
	v_cndmask_b32_e64 v1, v1, v4, s[68:69]
	;; [unrolled: 1-line block ×3, first 2 shown]
	v_cndmask_b32_e32 v3, v80, v77, vcc
	v_cndmask_b32_e64 v78, v79, v78, s[82:83]
	v_cndmask_b32_e64 v66, v66, v68, s[80:81]
	;; [unrolled: 1-line block ×9, first 2 shown]
	s_barrier
	ds_write_b64 v5, v[1:2]
	s_waitcnt lgkmcnt(0)
	s_barrier
	ds_read_u8 v1, v50
	ds_read_u8 v46, v3
	;; [unrolled: 1-line block ×8, first 2 shown]
	v_cndmask_b32_e64 v52, v52, v53, s[72:73]
	v_lshlrev_b16_e32 v50, 8, v54
	v_cndmask_b32_e32 v51, v67, v69, vcc
	v_or_b32_sdwa v50, v52, v50 dst_sel:DWORD dst_unused:UNUSED_PAD src0_sel:BYTE_0 src1_sel:DWORD
	v_lshlrev_b16_e32 v52, 8, v62
	v_or_b32_sdwa v52, v58, v52 dst_sel:WORD_1 dst_unused:UNUSED_PAD src0_sel:BYTE_0 src1_sel:DWORD
	v_lshlrev_b16_e32 v51, 8, v51
	v_or_b32_sdwa v50, v50, v52 dst_sel:DWORD dst_unused:UNUSED_PAD src0_sel:WORD_0 src1_sel:DWORD
	v_or_b32_sdwa v52, v66, v72 dst_sel:DWORD dst_unused:UNUSED_PAD src0_sel:BYTE_0 src1_sel:DWORD
	v_or_b32_sdwa v51, v76, v51 dst_sel:WORD_1 dst_unused:UNUSED_PAD src0_sel:BYTE_0 src1_sel:DWORD
	v_or_b32_sdwa v51, v52, v51 dst_sel:DWORD dst_unused:UNUSED_PAD src0_sel:WORD_0 src1_sel:DWORD
	s_waitcnt lgkmcnt(0)
	s_barrier
	ds_write_b64 v5, v[50:51]
	v_mov_b32_e32 v51, v29
	s_waitcnt lgkmcnt(0)
	s_barrier
	s_and_saveexec_b64 s[14:15], s[2:3]
	s_cbranch_execz .LBB99_38
; %bb.35:                               ;   in Loop: Header=BB99_2 Depth=1
	s_mov_b64 s[16:17], 0
	v_mov_b32_e32 v51, v29
	v_mov_b32_e32 v50, v27
.LBB99_36:                              ;   Parent Loop BB99_2 Depth=1
                                        ; =>  This Inner Loop Header: Depth=2
	v_sub_u32_e32 v52, v50, v51
	v_lshrrev_b32_e32 v52, 1, v52
	v_add_u32_e32 v52, v52, v51
	v_add_u32_e32 v53, v7, v52
	v_xad_u32 v54, v52, -1, v25
	ds_read_u8 v53, v53
	ds_read_u8 v54, v54
	v_add_u32_e32 v55, 1, v52
	s_waitcnt lgkmcnt(0)
	v_cmp_lt_u16_e32 vcc, v54, v53
	v_cndmask_b32_e32 v50, v50, v52, vcc
	v_cndmask_b32_e32 v51, v55, v51, vcc
	v_cmp_ge_i32_e32 vcc, v51, v50
	s_or_b64 s[16:17], vcc, s[16:17]
	s_andn2_b64 exec, exec, s[16:17]
	s_cbranch_execnz .LBB99_36
; %bb.37:                               ;   in Loop: Header=BB99_2 Depth=1
	s_or_b64 exec, exec, s[16:17]
.LBB99_38:                              ;   in Loop: Header=BB99_2 Depth=1
	s_or_b64 exec, exec, s[14:15]
	v_add_u32_e32 v50, v51, v7
	v_sub_u32_e32 v51, v25, v51
	ds_read_u8 v52, v50
	ds_read_u8 v53, v51
	v_cmp_le_i32_e64 s[14:15], v14, v50
	v_cmp_gt_i32_e32 vcc, v15, v51
                                        ; implicit-def: $vgpr54
	s_waitcnt lgkmcnt(0)
	v_cmp_lt_u16_sdwa s[0:1], v53, v52 src0_sel:BYTE_0 src1_sel:BYTE_0
	s_or_b64 s[0:1], s[14:15], s[0:1]
	s_and_b64 s[14:15], vcc, s[0:1]
	s_xor_b64 s[0:1], s[14:15], -1
	s_and_saveexec_b64 s[16:17], s[0:1]
	s_xor_b64 s[16:17], exec, s[16:17]
; %bb.39:                               ;   in Loop: Header=BB99_2 Depth=1
	ds_read_u8 v54, v50 offset:1
; %bb.40:                               ;   in Loop: Header=BB99_2 Depth=1
	s_or_saveexec_b64 s[16:17], s[16:17]
	v_mov_b32_e32 v55, v53
	s_xor_b64 exec, exec, s[16:17]
	s_cbranch_execz .LBB99_42
; %bb.41:                               ;   in Loop: Header=BB99_2 Depth=1
	ds_read_u8 v55, v51 offset:1
	s_waitcnt lgkmcnt(1)
	v_mov_b32_e32 v54, v52
.LBB99_42:                              ;   in Loop: Header=BB99_2 Depth=1
	s_or_b64 exec, exec, s[16:17]
	v_add_u32_e32 v57, 1, v50
	v_add_u32_e32 v56, 1, v51
	v_cndmask_b32_e64 v57, v57, v50, s[14:15]
	v_cndmask_b32_e64 v56, v51, v56, s[14:15]
	v_cmp_ge_i32_e64 s[16:17], v57, v14
	s_waitcnt lgkmcnt(0)
	v_cmp_lt_u16_sdwa s[0:1], v55, v54 src0_sel:BYTE_0 src1_sel:BYTE_0
	v_cmp_lt_i32_e32 vcc, v56, v15
	s_or_b64 s[0:1], s[16:17], s[0:1]
	s_and_b64 s[16:17], vcc, s[0:1]
	s_xor_b64 s[0:1], s[16:17], -1
                                        ; implicit-def: $vgpr58
	s_and_saveexec_b64 s[18:19], s[0:1]
	s_xor_b64 s[18:19], exec, s[18:19]
; %bb.43:                               ;   in Loop: Header=BB99_2 Depth=1
	ds_read_u8 v58, v57 offset:1
; %bb.44:                               ;   in Loop: Header=BB99_2 Depth=1
	s_or_saveexec_b64 s[18:19], s[18:19]
	v_mov_b32_e32 v59, v55
	s_xor_b64 exec, exec, s[18:19]
	s_cbranch_execz .LBB99_46
; %bb.45:                               ;   in Loop: Header=BB99_2 Depth=1
	ds_read_u8 v59, v56 offset:1
	s_waitcnt lgkmcnt(1)
	v_mov_b32_e32 v58, v54
.LBB99_46:                              ;   in Loop: Header=BB99_2 Depth=1
	s_or_b64 exec, exec, s[18:19]
	v_add_u32_e32 v61, 1, v57
	v_add_u32_e32 v60, 1, v56
	v_cndmask_b32_e64 v61, v61, v57, s[16:17]
	v_cndmask_b32_e64 v60, v56, v60, s[16:17]
	v_cmp_ge_i32_e64 s[18:19], v61, v14
	s_waitcnt lgkmcnt(0)
	v_cmp_lt_u16_sdwa s[0:1], v59, v58 src0_sel:BYTE_0 src1_sel:BYTE_0
	v_cmp_lt_i32_e32 vcc, v60, v15
	s_or_b64 s[0:1], s[18:19], s[0:1]
	s_and_b64 s[18:19], vcc, s[0:1]
	s_xor_b64 s[0:1], s[18:19], -1
                                        ; implicit-def: $vgpr62
	s_and_saveexec_b64 s[20:21], s[0:1]
	s_xor_b64 s[20:21], exec, s[20:21]
; %bb.47:                               ;   in Loop: Header=BB99_2 Depth=1
	ds_read_u8 v62, v61 offset:1
; %bb.48:                               ;   in Loop: Header=BB99_2 Depth=1
	s_or_saveexec_b64 s[20:21], s[20:21]
	v_mov_b32_e32 v63, v59
	s_xor_b64 exec, exec, s[20:21]
	s_cbranch_execz .LBB99_50
; %bb.49:                               ;   in Loop: Header=BB99_2 Depth=1
	ds_read_u8 v63, v60 offset:1
	s_waitcnt lgkmcnt(1)
	v_mov_b32_e32 v62, v58
.LBB99_50:                              ;   in Loop: Header=BB99_2 Depth=1
	s_or_b64 exec, exec, s[20:21]
	v_add_u32_e32 v65, 1, v61
	v_add_u32_e32 v64, 1, v60
	v_cndmask_b32_e64 v65, v65, v61, s[18:19]
	v_cndmask_b32_e64 v64, v60, v64, s[18:19]
	v_cmp_ge_i32_e64 s[20:21], v65, v14
	s_waitcnt lgkmcnt(0)
	v_cmp_lt_u16_sdwa s[0:1], v63, v62 src0_sel:BYTE_0 src1_sel:BYTE_0
	v_cmp_lt_i32_e32 vcc, v64, v15
	s_or_b64 s[0:1], s[20:21], s[0:1]
	s_and_b64 s[20:21], vcc, s[0:1]
	s_xor_b64 s[0:1], s[20:21], -1
                                        ; implicit-def: $vgpr66
	s_and_saveexec_b64 s[22:23], s[0:1]
	s_xor_b64 s[22:23], exec, s[22:23]
; %bb.51:                               ;   in Loop: Header=BB99_2 Depth=1
	ds_read_u8 v66, v65 offset:1
; %bb.52:                               ;   in Loop: Header=BB99_2 Depth=1
	s_or_saveexec_b64 s[22:23], s[22:23]
	v_mov_b32_e32 v67, v63
	s_xor_b64 exec, exec, s[22:23]
	s_cbranch_execz .LBB99_54
; %bb.53:                               ;   in Loop: Header=BB99_2 Depth=1
	ds_read_u8 v67, v64 offset:1
	s_waitcnt lgkmcnt(1)
	v_mov_b32_e32 v66, v62
.LBB99_54:                              ;   in Loop: Header=BB99_2 Depth=1
	s_or_b64 exec, exec, s[22:23]
	v_add_u32_e32 v69, 1, v65
	v_add_u32_e32 v68, 1, v64
	v_cndmask_b32_e64 v69, v69, v65, s[20:21]
	v_cndmask_b32_e64 v68, v64, v68, s[20:21]
	v_cmp_ge_i32_e64 s[22:23], v69, v14
	s_waitcnt lgkmcnt(0)
	v_cmp_lt_u16_sdwa s[0:1], v67, v66 src0_sel:BYTE_0 src1_sel:BYTE_0
	v_cmp_lt_i32_e32 vcc, v68, v15
	s_or_b64 s[0:1], s[22:23], s[0:1]
	s_and_b64 s[22:23], vcc, s[0:1]
	s_xor_b64 s[0:1], s[22:23], -1
                                        ; implicit-def: $vgpr70
	s_and_saveexec_b64 s[24:25], s[0:1]
	s_xor_b64 s[24:25], exec, s[24:25]
; %bb.55:                               ;   in Loop: Header=BB99_2 Depth=1
	ds_read_u8 v70, v69 offset:1
; %bb.56:                               ;   in Loop: Header=BB99_2 Depth=1
	s_or_saveexec_b64 s[24:25], s[24:25]
	v_mov_b32_e32 v71, v67
	s_xor_b64 exec, exec, s[24:25]
	s_cbranch_execz .LBB99_58
; %bb.57:                               ;   in Loop: Header=BB99_2 Depth=1
	ds_read_u8 v71, v68 offset:1
	s_waitcnt lgkmcnt(1)
	v_mov_b32_e32 v70, v66
.LBB99_58:                              ;   in Loop: Header=BB99_2 Depth=1
	s_or_b64 exec, exec, s[24:25]
	v_add_u32_e32 v73, 1, v69
	v_add_u32_e32 v72, 1, v68
	v_cndmask_b32_e64 v73, v73, v69, s[22:23]
	v_cndmask_b32_e64 v72, v68, v72, s[22:23]
	v_cmp_ge_i32_e64 s[24:25], v73, v14
	s_waitcnt lgkmcnt(0)
	v_cmp_lt_u16_sdwa s[0:1], v71, v70 src0_sel:BYTE_0 src1_sel:BYTE_0
	v_cmp_lt_i32_e32 vcc, v72, v15
	s_or_b64 s[0:1], s[24:25], s[0:1]
	s_and_b64 vcc, vcc, s[0:1]
	s_xor_b64 s[0:1], vcc, -1
                                        ; implicit-def: $vgpr74
	s_and_saveexec_b64 s[24:25], s[0:1]
	s_xor_b64 s[24:25], exec, s[24:25]
; %bb.59:                               ;   in Loop: Header=BB99_2 Depth=1
	ds_read_u8 v74, v73 offset:1
; %bb.60:                               ;   in Loop: Header=BB99_2 Depth=1
	s_or_saveexec_b64 s[24:25], s[24:25]
	v_mov_b32_e32 v75, v71
	s_xor_b64 exec, exec, s[24:25]
	s_cbranch_execz .LBB99_62
; %bb.61:                               ;   in Loop: Header=BB99_2 Depth=1
	ds_read_u8 v75, v72 offset:1
	s_waitcnt lgkmcnt(1)
	v_mov_b32_e32 v74, v70
.LBB99_62:                              ;   in Loop: Header=BB99_2 Depth=1
	s_or_b64 exec, exec, s[24:25]
	v_add_u32_e32 v78, 1, v73
	v_add_u32_e32 v76, 1, v72
	v_cndmask_b32_e32 v78, v78, v73, vcc
	v_cndmask_b32_e32 v77, v72, v76, vcc
	v_cmp_ge_i32_e64 s[26:27], v78, v14
	s_waitcnt lgkmcnt(0)
	v_cmp_lt_u16_sdwa s[0:1], v75, v74 src0_sel:BYTE_0 src1_sel:BYTE_0
	v_cmp_lt_i32_e64 s[24:25], v77, v15
	s_or_b64 s[0:1], s[26:27], s[0:1]
	s_and_b64 s[24:25], s[24:25], s[0:1]
	s_xor_b64 s[0:1], s[24:25], -1
                                        ; implicit-def: $vgpr76
	s_and_saveexec_b64 s[26:27], s[0:1]
	s_xor_b64 s[26:27], exec, s[26:27]
; %bb.63:                               ;   in Loop: Header=BB99_2 Depth=1
	ds_read_u8 v76, v78 offset:1
; %bb.64:                               ;   in Loop: Header=BB99_2 Depth=1
	s_or_saveexec_b64 s[26:27], s[26:27]
	v_mov_b32_e32 v79, v75
	s_xor_b64 exec, exec, s[26:27]
	s_cbranch_execz .LBB99_66
; %bb.65:                               ;   in Loop: Header=BB99_2 Depth=1
	ds_read_u8 v79, v77 offset:1
	s_waitcnt lgkmcnt(1)
	v_mov_b32_e32 v76, v74
.LBB99_66:                              ;   in Loop: Header=BB99_2 Depth=1
	s_or_b64 exec, exec, s[26:27]
	v_add_u32_e32 v80, 1, v78
	v_cndmask_b32_e64 v74, v74, v75, s[24:25]
	v_add_u32_e32 v75, 1, v77
	v_cndmask_b32_e64 v80, v80, v78, s[24:25]
	v_cndmask_b32_e64 v75, v77, v75, s[24:25]
	;; [unrolled: 1-line block ×4, first 2 shown]
	v_cmp_ge_i32_e64 s[14:15], v80, v14
	s_waitcnt lgkmcnt(0)
	v_cmp_lt_u16_sdwa s[0:1], v79, v76 src0_sel:BYTE_0 src1_sel:BYTE_0
	v_cndmask_b32_sdwa v70, v70, v71, vcc dst_sel:BYTE_1 dst_unused:UNUSED_PAD src0_sel:DWORD src1_sel:DWORD
	v_cndmask_b32_e32 v71, v73, v72, vcc
	v_cmp_lt_i32_e32 vcc, v75, v15
	s_or_b64 s[0:1], s[14:15], s[0:1]
	v_perm_b32 v47, v47, v48, s88
	v_perm_b32 v46, v49, v46, s88
	;; [unrolled: 1-line block ×4, first 2 shown]
	s_and_b64 vcc, vcc, s[0:1]
	v_lshl_or_b32 v47, v46, 16, v47
	v_lshl_or_b32 v46, v2, 16, v1
	v_cndmask_b32_e64 v77, v78, v77, s[24:25]
	v_cndmask_b32_e64 v66, v66, v67, s[22:23]
	;; [unrolled: 1-line block ×9, first 2 shown]
	v_cndmask_b32_e32 v53, v80, v75, vcc
	s_barrier
	ds_write_b64 v5, v[46:47]
	s_waitcnt lgkmcnt(0)
	s_barrier
	ds_read_u8 v1, v50
	ds_read_u8 v46, v53
	;; [unrolled: 1-line block ×8, first 2 shown]
	v_lshlrev_b16_e32 v50, 8, v54
	v_cndmask_b32_e32 v51, v76, v79, vcc
	v_or_b32_sdwa v50, v52, v50 dst_sel:DWORD dst_unused:UNUSED_PAD src0_sel:BYTE_0 src1_sel:DWORD
	v_lshlrev_b16_e32 v52, 8, v62
	v_or_b32_sdwa v52, v58, v52 dst_sel:WORD_1 dst_unused:UNUSED_PAD src0_sel:BYTE_0 src1_sel:DWORD
	v_lshlrev_b16_e32 v51, 8, v51
	v_or_b32_sdwa v50, v50, v52 dst_sel:DWORD dst_unused:UNUSED_PAD src0_sel:WORD_0 src1_sel:DWORD
	v_or_b32_sdwa v52, v66, v70 dst_sel:DWORD dst_unused:UNUSED_PAD src0_sel:BYTE_0 src1_sel:DWORD
	v_or_b32_sdwa v51, v74, v51 dst_sel:WORD_1 dst_unused:UNUSED_PAD src0_sel:BYTE_0 src1_sel:DWORD
	v_or_b32_sdwa v51, v52, v51 dst_sel:DWORD dst_unused:UNUSED_PAD src0_sel:WORD_0 src1_sel:DWORD
	s_waitcnt lgkmcnt(0)
	s_barrier
	ds_write_b64 v5, v[50:51]
	v_mov_b32_e32 v51, v30
	s_waitcnt lgkmcnt(0)
	s_barrier
	s_and_saveexec_b64 s[14:15], s[4:5]
	s_cbranch_execz .LBB99_70
; %bb.67:                               ;   in Loop: Header=BB99_2 Depth=1
	s_mov_b64 s[16:17], 0
	v_mov_b32_e32 v51, v30
	v_mov_b32_e32 v50, v31
.LBB99_68:                              ;   Parent Loop BB99_2 Depth=1
                                        ; =>  This Inner Loop Header: Depth=2
	v_sub_u32_e32 v52, v50, v51
	v_lshrrev_b32_e32 v52, 1, v52
	v_add_u32_e32 v52, v52, v51
	v_add_u32_e32 v53, v8, v52
	v_xad_u32 v54, v52, -1, v32
	ds_read_u8 v53, v53
	ds_read_u8 v54, v54
	v_add_u32_e32 v55, 1, v52
	s_waitcnt lgkmcnt(0)
	v_cmp_lt_u16_e32 vcc, v54, v53
	v_cndmask_b32_e32 v50, v50, v52, vcc
	v_cndmask_b32_e32 v51, v55, v51, vcc
	v_cmp_ge_i32_e32 vcc, v51, v50
	s_or_b64 s[16:17], vcc, s[16:17]
	s_andn2_b64 exec, exec, s[16:17]
	s_cbranch_execnz .LBB99_68
; %bb.69:                               ;   in Loop: Header=BB99_2 Depth=1
	s_or_b64 exec, exec, s[16:17]
.LBB99_70:                              ;   in Loop: Header=BB99_2 Depth=1
	s_or_b64 exec, exec, s[14:15]
	v_add_u32_e32 v50, v51, v8
	v_sub_u32_e32 v51, v32, v51
	ds_read_u8 v52, v50
	ds_read_u8 v53, v51
	v_cmp_le_i32_e64 s[14:15], v16, v50
	v_cmp_gt_i32_e32 vcc, v17, v51
                                        ; implicit-def: $vgpr54
	s_waitcnt lgkmcnt(0)
	v_cmp_lt_u16_sdwa s[0:1], v53, v52 src0_sel:BYTE_0 src1_sel:BYTE_0
	s_or_b64 s[0:1], s[14:15], s[0:1]
	s_and_b64 s[14:15], vcc, s[0:1]
	s_xor_b64 s[0:1], s[14:15], -1
	s_and_saveexec_b64 s[16:17], s[0:1]
	s_xor_b64 s[16:17], exec, s[16:17]
; %bb.71:                               ;   in Loop: Header=BB99_2 Depth=1
	ds_read_u8 v54, v50 offset:1
; %bb.72:                               ;   in Loop: Header=BB99_2 Depth=1
	s_or_saveexec_b64 s[16:17], s[16:17]
	v_mov_b32_e32 v55, v53
	s_xor_b64 exec, exec, s[16:17]
	s_cbranch_execz .LBB99_74
; %bb.73:                               ;   in Loop: Header=BB99_2 Depth=1
	ds_read_u8 v55, v51 offset:1
	s_waitcnt lgkmcnt(1)
	v_mov_b32_e32 v54, v52
.LBB99_74:                              ;   in Loop: Header=BB99_2 Depth=1
	s_or_b64 exec, exec, s[16:17]
	v_add_u32_e32 v57, 1, v50
	v_add_u32_e32 v56, 1, v51
	v_cndmask_b32_e64 v57, v57, v50, s[14:15]
	v_cndmask_b32_e64 v56, v51, v56, s[14:15]
	v_cmp_ge_i32_e64 s[16:17], v57, v16
	s_waitcnt lgkmcnt(0)
	v_cmp_lt_u16_sdwa s[0:1], v55, v54 src0_sel:BYTE_0 src1_sel:BYTE_0
	v_cmp_lt_i32_e32 vcc, v56, v17
	s_or_b64 s[0:1], s[16:17], s[0:1]
	s_and_b64 s[16:17], vcc, s[0:1]
	s_xor_b64 s[0:1], s[16:17], -1
                                        ; implicit-def: $vgpr58
	s_and_saveexec_b64 s[18:19], s[0:1]
	s_xor_b64 s[18:19], exec, s[18:19]
; %bb.75:                               ;   in Loop: Header=BB99_2 Depth=1
	ds_read_u8 v58, v57 offset:1
; %bb.76:                               ;   in Loop: Header=BB99_2 Depth=1
	s_or_saveexec_b64 s[18:19], s[18:19]
	v_mov_b32_e32 v59, v55
	s_xor_b64 exec, exec, s[18:19]
	s_cbranch_execz .LBB99_78
; %bb.77:                               ;   in Loop: Header=BB99_2 Depth=1
	ds_read_u8 v59, v56 offset:1
	s_waitcnt lgkmcnt(1)
	v_mov_b32_e32 v58, v54
.LBB99_78:                              ;   in Loop: Header=BB99_2 Depth=1
	s_or_b64 exec, exec, s[18:19]
	v_add_u32_e32 v61, 1, v57
	v_add_u32_e32 v60, 1, v56
	v_cndmask_b32_e64 v61, v61, v57, s[16:17]
	v_cndmask_b32_e64 v60, v56, v60, s[16:17]
	v_cmp_ge_i32_e64 s[18:19], v61, v16
	s_waitcnt lgkmcnt(0)
	v_cmp_lt_u16_sdwa s[0:1], v59, v58 src0_sel:BYTE_0 src1_sel:BYTE_0
	v_cmp_lt_i32_e32 vcc, v60, v17
	s_or_b64 s[0:1], s[18:19], s[0:1]
	s_and_b64 s[18:19], vcc, s[0:1]
	s_xor_b64 s[0:1], s[18:19], -1
                                        ; implicit-def: $vgpr62
	s_and_saveexec_b64 s[20:21], s[0:1]
	s_xor_b64 s[20:21], exec, s[20:21]
; %bb.79:                               ;   in Loop: Header=BB99_2 Depth=1
	ds_read_u8 v62, v61 offset:1
; %bb.80:                               ;   in Loop: Header=BB99_2 Depth=1
	s_or_saveexec_b64 s[20:21], s[20:21]
	v_mov_b32_e32 v63, v59
	s_xor_b64 exec, exec, s[20:21]
	s_cbranch_execz .LBB99_82
; %bb.81:                               ;   in Loop: Header=BB99_2 Depth=1
	ds_read_u8 v63, v60 offset:1
	s_waitcnt lgkmcnt(1)
	v_mov_b32_e32 v62, v58
.LBB99_82:                              ;   in Loop: Header=BB99_2 Depth=1
	s_or_b64 exec, exec, s[20:21]
	v_add_u32_e32 v65, 1, v61
	v_add_u32_e32 v64, 1, v60
	v_cndmask_b32_e64 v65, v65, v61, s[18:19]
	v_cndmask_b32_e64 v64, v60, v64, s[18:19]
	v_cmp_ge_i32_e64 s[20:21], v65, v16
	s_waitcnt lgkmcnt(0)
	v_cmp_lt_u16_sdwa s[0:1], v63, v62 src0_sel:BYTE_0 src1_sel:BYTE_0
	v_cmp_lt_i32_e32 vcc, v64, v17
	s_or_b64 s[0:1], s[20:21], s[0:1]
	s_and_b64 s[20:21], vcc, s[0:1]
	s_xor_b64 s[0:1], s[20:21], -1
                                        ; implicit-def: $vgpr66
	s_and_saveexec_b64 s[22:23], s[0:1]
	s_xor_b64 s[22:23], exec, s[22:23]
; %bb.83:                               ;   in Loop: Header=BB99_2 Depth=1
	ds_read_u8 v66, v65 offset:1
; %bb.84:                               ;   in Loop: Header=BB99_2 Depth=1
	s_or_saveexec_b64 s[22:23], s[22:23]
	v_mov_b32_e32 v67, v63
	s_xor_b64 exec, exec, s[22:23]
	s_cbranch_execz .LBB99_86
; %bb.85:                               ;   in Loop: Header=BB99_2 Depth=1
	ds_read_u8 v67, v64 offset:1
	s_waitcnt lgkmcnt(1)
	v_mov_b32_e32 v66, v62
.LBB99_86:                              ;   in Loop: Header=BB99_2 Depth=1
	s_or_b64 exec, exec, s[22:23]
	v_add_u32_e32 v69, 1, v65
	v_add_u32_e32 v68, 1, v64
	v_cndmask_b32_e64 v69, v69, v65, s[20:21]
	v_cndmask_b32_e64 v68, v64, v68, s[20:21]
	v_cmp_ge_i32_e64 s[22:23], v69, v16
	s_waitcnt lgkmcnt(0)
	v_cmp_lt_u16_sdwa s[0:1], v67, v66 src0_sel:BYTE_0 src1_sel:BYTE_0
	v_cmp_lt_i32_e32 vcc, v68, v17
	s_or_b64 s[0:1], s[22:23], s[0:1]
	s_and_b64 s[22:23], vcc, s[0:1]
	s_xor_b64 s[0:1], s[22:23], -1
                                        ; implicit-def: $vgpr70
	s_and_saveexec_b64 s[24:25], s[0:1]
	s_xor_b64 s[24:25], exec, s[24:25]
; %bb.87:                               ;   in Loop: Header=BB99_2 Depth=1
	ds_read_u8 v70, v69 offset:1
; %bb.88:                               ;   in Loop: Header=BB99_2 Depth=1
	s_or_saveexec_b64 s[24:25], s[24:25]
	v_mov_b32_e32 v71, v67
	s_xor_b64 exec, exec, s[24:25]
	s_cbranch_execz .LBB99_90
; %bb.89:                               ;   in Loop: Header=BB99_2 Depth=1
	ds_read_u8 v71, v68 offset:1
	s_waitcnt lgkmcnt(1)
	v_mov_b32_e32 v70, v66
.LBB99_90:                              ;   in Loop: Header=BB99_2 Depth=1
	s_or_b64 exec, exec, s[24:25]
	v_add_u32_e32 v73, 1, v69
	v_add_u32_e32 v72, 1, v68
	v_cndmask_b32_e64 v73, v73, v69, s[22:23]
	v_cndmask_b32_e64 v72, v68, v72, s[22:23]
	v_cmp_ge_i32_e64 s[24:25], v73, v16
	s_waitcnt lgkmcnt(0)
	v_cmp_lt_u16_sdwa s[0:1], v71, v70 src0_sel:BYTE_0 src1_sel:BYTE_0
	v_cmp_lt_i32_e32 vcc, v72, v17
	s_or_b64 s[0:1], s[24:25], s[0:1]
	s_and_b64 vcc, vcc, s[0:1]
	s_xor_b64 s[0:1], vcc, -1
                                        ; implicit-def: $vgpr74
	s_and_saveexec_b64 s[24:25], s[0:1]
	s_xor_b64 s[24:25], exec, s[24:25]
; %bb.91:                               ;   in Loop: Header=BB99_2 Depth=1
	ds_read_u8 v74, v73 offset:1
; %bb.92:                               ;   in Loop: Header=BB99_2 Depth=1
	s_or_saveexec_b64 s[24:25], s[24:25]
	v_mov_b32_e32 v75, v71
	s_xor_b64 exec, exec, s[24:25]
	s_cbranch_execz .LBB99_94
; %bb.93:                               ;   in Loop: Header=BB99_2 Depth=1
	ds_read_u8 v75, v72 offset:1
	s_waitcnt lgkmcnt(1)
	v_mov_b32_e32 v74, v70
.LBB99_94:                              ;   in Loop: Header=BB99_2 Depth=1
	s_or_b64 exec, exec, s[24:25]
	v_add_u32_e32 v78, 1, v73
	v_add_u32_e32 v76, 1, v72
	v_cndmask_b32_e32 v78, v78, v73, vcc
	v_cndmask_b32_e32 v77, v72, v76, vcc
	v_cmp_ge_i32_e64 s[26:27], v78, v16
	s_waitcnt lgkmcnt(0)
	v_cmp_lt_u16_sdwa s[0:1], v75, v74 src0_sel:BYTE_0 src1_sel:BYTE_0
	v_cmp_lt_i32_e64 s[24:25], v77, v17
	s_or_b64 s[0:1], s[26:27], s[0:1]
	s_and_b64 s[24:25], s[24:25], s[0:1]
	s_xor_b64 s[0:1], s[24:25], -1
                                        ; implicit-def: $vgpr76
	s_and_saveexec_b64 s[26:27], s[0:1]
	s_xor_b64 s[26:27], exec, s[26:27]
; %bb.95:                               ;   in Loop: Header=BB99_2 Depth=1
	ds_read_u8 v76, v78 offset:1
; %bb.96:                               ;   in Loop: Header=BB99_2 Depth=1
	s_or_saveexec_b64 s[26:27], s[26:27]
	v_mov_b32_e32 v79, v75
	s_xor_b64 exec, exec, s[26:27]
	s_cbranch_execz .LBB99_98
; %bb.97:                               ;   in Loop: Header=BB99_2 Depth=1
	ds_read_u8 v79, v77 offset:1
	s_waitcnt lgkmcnt(1)
	v_mov_b32_e32 v76, v74
.LBB99_98:                              ;   in Loop: Header=BB99_2 Depth=1
	s_or_b64 exec, exec, s[26:27]
	v_add_u32_e32 v80, 1, v78
	v_cndmask_b32_e64 v74, v74, v75, s[24:25]
	v_add_u32_e32 v75, 1, v77
	v_cndmask_b32_e64 v80, v80, v78, s[24:25]
	v_cndmask_b32_e64 v75, v77, v75, s[24:25]
	;; [unrolled: 1-line block ×4, first 2 shown]
	v_cmp_ge_i32_e64 s[14:15], v80, v16
	s_waitcnt lgkmcnt(0)
	v_cmp_lt_u16_sdwa s[0:1], v79, v76 src0_sel:BYTE_0 src1_sel:BYTE_0
	v_cndmask_b32_sdwa v70, v70, v71, vcc dst_sel:BYTE_1 dst_unused:UNUSED_PAD src0_sel:DWORD src1_sel:DWORD
	v_cndmask_b32_e32 v71, v73, v72, vcc
	v_cmp_lt_i32_e32 vcc, v75, v17
	s_or_b64 s[0:1], s[14:15], s[0:1]
	v_perm_b32 v47, v47, v48, s88
	v_perm_b32 v46, v49, v46, s88
	;; [unrolled: 1-line block ×4, first 2 shown]
	s_and_b64 vcc, vcc, s[0:1]
	v_lshl_or_b32 v47, v46, 16, v47
	v_lshl_or_b32 v46, v2, 16, v1
	v_cndmask_b32_e64 v77, v78, v77, s[24:25]
	v_cndmask_b32_e64 v66, v66, v67, s[22:23]
	;; [unrolled: 1-line block ×9, first 2 shown]
	v_cndmask_b32_e32 v53, v80, v75, vcc
	s_barrier
	ds_write_b64 v5, v[46:47]
	s_waitcnt lgkmcnt(0)
	s_barrier
	ds_read_u8 v1, v50
	ds_read_u8 v46, v53
	;; [unrolled: 1-line block ×8, first 2 shown]
	v_lshlrev_b16_e32 v50, 8, v54
	v_cndmask_b32_e32 v51, v76, v79, vcc
	v_or_b32_sdwa v50, v52, v50 dst_sel:DWORD dst_unused:UNUSED_PAD src0_sel:BYTE_0 src1_sel:DWORD
	v_lshlrev_b16_e32 v52, 8, v62
	v_or_b32_sdwa v52, v58, v52 dst_sel:WORD_1 dst_unused:UNUSED_PAD src0_sel:BYTE_0 src1_sel:DWORD
	v_lshlrev_b16_e32 v51, 8, v51
	v_or_b32_sdwa v50, v50, v52 dst_sel:DWORD dst_unused:UNUSED_PAD src0_sel:WORD_0 src1_sel:DWORD
	v_or_b32_sdwa v52, v66, v70 dst_sel:DWORD dst_unused:UNUSED_PAD src0_sel:BYTE_0 src1_sel:DWORD
	v_or_b32_sdwa v51, v74, v51 dst_sel:WORD_1 dst_unused:UNUSED_PAD src0_sel:BYTE_0 src1_sel:DWORD
	v_or_b32_sdwa v51, v52, v51 dst_sel:DWORD dst_unused:UNUSED_PAD src0_sel:WORD_0 src1_sel:DWORD
	s_waitcnt lgkmcnt(0)
	s_barrier
	ds_write_b64 v5, v[50:51]
	v_mov_b32_e32 v51, v33
	s_waitcnt lgkmcnt(0)
	s_barrier
	s_and_saveexec_b64 s[14:15], s[6:7]
	s_cbranch_execz .LBB99_102
; %bb.99:                               ;   in Loop: Header=BB99_2 Depth=1
	s_mov_b64 s[16:17], 0
	v_mov_b32_e32 v51, v33
	v_mov_b32_e32 v50, v34
.LBB99_100:                             ;   Parent Loop BB99_2 Depth=1
                                        ; =>  This Inner Loop Header: Depth=2
	v_sub_u32_e32 v52, v50, v51
	v_lshrrev_b32_e32 v52, 1, v52
	v_add_u32_e32 v52, v52, v51
	v_add_u32_e32 v53, v9, v52
	v_xad_u32 v54, v52, -1, v35
	ds_read_u8 v53, v53
	ds_read_u8 v54, v54
	v_add_u32_e32 v55, 1, v52
	s_waitcnt lgkmcnt(0)
	v_cmp_lt_u16_e32 vcc, v54, v53
	v_cndmask_b32_e32 v50, v50, v52, vcc
	v_cndmask_b32_e32 v51, v55, v51, vcc
	v_cmp_ge_i32_e32 vcc, v51, v50
	s_or_b64 s[16:17], vcc, s[16:17]
	s_andn2_b64 exec, exec, s[16:17]
	s_cbranch_execnz .LBB99_100
; %bb.101:                              ;   in Loop: Header=BB99_2 Depth=1
	s_or_b64 exec, exec, s[16:17]
.LBB99_102:                             ;   in Loop: Header=BB99_2 Depth=1
	s_or_b64 exec, exec, s[14:15]
	v_add_u32_e32 v50, v51, v9
	v_sub_u32_e32 v51, v35, v51
	ds_read_u8 v52, v50
	ds_read_u8 v53, v51
	v_cmp_le_i32_e64 s[14:15], v18, v50
	v_cmp_gt_i32_e32 vcc, v19, v51
                                        ; implicit-def: $vgpr54
	s_waitcnt lgkmcnt(0)
	v_cmp_lt_u16_sdwa s[0:1], v53, v52 src0_sel:BYTE_0 src1_sel:BYTE_0
	s_or_b64 s[0:1], s[14:15], s[0:1]
	s_and_b64 s[14:15], vcc, s[0:1]
	s_xor_b64 s[0:1], s[14:15], -1
	s_and_saveexec_b64 s[16:17], s[0:1]
	s_xor_b64 s[16:17], exec, s[16:17]
; %bb.103:                              ;   in Loop: Header=BB99_2 Depth=1
	ds_read_u8 v54, v50 offset:1
; %bb.104:                              ;   in Loop: Header=BB99_2 Depth=1
	s_or_saveexec_b64 s[16:17], s[16:17]
	v_mov_b32_e32 v55, v53
	s_xor_b64 exec, exec, s[16:17]
	s_cbranch_execz .LBB99_106
; %bb.105:                              ;   in Loop: Header=BB99_2 Depth=1
	ds_read_u8 v55, v51 offset:1
	s_waitcnt lgkmcnt(1)
	v_mov_b32_e32 v54, v52
.LBB99_106:                             ;   in Loop: Header=BB99_2 Depth=1
	s_or_b64 exec, exec, s[16:17]
	v_add_u32_e32 v57, 1, v50
	v_add_u32_e32 v56, 1, v51
	v_cndmask_b32_e64 v57, v57, v50, s[14:15]
	v_cndmask_b32_e64 v56, v51, v56, s[14:15]
	v_cmp_ge_i32_e64 s[16:17], v57, v18
	s_waitcnt lgkmcnt(0)
	v_cmp_lt_u16_sdwa s[0:1], v55, v54 src0_sel:BYTE_0 src1_sel:BYTE_0
	v_cmp_lt_i32_e32 vcc, v56, v19
	s_or_b64 s[0:1], s[16:17], s[0:1]
	s_and_b64 s[16:17], vcc, s[0:1]
	s_xor_b64 s[0:1], s[16:17], -1
                                        ; implicit-def: $vgpr58
	s_and_saveexec_b64 s[18:19], s[0:1]
	s_xor_b64 s[18:19], exec, s[18:19]
; %bb.107:                              ;   in Loop: Header=BB99_2 Depth=1
	ds_read_u8 v58, v57 offset:1
; %bb.108:                              ;   in Loop: Header=BB99_2 Depth=1
	s_or_saveexec_b64 s[18:19], s[18:19]
	v_mov_b32_e32 v59, v55
	s_xor_b64 exec, exec, s[18:19]
	s_cbranch_execz .LBB99_110
; %bb.109:                              ;   in Loop: Header=BB99_2 Depth=1
	ds_read_u8 v59, v56 offset:1
	s_waitcnt lgkmcnt(1)
	v_mov_b32_e32 v58, v54
.LBB99_110:                             ;   in Loop: Header=BB99_2 Depth=1
	s_or_b64 exec, exec, s[18:19]
	v_add_u32_e32 v61, 1, v57
	v_add_u32_e32 v60, 1, v56
	v_cndmask_b32_e64 v61, v61, v57, s[16:17]
	v_cndmask_b32_e64 v60, v56, v60, s[16:17]
	v_cmp_ge_i32_e64 s[18:19], v61, v18
	s_waitcnt lgkmcnt(0)
	v_cmp_lt_u16_sdwa s[0:1], v59, v58 src0_sel:BYTE_0 src1_sel:BYTE_0
	v_cmp_lt_i32_e32 vcc, v60, v19
	s_or_b64 s[0:1], s[18:19], s[0:1]
	s_and_b64 s[18:19], vcc, s[0:1]
	s_xor_b64 s[0:1], s[18:19], -1
                                        ; implicit-def: $vgpr62
	s_and_saveexec_b64 s[20:21], s[0:1]
	s_xor_b64 s[20:21], exec, s[20:21]
; %bb.111:                              ;   in Loop: Header=BB99_2 Depth=1
	ds_read_u8 v62, v61 offset:1
; %bb.112:                              ;   in Loop: Header=BB99_2 Depth=1
	s_or_saveexec_b64 s[20:21], s[20:21]
	v_mov_b32_e32 v63, v59
	s_xor_b64 exec, exec, s[20:21]
	s_cbranch_execz .LBB99_114
; %bb.113:                              ;   in Loop: Header=BB99_2 Depth=1
	ds_read_u8 v63, v60 offset:1
	s_waitcnt lgkmcnt(1)
	v_mov_b32_e32 v62, v58
.LBB99_114:                             ;   in Loop: Header=BB99_2 Depth=1
	s_or_b64 exec, exec, s[20:21]
	v_add_u32_e32 v65, 1, v61
	v_add_u32_e32 v64, 1, v60
	v_cndmask_b32_e64 v65, v65, v61, s[18:19]
	v_cndmask_b32_e64 v64, v60, v64, s[18:19]
	v_cmp_ge_i32_e64 s[20:21], v65, v18
	s_waitcnt lgkmcnt(0)
	v_cmp_lt_u16_sdwa s[0:1], v63, v62 src0_sel:BYTE_0 src1_sel:BYTE_0
	v_cmp_lt_i32_e32 vcc, v64, v19
	s_or_b64 s[0:1], s[20:21], s[0:1]
	s_and_b64 s[20:21], vcc, s[0:1]
	s_xor_b64 s[0:1], s[20:21], -1
                                        ; implicit-def: $vgpr66
	s_and_saveexec_b64 s[22:23], s[0:1]
	s_xor_b64 s[22:23], exec, s[22:23]
; %bb.115:                              ;   in Loop: Header=BB99_2 Depth=1
	ds_read_u8 v66, v65 offset:1
; %bb.116:                              ;   in Loop: Header=BB99_2 Depth=1
	s_or_saveexec_b64 s[22:23], s[22:23]
	v_mov_b32_e32 v67, v63
	s_xor_b64 exec, exec, s[22:23]
	s_cbranch_execz .LBB99_118
; %bb.117:                              ;   in Loop: Header=BB99_2 Depth=1
	ds_read_u8 v67, v64 offset:1
	s_waitcnt lgkmcnt(1)
	v_mov_b32_e32 v66, v62
.LBB99_118:                             ;   in Loop: Header=BB99_2 Depth=1
	s_or_b64 exec, exec, s[22:23]
	v_add_u32_e32 v69, 1, v65
	v_add_u32_e32 v68, 1, v64
	v_cndmask_b32_e64 v69, v69, v65, s[20:21]
	v_cndmask_b32_e64 v68, v64, v68, s[20:21]
	v_cmp_ge_i32_e64 s[22:23], v69, v18
	s_waitcnt lgkmcnt(0)
	v_cmp_lt_u16_sdwa s[0:1], v67, v66 src0_sel:BYTE_0 src1_sel:BYTE_0
	v_cmp_lt_i32_e32 vcc, v68, v19
	s_or_b64 s[0:1], s[22:23], s[0:1]
	s_and_b64 s[22:23], vcc, s[0:1]
	s_xor_b64 s[0:1], s[22:23], -1
                                        ; implicit-def: $vgpr70
	s_and_saveexec_b64 s[24:25], s[0:1]
	s_xor_b64 s[24:25], exec, s[24:25]
; %bb.119:                              ;   in Loop: Header=BB99_2 Depth=1
	ds_read_u8 v70, v69 offset:1
; %bb.120:                              ;   in Loop: Header=BB99_2 Depth=1
	s_or_saveexec_b64 s[24:25], s[24:25]
	v_mov_b32_e32 v71, v67
	s_xor_b64 exec, exec, s[24:25]
	s_cbranch_execz .LBB99_122
; %bb.121:                              ;   in Loop: Header=BB99_2 Depth=1
	ds_read_u8 v71, v68 offset:1
	s_waitcnt lgkmcnt(1)
	v_mov_b32_e32 v70, v66
.LBB99_122:                             ;   in Loop: Header=BB99_2 Depth=1
	s_or_b64 exec, exec, s[24:25]
	v_add_u32_e32 v73, 1, v69
	v_add_u32_e32 v72, 1, v68
	v_cndmask_b32_e64 v73, v73, v69, s[22:23]
	v_cndmask_b32_e64 v72, v68, v72, s[22:23]
	v_cmp_ge_i32_e64 s[24:25], v73, v18
	s_waitcnt lgkmcnt(0)
	v_cmp_lt_u16_sdwa s[0:1], v71, v70 src0_sel:BYTE_0 src1_sel:BYTE_0
	v_cmp_lt_i32_e32 vcc, v72, v19
	s_or_b64 s[0:1], s[24:25], s[0:1]
	s_and_b64 vcc, vcc, s[0:1]
	s_xor_b64 s[0:1], vcc, -1
                                        ; implicit-def: $vgpr74
	s_and_saveexec_b64 s[24:25], s[0:1]
	s_xor_b64 s[24:25], exec, s[24:25]
; %bb.123:                              ;   in Loop: Header=BB99_2 Depth=1
	ds_read_u8 v74, v73 offset:1
; %bb.124:                              ;   in Loop: Header=BB99_2 Depth=1
	s_or_saveexec_b64 s[24:25], s[24:25]
	v_mov_b32_e32 v75, v71
	s_xor_b64 exec, exec, s[24:25]
	s_cbranch_execz .LBB99_126
; %bb.125:                              ;   in Loop: Header=BB99_2 Depth=1
	ds_read_u8 v75, v72 offset:1
	s_waitcnt lgkmcnt(1)
	v_mov_b32_e32 v74, v70
.LBB99_126:                             ;   in Loop: Header=BB99_2 Depth=1
	s_or_b64 exec, exec, s[24:25]
	v_add_u32_e32 v78, 1, v73
	v_add_u32_e32 v76, 1, v72
	v_cndmask_b32_e32 v78, v78, v73, vcc
	v_cndmask_b32_e32 v77, v72, v76, vcc
	v_cmp_ge_i32_e64 s[26:27], v78, v18
	s_waitcnt lgkmcnt(0)
	v_cmp_lt_u16_sdwa s[0:1], v75, v74 src0_sel:BYTE_0 src1_sel:BYTE_0
	v_cmp_lt_i32_e64 s[24:25], v77, v19
	s_or_b64 s[0:1], s[26:27], s[0:1]
	s_and_b64 s[24:25], s[24:25], s[0:1]
	s_xor_b64 s[0:1], s[24:25], -1
                                        ; implicit-def: $vgpr76
	s_and_saveexec_b64 s[26:27], s[0:1]
	s_xor_b64 s[26:27], exec, s[26:27]
; %bb.127:                              ;   in Loop: Header=BB99_2 Depth=1
	ds_read_u8 v76, v78 offset:1
; %bb.128:                              ;   in Loop: Header=BB99_2 Depth=1
	s_or_saveexec_b64 s[26:27], s[26:27]
	v_mov_b32_e32 v79, v75
	s_xor_b64 exec, exec, s[26:27]
	s_cbranch_execz .LBB99_130
; %bb.129:                              ;   in Loop: Header=BB99_2 Depth=1
	ds_read_u8 v79, v77 offset:1
	s_waitcnt lgkmcnt(1)
	v_mov_b32_e32 v76, v74
.LBB99_130:                             ;   in Loop: Header=BB99_2 Depth=1
	s_or_b64 exec, exec, s[26:27]
	v_add_u32_e32 v80, 1, v78
	v_cndmask_b32_e64 v74, v74, v75, s[24:25]
	v_add_u32_e32 v75, 1, v77
	v_cndmask_b32_e64 v80, v80, v78, s[24:25]
	v_cndmask_b32_e64 v75, v77, v75, s[24:25]
	;; [unrolled: 1-line block ×4, first 2 shown]
	v_cmp_ge_i32_e64 s[14:15], v80, v18
	s_waitcnt lgkmcnt(0)
	v_cmp_lt_u16_sdwa s[0:1], v79, v76 src0_sel:BYTE_0 src1_sel:BYTE_0
	v_cndmask_b32_sdwa v70, v70, v71, vcc dst_sel:BYTE_1 dst_unused:UNUSED_PAD src0_sel:DWORD src1_sel:DWORD
	v_cndmask_b32_e32 v71, v73, v72, vcc
	v_cmp_lt_i32_e32 vcc, v75, v19
	s_or_b64 s[0:1], s[14:15], s[0:1]
	v_perm_b32 v47, v47, v48, s88
	v_perm_b32 v46, v49, v46, s88
	;; [unrolled: 1-line block ×4, first 2 shown]
	s_and_b64 vcc, vcc, s[0:1]
	v_lshl_or_b32 v47, v46, 16, v47
	v_lshl_or_b32 v46, v2, 16, v1
	v_cndmask_b32_e64 v77, v78, v77, s[24:25]
	v_cndmask_b32_e64 v66, v66, v67, s[22:23]
	;; [unrolled: 1-line block ×9, first 2 shown]
	v_cndmask_b32_e32 v53, v80, v75, vcc
	s_barrier
	ds_write_b64 v5, v[46:47]
	s_waitcnt lgkmcnt(0)
	s_barrier
	ds_read_u8 v1, v50
	ds_read_u8 v46, v53
	;; [unrolled: 1-line block ×8, first 2 shown]
	v_lshlrev_b16_e32 v50, 8, v54
	v_cndmask_b32_e32 v51, v76, v79, vcc
	v_or_b32_sdwa v50, v52, v50 dst_sel:DWORD dst_unused:UNUSED_PAD src0_sel:BYTE_0 src1_sel:DWORD
	v_lshlrev_b16_e32 v52, 8, v62
	v_or_b32_sdwa v52, v58, v52 dst_sel:WORD_1 dst_unused:UNUSED_PAD src0_sel:BYTE_0 src1_sel:DWORD
	v_lshlrev_b16_e32 v51, 8, v51
	v_or_b32_sdwa v50, v50, v52 dst_sel:DWORD dst_unused:UNUSED_PAD src0_sel:WORD_0 src1_sel:DWORD
	v_or_b32_sdwa v52, v66, v70 dst_sel:DWORD dst_unused:UNUSED_PAD src0_sel:BYTE_0 src1_sel:DWORD
	v_or_b32_sdwa v51, v74, v51 dst_sel:WORD_1 dst_unused:UNUSED_PAD src0_sel:BYTE_0 src1_sel:DWORD
	v_or_b32_sdwa v51, v52, v51 dst_sel:DWORD dst_unused:UNUSED_PAD src0_sel:WORD_0 src1_sel:DWORD
	s_waitcnt lgkmcnt(0)
	s_barrier
	ds_write_b64 v5, v[50:51]
	v_mov_b32_e32 v51, v36
	s_waitcnt lgkmcnt(0)
	s_barrier
	s_and_saveexec_b64 s[14:15], s[8:9]
	s_cbranch_execz .LBB99_134
; %bb.131:                              ;   in Loop: Header=BB99_2 Depth=1
	s_mov_b64 s[16:17], 0
	v_mov_b32_e32 v51, v36
	v_mov_b32_e32 v50, v37
.LBB99_132:                             ;   Parent Loop BB99_2 Depth=1
                                        ; =>  This Inner Loop Header: Depth=2
	v_sub_u32_e32 v52, v50, v51
	v_lshrrev_b32_e32 v52, 1, v52
	v_add_u32_e32 v52, v52, v51
	v_add_u32_e32 v53, v10, v52
	v_xad_u32 v54, v52, -1, v38
	ds_read_u8 v53, v53
	ds_read_u8 v54, v54
	v_add_u32_e32 v55, 1, v52
	s_waitcnt lgkmcnt(0)
	v_cmp_lt_u16_e32 vcc, v54, v53
	v_cndmask_b32_e32 v50, v50, v52, vcc
	v_cndmask_b32_e32 v51, v55, v51, vcc
	v_cmp_ge_i32_e32 vcc, v51, v50
	s_or_b64 s[16:17], vcc, s[16:17]
	s_andn2_b64 exec, exec, s[16:17]
	s_cbranch_execnz .LBB99_132
; %bb.133:                              ;   in Loop: Header=BB99_2 Depth=1
	s_or_b64 exec, exec, s[16:17]
.LBB99_134:                             ;   in Loop: Header=BB99_2 Depth=1
	s_or_b64 exec, exec, s[14:15]
	v_add_u32_e32 v50, v51, v10
	v_sub_u32_e32 v51, v38, v51
	ds_read_u8 v52, v50
	ds_read_u8 v53, v51
	v_cmp_le_i32_e64 s[14:15], v20, v50
	v_cmp_gt_i32_e32 vcc, v21, v51
                                        ; implicit-def: $vgpr54
	s_waitcnt lgkmcnt(0)
	v_cmp_lt_u16_sdwa s[0:1], v53, v52 src0_sel:BYTE_0 src1_sel:BYTE_0
	s_or_b64 s[0:1], s[14:15], s[0:1]
	s_and_b64 s[14:15], vcc, s[0:1]
	s_xor_b64 s[0:1], s[14:15], -1
	s_and_saveexec_b64 s[16:17], s[0:1]
	s_xor_b64 s[16:17], exec, s[16:17]
; %bb.135:                              ;   in Loop: Header=BB99_2 Depth=1
	ds_read_u8 v54, v50 offset:1
; %bb.136:                              ;   in Loop: Header=BB99_2 Depth=1
	s_or_saveexec_b64 s[16:17], s[16:17]
	v_mov_b32_e32 v55, v53
	s_xor_b64 exec, exec, s[16:17]
	s_cbranch_execz .LBB99_138
; %bb.137:                              ;   in Loop: Header=BB99_2 Depth=1
	ds_read_u8 v55, v51 offset:1
	s_waitcnt lgkmcnt(1)
	v_mov_b32_e32 v54, v52
.LBB99_138:                             ;   in Loop: Header=BB99_2 Depth=1
	s_or_b64 exec, exec, s[16:17]
	v_add_u32_e32 v57, 1, v50
	v_add_u32_e32 v56, 1, v51
	v_cndmask_b32_e64 v57, v57, v50, s[14:15]
	v_cndmask_b32_e64 v56, v51, v56, s[14:15]
	v_cmp_ge_i32_e64 s[16:17], v57, v20
	s_waitcnt lgkmcnt(0)
	v_cmp_lt_u16_sdwa s[0:1], v55, v54 src0_sel:BYTE_0 src1_sel:BYTE_0
	v_cmp_lt_i32_e32 vcc, v56, v21
	s_or_b64 s[0:1], s[16:17], s[0:1]
	s_and_b64 s[16:17], vcc, s[0:1]
	s_xor_b64 s[0:1], s[16:17], -1
                                        ; implicit-def: $vgpr58
	s_and_saveexec_b64 s[18:19], s[0:1]
	s_xor_b64 s[18:19], exec, s[18:19]
; %bb.139:                              ;   in Loop: Header=BB99_2 Depth=1
	ds_read_u8 v58, v57 offset:1
; %bb.140:                              ;   in Loop: Header=BB99_2 Depth=1
	s_or_saveexec_b64 s[18:19], s[18:19]
	v_mov_b32_e32 v59, v55
	s_xor_b64 exec, exec, s[18:19]
	s_cbranch_execz .LBB99_142
; %bb.141:                              ;   in Loop: Header=BB99_2 Depth=1
	ds_read_u8 v59, v56 offset:1
	s_waitcnt lgkmcnt(1)
	v_mov_b32_e32 v58, v54
.LBB99_142:                             ;   in Loop: Header=BB99_2 Depth=1
	s_or_b64 exec, exec, s[18:19]
	v_add_u32_e32 v61, 1, v57
	v_add_u32_e32 v60, 1, v56
	v_cndmask_b32_e64 v61, v61, v57, s[16:17]
	v_cndmask_b32_e64 v60, v56, v60, s[16:17]
	v_cmp_ge_i32_e64 s[18:19], v61, v20
	s_waitcnt lgkmcnt(0)
	v_cmp_lt_u16_sdwa s[0:1], v59, v58 src0_sel:BYTE_0 src1_sel:BYTE_0
	v_cmp_lt_i32_e32 vcc, v60, v21
	s_or_b64 s[0:1], s[18:19], s[0:1]
	s_and_b64 s[18:19], vcc, s[0:1]
	s_xor_b64 s[0:1], s[18:19], -1
                                        ; implicit-def: $vgpr62
	s_and_saveexec_b64 s[20:21], s[0:1]
	s_xor_b64 s[20:21], exec, s[20:21]
; %bb.143:                              ;   in Loop: Header=BB99_2 Depth=1
	ds_read_u8 v62, v61 offset:1
; %bb.144:                              ;   in Loop: Header=BB99_2 Depth=1
	s_or_saveexec_b64 s[20:21], s[20:21]
	v_mov_b32_e32 v63, v59
	s_xor_b64 exec, exec, s[20:21]
	s_cbranch_execz .LBB99_146
; %bb.145:                              ;   in Loop: Header=BB99_2 Depth=1
	ds_read_u8 v63, v60 offset:1
	s_waitcnt lgkmcnt(1)
	v_mov_b32_e32 v62, v58
.LBB99_146:                             ;   in Loop: Header=BB99_2 Depth=1
	s_or_b64 exec, exec, s[20:21]
	v_add_u32_e32 v65, 1, v61
	v_add_u32_e32 v64, 1, v60
	v_cndmask_b32_e64 v65, v65, v61, s[18:19]
	v_cndmask_b32_e64 v64, v60, v64, s[18:19]
	v_cmp_ge_i32_e64 s[20:21], v65, v20
	s_waitcnt lgkmcnt(0)
	v_cmp_lt_u16_sdwa s[0:1], v63, v62 src0_sel:BYTE_0 src1_sel:BYTE_0
	v_cmp_lt_i32_e32 vcc, v64, v21
	s_or_b64 s[0:1], s[20:21], s[0:1]
	s_and_b64 s[20:21], vcc, s[0:1]
	s_xor_b64 s[0:1], s[20:21], -1
                                        ; implicit-def: $vgpr66
	s_and_saveexec_b64 s[22:23], s[0:1]
	s_xor_b64 s[22:23], exec, s[22:23]
; %bb.147:                              ;   in Loop: Header=BB99_2 Depth=1
	ds_read_u8 v66, v65 offset:1
; %bb.148:                              ;   in Loop: Header=BB99_2 Depth=1
	s_or_saveexec_b64 s[22:23], s[22:23]
	v_mov_b32_e32 v67, v63
	s_xor_b64 exec, exec, s[22:23]
	s_cbranch_execz .LBB99_150
; %bb.149:                              ;   in Loop: Header=BB99_2 Depth=1
	ds_read_u8 v67, v64 offset:1
	s_waitcnt lgkmcnt(1)
	v_mov_b32_e32 v66, v62
.LBB99_150:                             ;   in Loop: Header=BB99_2 Depth=1
	s_or_b64 exec, exec, s[22:23]
	v_add_u32_e32 v69, 1, v65
	v_add_u32_e32 v68, 1, v64
	v_cndmask_b32_e64 v69, v69, v65, s[20:21]
	v_cndmask_b32_e64 v68, v64, v68, s[20:21]
	v_cmp_ge_i32_e64 s[22:23], v69, v20
	s_waitcnt lgkmcnt(0)
	v_cmp_lt_u16_sdwa s[0:1], v67, v66 src0_sel:BYTE_0 src1_sel:BYTE_0
	v_cmp_lt_i32_e32 vcc, v68, v21
	s_or_b64 s[0:1], s[22:23], s[0:1]
	s_and_b64 s[22:23], vcc, s[0:1]
	s_xor_b64 s[0:1], s[22:23], -1
                                        ; implicit-def: $vgpr70
	s_and_saveexec_b64 s[24:25], s[0:1]
	s_xor_b64 s[24:25], exec, s[24:25]
; %bb.151:                              ;   in Loop: Header=BB99_2 Depth=1
	ds_read_u8 v70, v69 offset:1
; %bb.152:                              ;   in Loop: Header=BB99_2 Depth=1
	s_or_saveexec_b64 s[24:25], s[24:25]
	v_mov_b32_e32 v71, v67
	s_xor_b64 exec, exec, s[24:25]
	s_cbranch_execz .LBB99_154
; %bb.153:                              ;   in Loop: Header=BB99_2 Depth=1
	ds_read_u8 v71, v68 offset:1
	s_waitcnt lgkmcnt(1)
	v_mov_b32_e32 v70, v66
.LBB99_154:                             ;   in Loop: Header=BB99_2 Depth=1
	s_or_b64 exec, exec, s[24:25]
	v_add_u32_e32 v73, 1, v69
	v_add_u32_e32 v72, 1, v68
	v_cndmask_b32_e64 v73, v73, v69, s[22:23]
	v_cndmask_b32_e64 v72, v68, v72, s[22:23]
	v_cmp_ge_i32_e64 s[24:25], v73, v20
	s_waitcnt lgkmcnt(0)
	v_cmp_lt_u16_sdwa s[0:1], v71, v70 src0_sel:BYTE_0 src1_sel:BYTE_0
	v_cmp_lt_i32_e32 vcc, v72, v21
	s_or_b64 s[0:1], s[24:25], s[0:1]
	s_and_b64 vcc, vcc, s[0:1]
	s_xor_b64 s[0:1], vcc, -1
                                        ; implicit-def: $vgpr74
	s_and_saveexec_b64 s[24:25], s[0:1]
	s_xor_b64 s[24:25], exec, s[24:25]
; %bb.155:                              ;   in Loop: Header=BB99_2 Depth=1
	ds_read_u8 v74, v73 offset:1
; %bb.156:                              ;   in Loop: Header=BB99_2 Depth=1
	s_or_saveexec_b64 s[24:25], s[24:25]
	v_mov_b32_e32 v75, v71
	s_xor_b64 exec, exec, s[24:25]
	s_cbranch_execz .LBB99_158
; %bb.157:                              ;   in Loop: Header=BB99_2 Depth=1
	ds_read_u8 v75, v72 offset:1
	s_waitcnt lgkmcnt(1)
	v_mov_b32_e32 v74, v70
.LBB99_158:                             ;   in Loop: Header=BB99_2 Depth=1
	s_or_b64 exec, exec, s[24:25]
	v_add_u32_e32 v78, 1, v73
	v_add_u32_e32 v76, 1, v72
	v_cndmask_b32_e32 v78, v78, v73, vcc
	v_cndmask_b32_e32 v77, v72, v76, vcc
	v_cmp_ge_i32_e64 s[26:27], v78, v20
	s_waitcnt lgkmcnt(0)
	v_cmp_lt_u16_sdwa s[0:1], v75, v74 src0_sel:BYTE_0 src1_sel:BYTE_0
	v_cmp_lt_i32_e64 s[24:25], v77, v21
	s_or_b64 s[0:1], s[26:27], s[0:1]
	s_and_b64 s[24:25], s[24:25], s[0:1]
	s_xor_b64 s[0:1], s[24:25], -1
                                        ; implicit-def: $vgpr76
	s_and_saveexec_b64 s[26:27], s[0:1]
	s_xor_b64 s[26:27], exec, s[26:27]
; %bb.159:                              ;   in Loop: Header=BB99_2 Depth=1
	ds_read_u8 v76, v78 offset:1
; %bb.160:                              ;   in Loop: Header=BB99_2 Depth=1
	s_or_saveexec_b64 s[26:27], s[26:27]
	v_mov_b32_e32 v79, v75
	s_xor_b64 exec, exec, s[26:27]
	s_cbranch_execz .LBB99_162
; %bb.161:                              ;   in Loop: Header=BB99_2 Depth=1
	ds_read_u8 v79, v77 offset:1
	s_waitcnt lgkmcnt(1)
	v_mov_b32_e32 v76, v74
.LBB99_162:                             ;   in Loop: Header=BB99_2 Depth=1
	s_or_b64 exec, exec, s[26:27]
	v_add_u32_e32 v80, 1, v78
	v_cndmask_b32_e64 v74, v74, v75, s[24:25]
	v_add_u32_e32 v75, 1, v77
	v_cndmask_b32_e64 v80, v80, v78, s[24:25]
	v_cndmask_b32_e64 v75, v77, v75, s[24:25]
	;; [unrolled: 1-line block ×4, first 2 shown]
	v_cmp_ge_i32_e64 s[14:15], v80, v20
	s_waitcnt lgkmcnt(0)
	v_cmp_lt_u16_sdwa s[0:1], v79, v76 src0_sel:BYTE_0 src1_sel:BYTE_0
	v_cndmask_b32_sdwa v70, v70, v71, vcc dst_sel:BYTE_1 dst_unused:UNUSED_PAD src0_sel:DWORD src1_sel:DWORD
	v_cndmask_b32_e32 v71, v73, v72, vcc
	v_cmp_lt_i32_e32 vcc, v75, v21
	s_or_b64 s[0:1], s[14:15], s[0:1]
	v_perm_b32 v47, v47, v48, s88
	v_perm_b32 v46, v49, v46, s88
	;; [unrolled: 1-line block ×4, first 2 shown]
	s_and_b64 vcc, vcc, s[0:1]
	v_lshl_or_b32 v47, v46, 16, v47
	v_lshl_or_b32 v46, v2, 16, v1
	v_cndmask_b32_e64 v77, v78, v77, s[24:25]
	v_cndmask_b32_e64 v66, v66, v67, s[22:23]
	;; [unrolled: 1-line block ×9, first 2 shown]
	v_cndmask_b32_e32 v53, v80, v75, vcc
	s_barrier
	ds_write_b64 v5, v[46:47]
	s_waitcnt lgkmcnt(0)
	s_barrier
	ds_read_u8 v1, v50
	ds_read_u8 v46, v53
	;; [unrolled: 1-line block ×8, first 2 shown]
	v_lshlrev_b16_e32 v50, 8, v54
	v_cndmask_b32_e32 v51, v76, v79, vcc
	v_or_b32_sdwa v50, v52, v50 dst_sel:DWORD dst_unused:UNUSED_PAD src0_sel:BYTE_0 src1_sel:DWORD
	v_lshlrev_b16_e32 v52, 8, v62
	v_or_b32_sdwa v52, v58, v52 dst_sel:WORD_1 dst_unused:UNUSED_PAD src0_sel:BYTE_0 src1_sel:DWORD
	v_lshlrev_b16_e32 v51, 8, v51
	v_or_b32_sdwa v50, v50, v52 dst_sel:DWORD dst_unused:UNUSED_PAD src0_sel:WORD_0 src1_sel:DWORD
	v_or_b32_sdwa v52, v66, v70 dst_sel:DWORD dst_unused:UNUSED_PAD src0_sel:BYTE_0 src1_sel:DWORD
	v_or_b32_sdwa v51, v74, v51 dst_sel:WORD_1 dst_unused:UNUSED_PAD src0_sel:BYTE_0 src1_sel:DWORD
	v_or_b32_sdwa v51, v52, v51 dst_sel:DWORD dst_unused:UNUSED_PAD src0_sel:WORD_0 src1_sel:DWORD
	s_waitcnt lgkmcnt(0)
	s_barrier
	ds_write_b64 v5, v[50:51]
	v_mov_b32_e32 v51, v39
	s_waitcnt lgkmcnt(0)
	s_barrier
	s_and_saveexec_b64 s[14:15], s[10:11]
	s_cbranch_execz .LBB99_166
; %bb.163:                              ;   in Loop: Header=BB99_2 Depth=1
	s_mov_b64 s[16:17], 0
	v_mov_b32_e32 v51, v39
	v_mov_b32_e32 v50, v40
.LBB99_164:                             ;   Parent Loop BB99_2 Depth=1
                                        ; =>  This Inner Loop Header: Depth=2
	v_sub_u32_e32 v52, v50, v51
	v_lshrrev_b32_e32 v52, 1, v52
	v_add_u32_e32 v52, v52, v51
	v_add_u32_e32 v53, v11, v52
	v_xad_u32 v54, v52, -1, v41
	ds_read_u8 v53, v53
	ds_read_u8 v54, v54
	v_add_u32_e32 v55, 1, v52
	s_waitcnt lgkmcnt(0)
	v_cmp_lt_u16_e32 vcc, v54, v53
	v_cndmask_b32_e32 v50, v50, v52, vcc
	v_cndmask_b32_e32 v51, v55, v51, vcc
	v_cmp_ge_i32_e32 vcc, v51, v50
	s_or_b64 s[16:17], vcc, s[16:17]
	s_andn2_b64 exec, exec, s[16:17]
	s_cbranch_execnz .LBB99_164
; %bb.165:                              ;   in Loop: Header=BB99_2 Depth=1
	s_or_b64 exec, exec, s[16:17]
.LBB99_166:                             ;   in Loop: Header=BB99_2 Depth=1
	s_or_b64 exec, exec, s[14:15]
	v_add_u32_e32 v50, v51, v11
	v_sub_u32_e32 v51, v41, v51
	ds_read_u8 v52, v50
	ds_read_u8 v53, v51
	v_cmp_le_i32_e64 s[14:15], v22, v50
	v_cmp_gt_i32_e32 vcc, v23, v51
                                        ; implicit-def: $vgpr54
	s_waitcnt lgkmcnt(0)
	v_cmp_lt_u16_sdwa s[0:1], v53, v52 src0_sel:BYTE_0 src1_sel:BYTE_0
	s_or_b64 s[0:1], s[14:15], s[0:1]
	s_and_b64 s[14:15], vcc, s[0:1]
	s_xor_b64 s[0:1], s[14:15], -1
	s_and_saveexec_b64 s[16:17], s[0:1]
	s_xor_b64 s[16:17], exec, s[16:17]
; %bb.167:                              ;   in Loop: Header=BB99_2 Depth=1
	ds_read_u8 v54, v50 offset:1
; %bb.168:                              ;   in Loop: Header=BB99_2 Depth=1
	s_or_saveexec_b64 s[16:17], s[16:17]
	v_mov_b32_e32 v55, v53
	s_xor_b64 exec, exec, s[16:17]
	s_cbranch_execz .LBB99_170
; %bb.169:                              ;   in Loop: Header=BB99_2 Depth=1
	ds_read_u8 v55, v51 offset:1
	s_waitcnt lgkmcnt(1)
	v_mov_b32_e32 v54, v52
.LBB99_170:                             ;   in Loop: Header=BB99_2 Depth=1
	s_or_b64 exec, exec, s[16:17]
	v_add_u32_e32 v57, 1, v50
	v_add_u32_e32 v56, 1, v51
	v_cndmask_b32_e64 v57, v57, v50, s[14:15]
	v_cndmask_b32_e64 v56, v51, v56, s[14:15]
	v_cmp_ge_i32_e64 s[16:17], v57, v22
	s_waitcnt lgkmcnt(0)
	v_cmp_lt_u16_sdwa s[0:1], v55, v54 src0_sel:BYTE_0 src1_sel:BYTE_0
	v_cmp_lt_i32_e32 vcc, v56, v23
	s_or_b64 s[0:1], s[16:17], s[0:1]
	s_and_b64 s[16:17], vcc, s[0:1]
	s_xor_b64 s[0:1], s[16:17], -1
                                        ; implicit-def: $vgpr58
	s_and_saveexec_b64 s[18:19], s[0:1]
	s_xor_b64 s[18:19], exec, s[18:19]
; %bb.171:                              ;   in Loop: Header=BB99_2 Depth=1
	ds_read_u8 v58, v57 offset:1
; %bb.172:                              ;   in Loop: Header=BB99_2 Depth=1
	s_or_saveexec_b64 s[18:19], s[18:19]
	v_mov_b32_e32 v59, v55
	s_xor_b64 exec, exec, s[18:19]
	s_cbranch_execz .LBB99_174
; %bb.173:                              ;   in Loop: Header=BB99_2 Depth=1
	ds_read_u8 v59, v56 offset:1
	s_waitcnt lgkmcnt(1)
	v_mov_b32_e32 v58, v54
.LBB99_174:                             ;   in Loop: Header=BB99_2 Depth=1
	s_or_b64 exec, exec, s[18:19]
	v_add_u32_e32 v61, 1, v57
	v_add_u32_e32 v60, 1, v56
	v_cndmask_b32_e64 v61, v61, v57, s[16:17]
	v_cndmask_b32_e64 v60, v56, v60, s[16:17]
	v_cmp_ge_i32_e64 s[18:19], v61, v22
	s_waitcnt lgkmcnt(0)
	v_cmp_lt_u16_sdwa s[0:1], v59, v58 src0_sel:BYTE_0 src1_sel:BYTE_0
	v_cmp_lt_i32_e32 vcc, v60, v23
	s_or_b64 s[0:1], s[18:19], s[0:1]
	s_and_b64 s[18:19], vcc, s[0:1]
	s_xor_b64 s[0:1], s[18:19], -1
                                        ; implicit-def: $vgpr62
	s_and_saveexec_b64 s[20:21], s[0:1]
	s_xor_b64 s[20:21], exec, s[20:21]
; %bb.175:                              ;   in Loop: Header=BB99_2 Depth=1
	ds_read_u8 v62, v61 offset:1
; %bb.176:                              ;   in Loop: Header=BB99_2 Depth=1
	s_or_saveexec_b64 s[20:21], s[20:21]
	v_mov_b32_e32 v63, v59
	s_xor_b64 exec, exec, s[20:21]
	s_cbranch_execz .LBB99_178
; %bb.177:                              ;   in Loop: Header=BB99_2 Depth=1
	ds_read_u8 v63, v60 offset:1
	s_waitcnt lgkmcnt(1)
	v_mov_b32_e32 v62, v58
.LBB99_178:                             ;   in Loop: Header=BB99_2 Depth=1
	s_or_b64 exec, exec, s[20:21]
	v_add_u32_e32 v65, 1, v61
	v_add_u32_e32 v64, 1, v60
	v_cndmask_b32_e64 v65, v65, v61, s[18:19]
	v_cndmask_b32_e64 v64, v60, v64, s[18:19]
	v_cmp_ge_i32_e64 s[20:21], v65, v22
	s_waitcnt lgkmcnt(0)
	v_cmp_lt_u16_sdwa s[0:1], v63, v62 src0_sel:BYTE_0 src1_sel:BYTE_0
	v_cmp_lt_i32_e32 vcc, v64, v23
	s_or_b64 s[0:1], s[20:21], s[0:1]
	s_and_b64 s[20:21], vcc, s[0:1]
	s_xor_b64 s[0:1], s[20:21], -1
                                        ; implicit-def: $vgpr66
	s_and_saveexec_b64 s[22:23], s[0:1]
	s_xor_b64 s[22:23], exec, s[22:23]
; %bb.179:                              ;   in Loop: Header=BB99_2 Depth=1
	ds_read_u8 v66, v65 offset:1
; %bb.180:                              ;   in Loop: Header=BB99_2 Depth=1
	s_or_saveexec_b64 s[22:23], s[22:23]
	v_mov_b32_e32 v67, v63
	s_xor_b64 exec, exec, s[22:23]
	s_cbranch_execz .LBB99_182
; %bb.181:                              ;   in Loop: Header=BB99_2 Depth=1
	ds_read_u8 v67, v64 offset:1
	s_waitcnt lgkmcnt(1)
	v_mov_b32_e32 v66, v62
.LBB99_182:                             ;   in Loop: Header=BB99_2 Depth=1
	s_or_b64 exec, exec, s[22:23]
	v_add_u32_e32 v69, 1, v65
	v_add_u32_e32 v68, 1, v64
	v_cndmask_b32_e64 v69, v69, v65, s[20:21]
	v_cndmask_b32_e64 v68, v64, v68, s[20:21]
	v_cmp_ge_i32_e64 s[22:23], v69, v22
	s_waitcnt lgkmcnt(0)
	v_cmp_lt_u16_sdwa s[0:1], v67, v66 src0_sel:BYTE_0 src1_sel:BYTE_0
	v_cmp_lt_i32_e32 vcc, v68, v23
	s_or_b64 s[0:1], s[22:23], s[0:1]
	s_and_b64 s[22:23], vcc, s[0:1]
	s_xor_b64 s[0:1], s[22:23], -1
                                        ; implicit-def: $vgpr70
	s_and_saveexec_b64 s[24:25], s[0:1]
	s_xor_b64 s[24:25], exec, s[24:25]
; %bb.183:                              ;   in Loop: Header=BB99_2 Depth=1
	ds_read_u8 v70, v69 offset:1
; %bb.184:                              ;   in Loop: Header=BB99_2 Depth=1
	s_or_saveexec_b64 s[24:25], s[24:25]
	v_mov_b32_e32 v71, v67
	s_xor_b64 exec, exec, s[24:25]
	s_cbranch_execz .LBB99_186
; %bb.185:                              ;   in Loop: Header=BB99_2 Depth=1
	ds_read_u8 v71, v68 offset:1
	s_waitcnt lgkmcnt(1)
	v_mov_b32_e32 v70, v66
.LBB99_186:                             ;   in Loop: Header=BB99_2 Depth=1
	s_or_b64 exec, exec, s[24:25]
	v_add_u32_e32 v73, 1, v69
	v_add_u32_e32 v72, 1, v68
	v_cndmask_b32_e64 v73, v73, v69, s[22:23]
	v_cndmask_b32_e64 v72, v68, v72, s[22:23]
	v_cmp_ge_i32_e64 s[24:25], v73, v22
	s_waitcnt lgkmcnt(0)
	v_cmp_lt_u16_sdwa s[0:1], v71, v70 src0_sel:BYTE_0 src1_sel:BYTE_0
	v_cmp_lt_i32_e32 vcc, v72, v23
	s_or_b64 s[0:1], s[24:25], s[0:1]
	s_and_b64 vcc, vcc, s[0:1]
	s_xor_b64 s[0:1], vcc, -1
                                        ; implicit-def: $vgpr74
	s_and_saveexec_b64 s[24:25], s[0:1]
	s_xor_b64 s[24:25], exec, s[24:25]
; %bb.187:                              ;   in Loop: Header=BB99_2 Depth=1
	ds_read_u8 v74, v73 offset:1
; %bb.188:                              ;   in Loop: Header=BB99_2 Depth=1
	s_or_saveexec_b64 s[24:25], s[24:25]
	v_mov_b32_e32 v75, v71
	s_xor_b64 exec, exec, s[24:25]
	s_cbranch_execz .LBB99_190
; %bb.189:                              ;   in Loop: Header=BB99_2 Depth=1
	ds_read_u8 v75, v72 offset:1
	s_waitcnt lgkmcnt(1)
	v_mov_b32_e32 v74, v70
.LBB99_190:                             ;   in Loop: Header=BB99_2 Depth=1
	s_or_b64 exec, exec, s[24:25]
	v_add_u32_e32 v78, 1, v73
	v_add_u32_e32 v76, 1, v72
	v_cndmask_b32_e32 v78, v78, v73, vcc
	v_cndmask_b32_e32 v77, v72, v76, vcc
	v_cmp_ge_i32_e64 s[26:27], v78, v22
	s_waitcnt lgkmcnt(0)
	v_cmp_lt_u16_sdwa s[0:1], v75, v74 src0_sel:BYTE_0 src1_sel:BYTE_0
	v_cmp_lt_i32_e64 s[24:25], v77, v23
	s_or_b64 s[0:1], s[26:27], s[0:1]
	s_and_b64 s[24:25], s[24:25], s[0:1]
	s_xor_b64 s[0:1], s[24:25], -1
                                        ; implicit-def: $vgpr76
	s_and_saveexec_b64 s[26:27], s[0:1]
	s_xor_b64 s[26:27], exec, s[26:27]
; %bb.191:                              ;   in Loop: Header=BB99_2 Depth=1
	ds_read_u8 v76, v78 offset:1
; %bb.192:                              ;   in Loop: Header=BB99_2 Depth=1
	s_or_saveexec_b64 s[26:27], s[26:27]
	v_mov_b32_e32 v79, v75
	s_xor_b64 exec, exec, s[26:27]
	s_cbranch_execz .LBB99_194
; %bb.193:                              ;   in Loop: Header=BB99_2 Depth=1
	ds_read_u8 v79, v77 offset:1
	s_waitcnt lgkmcnt(1)
	v_mov_b32_e32 v76, v74
.LBB99_194:                             ;   in Loop: Header=BB99_2 Depth=1
	s_or_b64 exec, exec, s[26:27]
	v_add_u32_e32 v80, 1, v78
	v_cndmask_b32_e64 v74, v74, v75, s[24:25]
	v_add_u32_e32 v75, 1, v77
	v_cndmask_b32_e64 v80, v80, v78, s[24:25]
	v_cndmask_b32_e64 v75, v77, v75, s[24:25]
	v_cndmask_b32_e64 v52, v52, v53, s[14:15]
	v_cndmask_b32_e64 v50, v50, v51, s[14:15]
	v_cmp_ge_i32_e64 s[14:15], v80, v22
	s_waitcnt lgkmcnt(0)
	v_cmp_lt_u16_sdwa s[0:1], v79, v76 src0_sel:BYTE_0 src1_sel:BYTE_0
	v_cndmask_b32_sdwa v70, v70, v71, vcc dst_sel:BYTE_1 dst_unused:UNUSED_PAD src0_sel:DWORD src1_sel:DWORD
	v_cndmask_b32_e32 v71, v73, v72, vcc
	v_cmp_lt_i32_e32 vcc, v75, v23
	s_or_b64 s[0:1], s[14:15], s[0:1]
	v_perm_b32 v47, v47, v48, s88
	v_perm_b32 v46, v49, v46, s88
	;; [unrolled: 1-line block ×4, first 2 shown]
	s_and_b64 vcc, vcc, s[0:1]
	v_lshl_or_b32 v47, v46, 16, v47
	v_lshl_or_b32 v46, v2, 16, v1
	v_cndmask_b32_e64 v77, v78, v77, s[24:25]
	v_cndmask_b32_e64 v66, v66, v67, s[22:23]
	;; [unrolled: 1-line block ×9, first 2 shown]
	v_cndmask_b32_e32 v53, v80, v75, vcc
	s_barrier
	ds_write_b64 v5, v[46:47]
	s_waitcnt lgkmcnt(0)
	s_barrier
	ds_read_u8 v1, v50
	ds_read_u8 v46, v53
	ds_read_u8 v2, v55
	ds_read_u8 v3, v59
	ds_read_u8 v4, v63
	ds_read_u8 v47, v67
	ds_read_u8 v48, v71
	ds_read_u8 v49, v77
	v_lshlrev_b16_e32 v50, 8, v54
	v_cndmask_b32_e32 v51, v76, v79, vcc
	v_or_b32_sdwa v50, v52, v50 dst_sel:DWORD dst_unused:UNUSED_PAD src0_sel:BYTE_0 src1_sel:DWORD
	v_lshlrev_b16_e32 v52, 8, v62
	v_or_b32_sdwa v52, v58, v52 dst_sel:WORD_1 dst_unused:UNUSED_PAD src0_sel:BYTE_0 src1_sel:DWORD
	v_lshlrev_b16_e32 v51, 8, v51
	v_or_b32_sdwa v50, v50, v52 dst_sel:DWORD dst_unused:UNUSED_PAD src0_sel:WORD_0 src1_sel:DWORD
	v_or_b32_sdwa v52, v66, v70 dst_sel:DWORD dst_unused:UNUSED_PAD src0_sel:BYTE_0 src1_sel:DWORD
	v_or_b32_sdwa v51, v74, v51 dst_sel:WORD_1 dst_unused:UNUSED_PAD src0_sel:BYTE_0 src1_sel:DWORD
	v_or_b32_sdwa v51, v52, v51 dst_sel:DWORD dst_unused:UNUSED_PAD src0_sel:WORD_0 src1_sel:DWORD
	s_waitcnt lgkmcnt(0)
	s_barrier
	ds_write_b64 v5, v[50:51]
	v_mov_b32_e32 v50, v43
	s_waitcnt lgkmcnt(0)
	s_barrier
	s_and_saveexec_b64 s[14:15], s[12:13]
	s_cbranch_execz .LBB99_198
; %bb.195:                              ;   in Loop: Header=BB99_2 Depth=1
	s_mov_b64 s[16:17], 0
	v_mov_b32_e32 v50, v43
	v_mov_b32_e32 v51, v44
.LBB99_196:                             ;   Parent Loop BB99_2 Depth=1
                                        ; =>  This Inner Loop Header: Depth=2
	v_sub_u32_e32 v52, v51, v50
	v_lshrrev_b32_e32 v52, 1, v52
	v_add_u32_e32 v52, v52, v50
	v_xad_u32 v53, v52, -1, v45
	ds_read_u8 v54, v52
	ds_read_u8 v53, v53
	v_add_u32_e32 v55, 1, v52
	s_waitcnt lgkmcnt(0)
	v_cmp_lt_u16_e32 vcc, v53, v54
	v_cndmask_b32_e32 v51, v51, v52, vcc
	v_cndmask_b32_e32 v50, v55, v50, vcc
	v_cmp_ge_i32_e32 vcc, v50, v51
	s_or_b64 s[16:17], vcc, s[16:17]
	s_andn2_b64 exec, exec, s[16:17]
	s_cbranch_execnz .LBB99_196
; %bb.197:                              ;   in Loop: Header=BB99_2 Depth=1
	s_or_b64 exec, exec, s[16:17]
.LBB99_198:                             ;   in Loop: Header=BB99_2 Depth=1
	s_or_b64 exec, exec, s[14:15]
	v_sub_u32_e32 v51, v45, v50
	ds_read_u8 v52, v50
	ds_read_u8 v53, v51
	v_cmp_le_i32_e64 s[14:15], v42, v50
	v_cmp_gt_i32_e32 vcc, s87, v51
                                        ; implicit-def: $vgpr54
	s_waitcnt lgkmcnt(0)
	v_cmp_lt_u16_sdwa s[0:1], v53, v52 src0_sel:BYTE_0 src1_sel:BYTE_0
	s_or_b64 s[0:1], s[14:15], s[0:1]
	s_and_b64 vcc, vcc, s[0:1]
	s_xor_b64 s[0:1], vcc, -1
	s_and_saveexec_b64 s[14:15], s[0:1]
	s_xor_b64 s[14:15], exec, s[14:15]
; %bb.199:                              ;   in Loop: Header=BB99_2 Depth=1
	ds_read_u8 v54, v50 offset:1
; %bb.200:                              ;   in Loop: Header=BB99_2 Depth=1
	s_or_saveexec_b64 s[14:15], s[14:15]
	v_mov_b32_e32 v55, v53
	s_xor_b64 exec, exec, s[14:15]
	s_cbranch_execz .LBB99_202
; %bb.201:                              ;   in Loop: Header=BB99_2 Depth=1
	ds_read_u8 v55, v51 offset:1
	s_waitcnt lgkmcnt(1)
	v_mov_b32_e32 v54, v52
.LBB99_202:                             ;   in Loop: Header=BB99_2 Depth=1
	s_or_b64 exec, exec, s[14:15]
	v_add_u32_e32 v57, 1, v50
	v_add_u32_e32 v56, 1, v51
	v_cndmask_b32_e32 v57, v57, v50, vcc
	v_cndmask_b32_e32 v56, v51, v56, vcc
	v_cmp_ge_i32_e64 s[16:17], v57, v42
	s_waitcnt lgkmcnt(0)
	v_cmp_lt_u16_sdwa s[0:1], v55, v54 src0_sel:BYTE_0 src1_sel:BYTE_0
	v_cmp_gt_i32_e64 s[14:15], s87, v56
	s_or_b64 s[0:1], s[16:17], s[0:1]
	s_and_b64 s[14:15], s[14:15], s[0:1]
	s_xor_b64 s[0:1], s[14:15], -1
                                        ; implicit-def: $vgpr58
	s_and_saveexec_b64 s[16:17], s[0:1]
	s_xor_b64 s[16:17], exec, s[16:17]
; %bb.203:                              ;   in Loop: Header=BB99_2 Depth=1
	ds_read_u8 v58, v57 offset:1
; %bb.204:                              ;   in Loop: Header=BB99_2 Depth=1
	s_or_saveexec_b64 s[16:17], s[16:17]
	v_mov_b32_e32 v59, v55
	s_xor_b64 exec, exec, s[16:17]
	s_cbranch_execz .LBB99_206
; %bb.205:                              ;   in Loop: Header=BB99_2 Depth=1
	ds_read_u8 v59, v56 offset:1
	s_waitcnt lgkmcnt(1)
	v_mov_b32_e32 v58, v54
.LBB99_206:                             ;   in Loop: Header=BB99_2 Depth=1
	s_or_b64 exec, exec, s[16:17]
	v_add_u32_e32 v61, 1, v57
	v_add_u32_e32 v60, 1, v56
	v_cndmask_b32_e64 v61, v61, v57, s[14:15]
	v_cndmask_b32_e64 v60, v56, v60, s[14:15]
	v_cmp_ge_i32_e64 s[18:19], v61, v42
	s_waitcnt lgkmcnt(0)
	v_cmp_lt_u16_sdwa s[0:1], v59, v58 src0_sel:BYTE_0 src1_sel:BYTE_0
	v_cmp_gt_i32_e64 s[16:17], s87, v60
	s_or_b64 s[0:1], s[18:19], s[0:1]
	s_and_b64 s[16:17], s[16:17], s[0:1]
	s_xor_b64 s[0:1], s[16:17], -1
                                        ; implicit-def: $vgpr62
	s_and_saveexec_b64 s[18:19], s[0:1]
	s_xor_b64 s[18:19], exec, s[18:19]
; %bb.207:                              ;   in Loop: Header=BB99_2 Depth=1
	ds_read_u8 v62, v61 offset:1
; %bb.208:                              ;   in Loop: Header=BB99_2 Depth=1
	s_or_saveexec_b64 s[18:19], s[18:19]
	v_mov_b32_e32 v63, v59
	s_xor_b64 exec, exec, s[18:19]
	s_cbranch_execz .LBB99_210
; %bb.209:                              ;   in Loop: Header=BB99_2 Depth=1
	ds_read_u8 v63, v60 offset:1
	s_waitcnt lgkmcnt(1)
	v_mov_b32_e32 v62, v58
.LBB99_210:                             ;   in Loop: Header=BB99_2 Depth=1
	s_or_b64 exec, exec, s[18:19]
	v_add_u32_e32 v65, 1, v61
	v_add_u32_e32 v64, 1, v60
	v_cndmask_b32_e64 v65, v65, v61, s[16:17]
	v_cndmask_b32_e64 v64, v60, v64, s[16:17]
	v_cmp_ge_i32_e64 s[20:21], v65, v42
	s_waitcnt lgkmcnt(0)
	v_cmp_lt_u16_sdwa s[0:1], v63, v62 src0_sel:BYTE_0 src1_sel:BYTE_0
	v_cmp_gt_i32_e64 s[18:19], s87, v64
	s_or_b64 s[0:1], s[20:21], s[0:1]
	s_and_b64 s[18:19], s[18:19], s[0:1]
	s_xor_b64 s[0:1], s[18:19], -1
                                        ; implicit-def: $vgpr66
	s_and_saveexec_b64 s[20:21], s[0:1]
	s_xor_b64 s[20:21], exec, s[20:21]
; %bb.211:                              ;   in Loop: Header=BB99_2 Depth=1
	ds_read_u8 v66, v65 offset:1
; %bb.212:                              ;   in Loop: Header=BB99_2 Depth=1
	s_or_saveexec_b64 s[20:21], s[20:21]
	v_mov_b32_e32 v67, v63
	s_xor_b64 exec, exec, s[20:21]
	s_cbranch_execz .LBB99_214
; %bb.213:                              ;   in Loop: Header=BB99_2 Depth=1
	ds_read_u8 v67, v64 offset:1
	s_waitcnt lgkmcnt(1)
	v_mov_b32_e32 v66, v62
.LBB99_214:                             ;   in Loop: Header=BB99_2 Depth=1
	s_or_b64 exec, exec, s[20:21]
	v_add_u32_e32 v69, 1, v65
	v_add_u32_e32 v68, 1, v64
	v_cndmask_b32_e64 v69, v69, v65, s[18:19]
	v_cndmask_b32_e64 v68, v64, v68, s[18:19]
	v_cmp_ge_i32_e64 s[22:23], v69, v42
	s_waitcnt lgkmcnt(0)
	v_cmp_lt_u16_sdwa s[0:1], v67, v66 src0_sel:BYTE_0 src1_sel:BYTE_0
	v_cmp_gt_i32_e64 s[20:21], s87, v68
	s_or_b64 s[0:1], s[22:23], s[0:1]
	s_and_b64 s[20:21], s[20:21], s[0:1]
	s_xor_b64 s[0:1], s[20:21], -1
                                        ; implicit-def: $vgpr70
	s_and_saveexec_b64 s[22:23], s[0:1]
	s_xor_b64 s[22:23], exec, s[22:23]
; %bb.215:                              ;   in Loop: Header=BB99_2 Depth=1
	ds_read_u8 v70, v69 offset:1
; %bb.216:                              ;   in Loop: Header=BB99_2 Depth=1
	s_or_saveexec_b64 s[22:23], s[22:23]
	v_mov_b32_e32 v71, v67
	s_xor_b64 exec, exec, s[22:23]
	s_cbranch_execz .LBB99_218
; %bb.217:                              ;   in Loop: Header=BB99_2 Depth=1
	ds_read_u8 v71, v68 offset:1
	s_waitcnt lgkmcnt(1)
	v_mov_b32_e32 v70, v66
.LBB99_218:                             ;   in Loop: Header=BB99_2 Depth=1
	s_or_b64 exec, exec, s[22:23]
	v_add_u32_e32 v73, 1, v69
	v_add_u32_e32 v72, 1, v68
	v_cndmask_b32_e64 v73, v73, v69, s[20:21]
	v_cndmask_b32_e64 v72, v68, v72, s[20:21]
	v_cmp_ge_i32_e64 s[24:25], v73, v42
	s_waitcnt lgkmcnt(0)
	v_cmp_lt_u16_sdwa s[0:1], v71, v70 src0_sel:BYTE_0 src1_sel:BYTE_0
	v_cmp_gt_i32_e64 s[22:23], s87, v72
	s_or_b64 s[0:1], s[24:25], s[0:1]
	s_and_b64 s[22:23], s[22:23], s[0:1]
	s_xor_b64 s[0:1], s[22:23], -1
                                        ; implicit-def: $vgpr74
	s_and_saveexec_b64 s[24:25], s[0:1]
	s_xor_b64 s[24:25], exec, s[24:25]
; %bb.219:                              ;   in Loop: Header=BB99_2 Depth=1
	ds_read_u8 v74, v73 offset:1
; %bb.220:                              ;   in Loop: Header=BB99_2 Depth=1
	s_or_saveexec_b64 s[24:25], s[24:25]
	v_mov_b32_e32 v75, v71
	s_xor_b64 exec, exec, s[24:25]
	s_cbranch_execz .LBB99_222
; %bb.221:                              ;   in Loop: Header=BB99_2 Depth=1
	ds_read_u8 v75, v72 offset:1
	s_waitcnt lgkmcnt(1)
	v_mov_b32_e32 v74, v70
.LBB99_222:                             ;   in Loop: Header=BB99_2 Depth=1
	s_or_b64 exec, exec, s[24:25]
	v_add_u32_e32 v77, 1, v73
	v_add_u32_e32 v76, 1, v72
	v_cndmask_b32_e64 v80, v77, v73, s[22:23]
	v_cndmask_b32_e64 v76, v72, v76, s[22:23]
	v_cmp_ge_i32_e64 s[26:27], v80, v42
	s_waitcnt lgkmcnt(0)
	v_cmp_lt_u16_sdwa s[0:1], v75, v74 src0_sel:BYTE_0 src1_sel:BYTE_0
	v_cmp_gt_i32_e64 s[24:25], s87, v76
	s_or_b64 s[0:1], s[26:27], s[0:1]
	s_and_b64 s[24:25], s[24:25], s[0:1]
	s_xor_b64 s[0:1], s[24:25], -1
                                        ; implicit-def: $vgpr79
                                        ; implicit-def: $vgpr78
	s_and_saveexec_b64 s[26:27], s[0:1]
	s_xor_b64 s[26:27], exec, s[26:27]
; %bb.223:                              ;   in Loop: Header=BB99_2 Depth=1
	ds_read_u8 v79, v80 offset:1
	v_add_u32_e32 v78, 1, v80
; %bb.224:                              ;   in Loop: Header=BB99_2 Depth=1
	s_or_saveexec_b64 s[26:27], s[26:27]
	v_mov_b32_e32 v77, v80
	v_mov_b32_e32 v81, v75
	s_xor_b64 exec, exec, s[26:27]
	s_cbranch_execz .LBB99_1
; %bb.225:                              ;   in Loop: Header=BB99_2 Depth=1
	ds_read_u8 v81, v76 offset:1
	s_waitcnt lgkmcnt(1)
	v_add_u32_e32 v79, 1, v76
	v_mov_b32_e32 v77, v76
	v_mov_b32_e32 v78, v80
	;; [unrolled: 1-line block ×4, first 2 shown]
	s_branch .LBB99_1
.LBB99_226:
	v_readlane_b32 s0, v82, 1
	v_readlane_b32 s2, v82, 3
	v_readlane_b32 s0, v82, 0
	v_readlane_b32 s1, v82, 2
	v_readlane_b32 s3, v82, 4
	s_add_u32 s0, s2, s0
	s_addc_u32 s1, s3, 0
	v_mov_b32_e32 v1, s1
	v_add_co_u32_e32 v0, vcc, s0, v0
	v_add_u16_e32 v2, v52, v46
	v_addc_co_u32_e32 v1, vcc, 0, v1, vcc
	v_add_u16_e32 v3, v53, v49
	v_add_u16_e32 v4, v54, v51
	;; [unrolled: 1-line block ×7, first 2 shown]
	global_store_byte v[0:1], v2, off
	global_store_byte v[0:1], v3, off offset:128
	global_store_byte v[0:1], v4, off offset:256
	;; [unrolled: 1-line block ×7, first 2 shown]
	s_endpgm
	.section	.rodata,"a",@progbits
	.p2align	6, 0x0
	.amdhsa_kernel _Z17sort_pairs_kernelIhLj128ELj8EN10test_utils4lessELj10EEvPKT_PS2_T2_
		.amdhsa_group_segment_fixed_size 1025
		.amdhsa_private_segment_fixed_size 0
		.amdhsa_kernarg_size 20
		.amdhsa_user_sgpr_count 6
		.amdhsa_user_sgpr_private_segment_buffer 1
		.amdhsa_user_sgpr_dispatch_ptr 0
		.amdhsa_user_sgpr_queue_ptr 0
		.amdhsa_user_sgpr_kernarg_segment_ptr 1
		.amdhsa_user_sgpr_dispatch_id 0
		.amdhsa_user_sgpr_flat_scratch_init 0
		.amdhsa_user_sgpr_private_segment_size 0
		.amdhsa_uses_dynamic_stack 0
		.amdhsa_system_sgpr_private_segment_wavefront_offset 0
		.amdhsa_system_sgpr_workgroup_id_x 1
		.amdhsa_system_sgpr_workgroup_id_y 0
		.amdhsa_system_sgpr_workgroup_id_z 0
		.amdhsa_system_sgpr_workgroup_info 0
		.amdhsa_system_vgpr_workitem_id 0
		.amdhsa_next_free_vgpr 83
		.amdhsa_next_free_sgpr 96
		.amdhsa_reserve_vcc 1
		.amdhsa_reserve_flat_scratch 0
		.amdhsa_float_round_mode_32 0
		.amdhsa_float_round_mode_16_64 0
		.amdhsa_float_denorm_mode_32 3
		.amdhsa_float_denorm_mode_16_64 3
		.amdhsa_dx10_clamp 1
		.amdhsa_ieee_mode 1
		.amdhsa_fp16_overflow 0
		.amdhsa_exception_fp_ieee_invalid_op 0
		.amdhsa_exception_fp_denorm_src 0
		.amdhsa_exception_fp_ieee_div_zero 0
		.amdhsa_exception_fp_ieee_overflow 0
		.amdhsa_exception_fp_ieee_underflow 0
		.amdhsa_exception_fp_ieee_inexact 0
		.amdhsa_exception_int_div_zero 0
	.end_amdhsa_kernel
	.section	.text._Z17sort_pairs_kernelIhLj128ELj8EN10test_utils4lessELj10EEvPKT_PS2_T2_,"axG",@progbits,_Z17sort_pairs_kernelIhLj128ELj8EN10test_utils4lessELj10EEvPKT_PS2_T2_,comdat
.Lfunc_end99:
	.size	_Z17sort_pairs_kernelIhLj128ELj8EN10test_utils4lessELj10EEvPKT_PS2_T2_, .Lfunc_end99-_Z17sort_pairs_kernelIhLj128ELj8EN10test_utils4lessELj10EEvPKT_PS2_T2_
                                        ; -- End function
	.set _Z17sort_pairs_kernelIhLj128ELj8EN10test_utils4lessELj10EEvPKT_PS2_T2_.num_vgpr, 83
	.set _Z17sort_pairs_kernelIhLj128ELj8EN10test_utils4lessELj10EEvPKT_PS2_T2_.num_agpr, 0
	.set _Z17sort_pairs_kernelIhLj128ELj8EN10test_utils4lessELj10EEvPKT_PS2_T2_.numbered_sgpr, 96
	.set _Z17sort_pairs_kernelIhLj128ELj8EN10test_utils4lessELj10EEvPKT_PS2_T2_.num_named_barrier, 0
	.set _Z17sort_pairs_kernelIhLj128ELj8EN10test_utils4lessELj10EEvPKT_PS2_T2_.private_seg_size, 0
	.set _Z17sort_pairs_kernelIhLj128ELj8EN10test_utils4lessELj10EEvPKT_PS2_T2_.uses_vcc, 1
	.set _Z17sort_pairs_kernelIhLj128ELj8EN10test_utils4lessELj10EEvPKT_PS2_T2_.uses_flat_scratch, 0
	.set _Z17sort_pairs_kernelIhLj128ELj8EN10test_utils4lessELj10EEvPKT_PS2_T2_.has_dyn_sized_stack, 0
	.set _Z17sort_pairs_kernelIhLj128ELj8EN10test_utils4lessELj10EEvPKT_PS2_T2_.has_recursion, 0
	.set _Z17sort_pairs_kernelIhLj128ELj8EN10test_utils4lessELj10EEvPKT_PS2_T2_.has_indirect_call, 0
	.section	.AMDGPU.csdata,"",@progbits
; Kernel info:
; codeLenInByte = 11780
; TotalNumSgprs: 100
; NumVgprs: 83
; ScratchSize: 0
; MemoryBound: 0
; FloatMode: 240
; IeeeMode: 1
; LDSByteSize: 1025 bytes/workgroup (compile time only)
; SGPRBlocks: 12
; VGPRBlocks: 20
; NumSGPRsForWavesPerEU: 100
; NumVGPRsForWavesPerEU: 83
; Occupancy: 3
; WaveLimiterHint : 1
; COMPUTE_PGM_RSRC2:SCRATCH_EN: 0
; COMPUTE_PGM_RSRC2:USER_SGPR: 6
; COMPUTE_PGM_RSRC2:TRAP_HANDLER: 0
; COMPUTE_PGM_RSRC2:TGID_X_EN: 1
; COMPUTE_PGM_RSRC2:TGID_Y_EN: 0
; COMPUTE_PGM_RSRC2:TGID_Z_EN: 0
; COMPUTE_PGM_RSRC2:TIDIG_COMP_CNT: 0
	.section	.text._Z16sort_keys_kernelIhLj256ELj1EN10test_utils4lessELj10EEvPKT_PS2_T2_,"axG",@progbits,_Z16sort_keys_kernelIhLj256ELj1EN10test_utils4lessELj10EEvPKT_PS2_T2_,comdat
	.protected	_Z16sort_keys_kernelIhLj256ELj1EN10test_utils4lessELj10EEvPKT_PS2_T2_ ; -- Begin function _Z16sort_keys_kernelIhLj256ELj1EN10test_utils4lessELj10EEvPKT_PS2_T2_
	.globl	_Z16sort_keys_kernelIhLj256ELj1EN10test_utils4lessELj10EEvPKT_PS2_T2_
	.p2align	8
	.type	_Z16sort_keys_kernelIhLj256ELj1EN10test_utils4lessELj10EEvPKT_PS2_T2_,@function
_Z16sort_keys_kernelIhLj256ELj1EN10test_utils4lessELj10EEvPKT_PS2_T2_: ; @_Z16sort_keys_kernelIhLj256ELj1EN10test_utils4lessELj10EEvPKT_PS2_T2_
; %bb.0:
	s_load_dwordx4 s[16:19], s[4:5], 0x0
	s_lshl_b32 s22, s6, 8
	v_and_b32_e32 v1, 0xfc, v0
	v_and_b32_e32 v3, 0xf8, v0
	;; [unrolled: 1-line block ×3, first 2 shown]
	s_waitcnt lgkmcnt(0)
	s_add_u32 s0, s16, s22
	s_addc_u32 s1, s17, 0
	global_load_ubyte v47, v0, s[0:1]
	v_and_b32_e32 v7, 0xe0, v0
	v_and_b32_e32 v9, 0xc0, v0
	;; [unrolled: 1-line block ×3, first 2 shown]
	v_or_b32_e32 v21, 2, v1
	v_add_u32_e32 v2, 4, v1
	v_or_b32_e32 v25, 4, v3
	v_add_u32_e32 v4, 8, v3
	;; [unrolled: 2-line block ×6, first 2 shown]
	v_and_b32_e32 v22, 3, v0
	v_sub_u32_e32 v19, v2, v21
	v_and_b32_e32 v26, 7, v0
	v_sub_u32_e32 v23, v4, v25
	;; [unrolled: 2-line block ×7, first 2 shown]
	v_sub_u32_e32 v24, v26, v23
	v_sub_u32_e32 v28, v30, v27
	;; [unrolled: 1-line block ×5, first 2 shown]
	v_and_b32_e32 v18, 1, v0
	v_or_b32_e32 v15, 1, v14
	v_cmp_ge_i32_e64 s[0:1], v22, v19
	v_cmp_ge_i32_e64 s[2:3], v26, v23
	;; [unrolled: 1-line block ×6, first 2 shown]
	v_add_u32_e32 v13, -1, v18
	v_cmp_lt_i32_e32 vcc, 0, v18
	v_sub_u32_e32 v16, v15, v14
	v_cndmask_b32_e64 v19, 0, v20, s[0:1]
	v_sub_u32_e32 v20, v21, v1
	v_cndmask_b32_e64 v23, 0, v24, s[2:3]
	v_sub_u32_e32 v24, v25, v3
	v_cndmask_b32_e64 v27, 0, v28, s[4:5]
	v_sub_u32_e32 v28, v29, v5
	v_cndmask_b32_e64 v31, 0, v32, s[6:7]
	v_sub_u32_e32 v32, v33, v7
	v_cndmask_b32_e64 v35, 0, v36, s[8:9]
	v_sub_u32_e32 v36, v37, v9
	v_cndmask_b32_e64 v39, 0, v40, s[10:11]
	v_sub_u32_e32 v40, v41, v11
	v_mov_b32_e32 v43, 0x80
	v_cndmask_b32_e32 v13, 0, v13, vcc
	v_min_i32_e32 v17, v18, v16
	v_add_u32_e32 v21, v21, v22
	v_min_i32_e32 v22, v22, v20
	v_add_u32_e32 v25, v25, v26
	;; [unrolled: 2-line block ×6, first 2 shown]
	v_min_i32_e32 v42, v42, v40
	v_sub_u32_e64 v44, v0, v43 clamp
	v_min_i32_e32 v45, 0x80, v0
	s_mov_b32 s23, 0
	v_cmp_lt_i32_e32 vcc, v13, v17
	v_add_u32_e32 v18, v15, v18
	v_cmp_lt_i32_e64 s[0:1], v19, v22
	v_cmp_lt_i32_e64 s[2:3], v23, v26
	;; [unrolled: 1-line block ×7, first 2 shown]
	s_movk_i32 s24, 0x100
	v_add_u32_e32 v46, 0x80, v0
	s_branch .LBB100_2
.LBB100_1:                              ;   in Loop: Header=BB100_2 Depth=1
	s_or_b64 exec, exec, s[16:17]
	v_sub_u32_e32 v48, v46, v47
	ds_read_u8 v49, v47
	ds_read_u8 v50, v48
	v_cmp_ge_i32_e64 s[14:15], v47, v43
	v_cmp_gt_i32_e64 s[16:17], s24, v48
	s_add_i32 s23, s23, 1
	s_waitcnt lgkmcnt(0)
	v_cmp_lt_u16_sdwa s[20:21], v50, v49 src0_sel:BYTE_0 src1_sel:BYTE_0
	s_or_b64 s[14:15], s[14:15], s[20:21]
	s_and_b64 s[14:15], s[16:17], s[14:15]
	s_cmp_eq_u32 s23, 10
	v_cndmask_b32_e64 v47, v49, v50, s[14:15]
	s_cbranch_scc1 .LBB100_34
.LBB100_2:                              ; =>This Loop Header: Depth=1
                                        ;     Child Loop BB100_4 Depth 2
                                        ;     Child Loop BB100_8 Depth 2
	;; [unrolled: 1-line block ×8, first 2 shown]
	s_waitcnt vmcnt(0)
	s_barrier
	ds_write_b8 v0, v47
	v_mov_b32_e32 v47, v13
	s_waitcnt lgkmcnt(0)
	s_barrier
	s_and_saveexec_b64 s[16:17], vcc
	s_cbranch_execz .LBB100_6
; %bb.3:                                ;   in Loop: Header=BB100_2 Depth=1
	s_mov_b64 s[20:21], 0
	v_mov_b32_e32 v47, v13
	v_mov_b32_e32 v48, v17
.LBB100_4:                              ;   Parent Loop BB100_2 Depth=1
                                        ; =>  This Inner Loop Header: Depth=2
	v_sub_u32_e32 v49, v48, v47
	v_lshrrev_b32_e32 v49, 1, v49
	v_add_u32_e32 v49, v49, v47
	v_add_u32_e32 v50, v14, v49
	v_xad_u32 v51, v49, -1, v18
	ds_read_u8 v50, v50
	ds_read_u8 v51, v51
	v_add_u32_e32 v52, 1, v49
	s_waitcnt lgkmcnt(0)
	v_cmp_lt_u16_e64 s[14:15], v51, v50
	v_cndmask_b32_e64 v48, v48, v49, s[14:15]
	v_cndmask_b32_e64 v47, v52, v47, s[14:15]
	v_cmp_ge_i32_e64 s[14:15], v47, v48
	s_or_b64 s[20:21], s[14:15], s[20:21]
	s_andn2_b64 exec, exec, s[20:21]
	s_cbranch_execnz .LBB100_4
; %bb.5:                                ;   in Loop: Header=BB100_2 Depth=1
	s_or_b64 exec, exec, s[20:21]
.LBB100_6:                              ;   in Loop: Header=BB100_2 Depth=1
	s_or_b64 exec, exec, s[16:17]
	v_add_u32_e32 v49, v14, v47
	v_sub_u32_e32 v48, v18, v47
	ds_read_u8 v49, v49
	ds_read_u8 v50, v48
	v_cmp_ge_i32_e64 s[14:15], v47, v16
	v_cmp_ge_i32_e64 s[16:17], v15, v48
	s_waitcnt lgkmcnt(0)
	s_barrier
	v_cmp_lt_u16_sdwa s[20:21], v50, v49 src0_sel:BYTE_0 src1_sel:BYTE_0
	s_or_b64 s[14:15], s[14:15], s[20:21]
	s_and_b64 s[14:15], s[16:17], s[14:15]
	v_cndmask_b32_e64 v47, v49, v50, s[14:15]
	ds_write_b8 v0, v47
	v_mov_b32_e32 v47, v19
	s_waitcnt lgkmcnt(0)
	s_barrier
	s_and_saveexec_b64 s[16:17], s[0:1]
	s_cbranch_execz .LBB100_10
; %bb.7:                                ;   in Loop: Header=BB100_2 Depth=1
	s_mov_b64 s[20:21], 0
	v_mov_b32_e32 v47, v19
	v_mov_b32_e32 v48, v22
.LBB100_8:                              ;   Parent Loop BB100_2 Depth=1
                                        ; =>  This Inner Loop Header: Depth=2
	v_sub_u32_e32 v49, v48, v47
	v_lshrrev_b32_e32 v49, 1, v49
	v_add_u32_e32 v49, v49, v47
	v_add_u32_e32 v50, v1, v49
	v_xad_u32 v51, v49, -1, v21
	ds_read_u8 v50, v50
	ds_read_u8 v51, v51
	v_add_u32_e32 v52, 1, v49
	s_waitcnt lgkmcnt(0)
	v_cmp_lt_u16_e64 s[14:15], v51, v50
	v_cndmask_b32_e64 v48, v48, v49, s[14:15]
	v_cndmask_b32_e64 v47, v52, v47, s[14:15]
	v_cmp_ge_i32_e64 s[14:15], v47, v48
	s_or_b64 s[20:21], s[14:15], s[20:21]
	s_andn2_b64 exec, exec, s[20:21]
	s_cbranch_execnz .LBB100_8
; %bb.9:                                ;   in Loop: Header=BB100_2 Depth=1
	s_or_b64 exec, exec, s[20:21]
.LBB100_10:                             ;   in Loop: Header=BB100_2 Depth=1
	s_or_b64 exec, exec, s[16:17]
	v_add_u32_e32 v49, v1, v47
	v_sub_u32_e32 v48, v21, v47
	ds_read_u8 v49, v49
	ds_read_u8 v50, v48
	v_cmp_ge_i32_e64 s[14:15], v47, v20
	v_cmp_gt_i32_e64 s[16:17], v2, v48
	s_waitcnt lgkmcnt(0)
	s_barrier
	v_cmp_lt_u16_sdwa s[20:21], v50, v49 src0_sel:BYTE_0 src1_sel:BYTE_0
	s_or_b64 s[14:15], s[14:15], s[20:21]
	s_and_b64 s[14:15], s[16:17], s[14:15]
	v_cndmask_b32_e64 v47, v49, v50, s[14:15]
	ds_write_b8 v0, v47
	v_mov_b32_e32 v47, v23
	s_waitcnt lgkmcnt(0)
	s_barrier
	s_and_saveexec_b64 s[16:17], s[2:3]
	s_cbranch_execz .LBB100_14
; %bb.11:                               ;   in Loop: Header=BB100_2 Depth=1
	s_mov_b64 s[20:21], 0
	v_mov_b32_e32 v47, v23
	v_mov_b32_e32 v48, v26
.LBB100_12:                             ;   Parent Loop BB100_2 Depth=1
                                        ; =>  This Inner Loop Header: Depth=2
	v_sub_u32_e32 v49, v48, v47
	v_lshrrev_b32_e32 v49, 1, v49
	v_add_u32_e32 v49, v49, v47
	v_add_u32_e32 v50, v3, v49
	v_xad_u32 v51, v49, -1, v25
	ds_read_u8 v50, v50
	ds_read_u8 v51, v51
	v_add_u32_e32 v52, 1, v49
	s_waitcnt lgkmcnt(0)
	v_cmp_lt_u16_e64 s[14:15], v51, v50
	v_cndmask_b32_e64 v48, v48, v49, s[14:15]
	v_cndmask_b32_e64 v47, v52, v47, s[14:15]
	v_cmp_ge_i32_e64 s[14:15], v47, v48
	s_or_b64 s[20:21], s[14:15], s[20:21]
	s_andn2_b64 exec, exec, s[20:21]
	s_cbranch_execnz .LBB100_12
; %bb.13:                               ;   in Loop: Header=BB100_2 Depth=1
	s_or_b64 exec, exec, s[20:21]
.LBB100_14:                             ;   in Loop: Header=BB100_2 Depth=1
	s_or_b64 exec, exec, s[16:17]
	v_add_u32_e32 v49, v3, v47
	v_sub_u32_e32 v48, v25, v47
	ds_read_u8 v49, v49
	ds_read_u8 v50, v48
	v_cmp_ge_i32_e64 s[14:15], v47, v24
	v_cmp_gt_i32_e64 s[16:17], v4, v48
	s_waitcnt lgkmcnt(0)
	s_barrier
	v_cmp_lt_u16_sdwa s[20:21], v50, v49 src0_sel:BYTE_0 src1_sel:BYTE_0
	s_or_b64 s[14:15], s[14:15], s[20:21]
	s_and_b64 s[14:15], s[16:17], s[14:15]
	v_cndmask_b32_e64 v47, v49, v50, s[14:15]
	ds_write_b8 v0, v47
	v_mov_b32_e32 v47, v27
	s_waitcnt lgkmcnt(0)
	s_barrier
	s_and_saveexec_b64 s[16:17], s[4:5]
	s_cbranch_execz .LBB100_18
; %bb.15:                               ;   in Loop: Header=BB100_2 Depth=1
	s_mov_b64 s[20:21], 0
	v_mov_b32_e32 v47, v27
	v_mov_b32_e32 v48, v30
.LBB100_16:                             ;   Parent Loop BB100_2 Depth=1
                                        ; =>  This Inner Loop Header: Depth=2
	v_sub_u32_e32 v49, v48, v47
	v_lshrrev_b32_e32 v49, 1, v49
	v_add_u32_e32 v49, v49, v47
	v_add_u32_e32 v50, v5, v49
	v_xad_u32 v51, v49, -1, v29
	ds_read_u8 v50, v50
	ds_read_u8 v51, v51
	v_add_u32_e32 v52, 1, v49
	s_waitcnt lgkmcnt(0)
	v_cmp_lt_u16_e64 s[14:15], v51, v50
	v_cndmask_b32_e64 v48, v48, v49, s[14:15]
	v_cndmask_b32_e64 v47, v52, v47, s[14:15]
	v_cmp_ge_i32_e64 s[14:15], v47, v48
	s_or_b64 s[20:21], s[14:15], s[20:21]
	s_andn2_b64 exec, exec, s[20:21]
	s_cbranch_execnz .LBB100_16
; %bb.17:                               ;   in Loop: Header=BB100_2 Depth=1
	s_or_b64 exec, exec, s[20:21]
.LBB100_18:                             ;   in Loop: Header=BB100_2 Depth=1
	;; [unrolled: 44-line block ×5, first 2 shown]
	s_or_b64 exec, exec, s[16:17]
	v_add_u32_e32 v49, v11, v47
	v_sub_u32_e32 v48, v41, v47
	ds_read_u8 v49, v49
	ds_read_u8 v50, v48
	v_cmp_ge_i32_e64 s[14:15], v47, v40
	v_cmp_gt_i32_e64 s[16:17], v12, v48
	s_waitcnt lgkmcnt(0)
	s_barrier
	v_cmp_lt_u16_sdwa s[20:21], v50, v49 src0_sel:BYTE_0 src1_sel:BYTE_0
	s_or_b64 s[14:15], s[14:15], s[20:21]
	s_and_b64 s[14:15], s[16:17], s[14:15]
	v_cndmask_b32_e64 v47, v49, v50, s[14:15]
	ds_write_b8 v0, v47
	v_mov_b32_e32 v47, v44
	s_waitcnt lgkmcnt(0)
	s_barrier
	s_and_saveexec_b64 s[16:17], s[12:13]
	s_cbranch_execz .LBB100_1
; %bb.31:                               ;   in Loop: Header=BB100_2 Depth=1
	s_mov_b64 s[20:21], 0
	v_mov_b32_e32 v47, v44
	v_mov_b32_e32 v48, v45
.LBB100_32:                             ;   Parent Loop BB100_2 Depth=1
                                        ; =>  This Inner Loop Header: Depth=2
	v_sub_u32_e32 v49, v48, v47
	v_lshrrev_b32_e32 v49, 1, v49
	v_add_u32_e32 v49, v49, v47
	v_xad_u32 v50, v49, -1, v46
	ds_read_u8 v51, v49
	ds_read_u8 v50, v50
	v_add_u32_e32 v52, 1, v49
	s_waitcnt lgkmcnt(0)
	v_cmp_lt_u16_e64 s[14:15], v50, v51
	v_cndmask_b32_e64 v48, v48, v49, s[14:15]
	v_cndmask_b32_e64 v47, v52, v47, s[14:15]
	v_cmp_ge_i32_e64 s[14:15], v47, v48
	s_or_b64 s[20:21], s[14:15], s[20:21]
	s_andn2_b64 exec, exec, s[20:21]
	s_cbranch_execnz .LBB100_32
; %bb.33:                               ;   in Loop: Header=BB100_2 Depth=1
	s_or_b64 exec, exec, s[20:21]
	s_branch .LBB100_1
.LBB100_34:
	s_add_u32 s0, s18, s22
	s_addc_u32 s1, s19, 0
	v_mov_b32_e32 v1, s1
	v_add_co_u32_e32 v0, vcc, s0, v0
	v_addc_co_u32_e32 v1, vcc, 0, v1, vcc
	global_store_byte v[0:1], v47, off
	s_endpgm
	.section	.rodata,"a",@progbits
	.p2align	6, 0x0
	.amdhsa_kernel _Z16sort_keys_kernelIhLj256ELj1EN10test_utils4lessELj10EEvPKT_PS2_T2_
		.amdhsa_group_segment_fixed_size 257
		.amdhsa_private_segment_fixed_size 0
		.amdhsa_kernarg_size 20
		.amdhsa_user_sgpr_count 6
		.amdhsa_user_sgpr_private_segment_buffer 1
		.amdhsa_user_sgpr_dispatch_ptr 0
		.amdhsa_user_sgpr_queue_ptr 0
		.amdhsa_user_sgpr_kernarg_segment_ptr 1
		.amdhsa_user_sgpr_dispatch_id 0
		.amdhsa_user_sgpr_flat_scratch_init 0
		.amdhsa_user_sgpr_private_segment_size 0
		.amdhsa_uses_dynamic_stack 0
		.amdhsa_system_sgpr_private_segment_wavefront_offset 0
		.amdhsa_system_sgpr_workgroup_id_x 1
		.amdhsa_system_sgpr_workgroup_id_y 0
		.amdhsa_system_sgpr_workgroup_id_z 0
		.amdhsa_system_sgpr_workgroup_info 0
		.amdhsa_system_vgpr_workitem_id 0
		.amdhsa_next_free_vgpr 53
		.amdhsa_next_free_sgpr 25
		.amdhsa_reserve_vcc 1
		.amdhsa_reserve_flat_scratch 0
		.amdhsa_float_round_mode_32 0
		.amdhsa_float_round_mode_16_64 0
		.amdhsa_float_denorm_mode_32 3
		.amdhsa_float_denorm_mode_16_64 3
		.amdhsa_dx10_clamp 1
		.amdhsa_ieee_mode 1
		.amdhsa_fp16_overflow 0
		.amdhsa_exception_fp_ieee_invalid_op 0
		.amdhsa_exception_fp_denorm_src 0
		.amdhsa_exception_fp_ieee_div_zero 0
		.amdhsa_exception_fp_ieee_overflow 0
		.amdhsa_exception_fp_ieee_underflow 0
		.amdhsa_exception_fp_ieee_inexact 0
		.amdhsa_exception_int_div_zero 0
	.end_amdhsa_kernel
	.section	.text._Z16sort_keys_kernelIhLj256ELj1EN10test_utils4lessELj10EEvPKT_PS2_T2_,"axG",@progbits,_Z16sort_keys_kernelIhLj256ELj1EN10test_utils4lessELj10EEvPKT_PS2_T2_,comdat
.Lfunc_end100:
	.size	_Z16sort_keys_kernelIhLj256ELj1EN10test_utils4lessELj10EEvPKT_PS2_T2_, .Lfunc_end100-_Z16sort_keys_kernelIhLj256ELj1EN10test_utils4lessELj10EEvPKT_PS2_T2_
                                        ; -- End function
	.set _Z16sort_keys_kernelIhLj256ELj1EN10test_utils4lessELj10EEvPKT_PS2_T2_.num_vgpr, 53
	.set _Z16sort_keys_kernelIhLj256ELj1EN10test_utils4lessELj10EEvPKT_PS2_T2_.num_agpr, 0
	.set _Z16sort_keys_kernelIhLj256ELj1EN10test_utils4lessELj10EEvPKT_PS2_T2_.numbered_sgpr, 25
	.set _Z16sort_keys_kernelIhLj256ELj1EN10test_utils4lessELj10EEvPKT_PS2_T2_.num_named_barrier, 0
	.set _Z16sort_keys_kernelIhLj256ELj1EN10test_utils4lessELj10EEvPKT_PS2_T2_.private_seg_size, 0
	.set _Z16sort_keys_kernelIhLj256ELj1EN10test_utils4lessELj10EEvPKT_PS2_T2_.uses_vcc, 1
	.set _Z16sort_keys_kernelIhLj256ELj1EN10test_utils4lessELj10EEvPKT_PS2_T2_.uses_flat_scratch, 0
	.set _Z16sort_keys_kernelIhLj256ELj1EN10test_utils4lessELj10EEvPKT_PS2_T2_.has_dyn_sized_stack, 0
	.set _Z16sort_keys_kernelIhLj256ELj1EN10test_utils4lessELj10EEvPKT_PS2_T2_.has_recursion, 0
	.set _Z16sort_keys_kernelIhLj256ELj1EN10test_utils4lessELj10EEvPKT_PS2_T2_.has_indirect_call, 0
	.section	.AMDGPU.csdata,"",@progbits
; Kernel info:
; codeLenInByte = 2260
; TotalNumSgprs: 29
; NumVgprs: 53
; ScratchSize: 0
; MemoryBound: 0
; FloatMode: 240
; IeeeMode: 1
; LDSByteSize: 257 bytes/workgroup (compile time only)
; SGPRBlocks: 3
; VGPRBlocks: 13
; NumSGPRsForWavesPerEU: 29
; NumVGPRsForWavesPerEU: 53
; Occupancy: 4
; WaveLimiterHint : 0
; COMPUTE_PGM_RSRC2:SCRATCH_EN: 0
; COMPUTE_PGM_RSRC2:USER_SGPR: 6
; COMPUTE_PGM_RSRC2:TRAP_HANDLER: 0
; COMPUTE_PGM_RSRC2:TGID_X_EN: 1
; COMPUTE_PGM_RSRC2:TGID_Y_EN: 0
; COMPUTE_PGM_RSRC2:TGID_Z_EN: 0
; COMPUTE_PGM_RSRC2:TIDIG_COMP_CNT: 0
	.section	.text._Z17sort_pairs_kernelIhLj256ELj1EN10test_utils4lessELj10EEvPKT_PS2_T2_,"axG",@progbits,_Z17sort_pairs_kernelIhLj256ELj1EN10test_utils4lessELj10EEvPKT_PS2_T2_,comdat
	.protected	_Z17sort_pairs_kernelIhLj256ELj1EN10test_utils4lessELj10EEvPKT_PS2_T2_ ; -- Begin function _Z17sort_pairs_kernelIhLj256ELj1EN10test_utils4lessELj10EEvPKT_PS2_T2_
	.globl	_Z17sort_pairs_kernelIhLj256ELj1EN10test_utils4lessELj10EEvPKT_PS2_T2_
	.p2align	8
	.type	_Z17sort_pairs_kernelIhLj256ELj1EN10test_utils4lessELj10EEvPKT_PS2_T2_,@function
_Z17sort_pairs_kernelIhLj256ELj1EN10test_utils4lessELj10EEvPKT_PS2_T2_: ; @_Z17sort_pairs_kernelIhLj256ELj1EN10test_utils4lessELj10EEvPKT_PS2_T2_
; %bb.0:
	s_load_dwordx4 s[16:19], s[4:5], 0x0
	s_lshl_b32 s22, s6, 8
	v_and_b32_e32 v1, 0xfc, v0
	v_and_b32_e32 v4, 0xf8, v0
	;; [unrolled: 1-line block ×3, first 2 shown]
	s_waitcnt lgkmcnt(0)
	s_add_u32 s0, s16, s22
	s_addc_u32 s1, s17, 0
	global_load_ubyte v46, v0, s[0:1]
	v_and_b32_e32 v10, 0xe0, v0
	v_and_b32_e32 v13, 0xc0, v0
	;; [unrolled: 1-line block ×3, first 2 shown]
	v_or_b32_e32 v2, 2, v1
	v_add_u32_e32 v3, 4, v1
	v_or_b32_e32 v5, 4, v4
	v_add_u32_e32 v6, 8, v4
	;; [unrolled: 2-line block ×6, first 2 shown]
	v_and_b32_e32 v26, 3, v0
	v_sub_u32_e32 v24, v3, v2
	v_and_b32_e32 v29, 7, v0
	v_sub_u32_e32 v27, v6, v5
	;; [unrolled: 2-line block ×7, first 2 shown]
	v_sub_u32_e32 v28, v29, v27
	v_sub_u32_e32 v31, v32, v30
	;; [unrolled: 1-line block ×5, first 2 shown]
	v_and_b32_e32 v23, 1, v0
	v_or_b32_e32 v21, 1, v20
	v_cmp_ge_i32_e64 s[0:1], v26, v24
	v_cmp_ge_i32_e64 s[2:3], v29, v27
	;; [unrolled: 1-line block ×6, first 2 shown]
	v_add_u32_e32 v19, -1, v23
	v_cmp_lt_i32_e32 vcc, 0, v23
	v_sub_u32_e32 v22, v21, v20
	v_cndmask_b32_e64 v24, 0, v25, s[0:1]
	v_sub_u32_e32 v25, v2, v1
	v_cndmask_b32_e64 v27, 0, v28, s[2:3]
	;; [unrolled: 2-line block ×6, first 2 shown]
	v_sub_u32_e32 v40, v17, v16
	v_mov_b32_e32 v42, 0x80
	v_cndmask_b32_e32 v19, 0, v19, vcc
	v_min_i32_e32 v22, v23, v22
	v_min_i32_e32 v25, v26, v25
	;; [unrolled: 1-line block ×7, first 2 shown]
	v_sub_u32_e64 v43, v0, v42 clamp
	v_min_i32_e32 v44, 0x80, v0
	s_mov_b32 s23, 0
	v_cmp_lt_i32_e32 vcc, v19, v22
	v_add_u32_e32 v23, v21, v23
	v_cmp_lt_i32_e64 s[0:1], v24, v25
	v_add_u32_e32 v26, v2, v26
	v_cmp_lt_i32_e64 s[2:3], v27, v28
	;; [unrolled: 2-line block ×7, first 2 shown]
	s_movk_i32 s24, 0x100
	s_waitcnt vmcnt(0)
	v_add_u16_e32 v47, 1, v46
	v_add_u32_e32 v45, 0x80, v0
	s_branch .LBB101_2
.LBB101_1:                              ;   in Loop: Header=BB101_2 Depth=1
	s_or_b64 exec, exec, s[16:17]
	v_sub_u32_e32 v49, v45, v48
	ds_read_u8 v46, v48
	ds_read_u8 v50, v49
	v_cmp_le_i32_e64 s[14:15], v42, v48
	v_cmp_gt_i32_e64 s[16:17], s24, v49
	s_waitcnt lgkmcnt(0)
	s_barrier
	v_cmp_lt_u16_sdwa s[20:21], v50, v46 src0_sel:BYTE_0 src1_sel:BYTE_0
	s_or_b64 s[14:15], s[14:15], s[20:21]
	s_and_b64 s[14:15], s[16:17], s[14:15]
	v_cndmask_b32_e64 v48, v48, v49, s[14:15]
	ds_write_b8 v0, v47
	s_waitcnt lgkmcnt(0)
	s_barrier
	ds_read_u8 v47, v48
	s_add_i32 s23, s23, 1
	v_cndmask_b32_e64 v46, v46, v50, s[14:15]
	s_cmp_eq_u32 s23, 10
	s_cbranch_scc1 .LBB101_34
.LBB101_2:                              ; =>This Loop Header: Depth=1
                                        ;     Child Loop BB101_4 Depth 2
                                        ;     Child Loop BB101_8 Depth 2
	;; [unrolled: 1-line block ×8, first 2 shown]
	s_waitcnt lgkmcnt(0)
	s_barrier
	ds_write_b8 v0, v46
	v_mov_b32_e32 v46, v19
	s_waitcnt lgkmcnt(0)
	s_barrier
	s_and_saveexec_b64 s[16:17], vcc
	s_cbranch_execz .LBB101_6
; %bb.3:                                ;   in Loop: Header=BB101_2 Depth=1
	s_mov_b64 s[20:21], 0
	v_mov_b32_e32 v46, v19
	v_mov_b32_e32 v48, v22
.LBB101_4:                              ;   Parent Loop BB101_2 Depth=1
                                        ; =>  This Inner Loop Header: Depth=2
	v_sub_u32_e32 v49, v48, v46
	v_lshrrev_b32_e32 v49, 1, v49
	v_add_u32_e32 v49, v49, v46
	v_add_u32_e32 v50, v20, v49
	v_xad_u32 v51, v49, -1, v23
	ds_read_u8 v50, v50
	ds_read_u8 v51, v51
	v_add_u32_e32 v52, 1, v49
	s_waitcnt lgkmcnt(0)
	v_cmp_lt_u16_e64 s[14:15], v51, v50
	v_cndmask_b32_e64 v48, v48, v49, s[14:15]
	v_cndmask_b32_e64 v46, v52, v46, s[14:15]
	v_cmp_ge_i32_e64 s[14:15], v46, v48
	s_or_b64 s[20:21], s[14:15], s[20:21]
	s_andn2_b64 exec, exec, s[20:21]
	s_cbranch_execnz .LBB101_4
; %bb.5:                                ;   in Loop: Header=BB101_2 Depth=1
	s_or_b64 exec, exec, s[20:21]
.LBB101_6:                              ;   in Loop: Header=BB101_2 Depth=1
	s_or_b64 exec, exec, s[16:17]
	v_add_u32_e32 v48, v46, v20
	v_sub_u32_e32 v46, v23, v46
	ds_read_u8 v49, v48
	ds_read_u8 v50, v46
	v_cmp_le_i32_e64 s[16:17], v21, v48
	v_cmp_ge_i32_e64 s[14:15], v21, v46
	s_waitcnt lgkmcnt(0)
	s_barrier
	v_cmp_lt_u16_sdwa s[20:21], v50, v49 src0_sel:BYTE_0 src1_sel:BYTE_0
	s_or_b64 s[16:17], s[16:17], s[20:21]
	s_and_b64 s[14:15], s[14:15], s[16:17]
	v_cndmask_b32_e64 v46, v48, v46, s[14:15]
	ds_write_b8 v0, v47
	s_waitcnt lgkmcnt(0)
	s_barrier
	ds_read_u8 v46, v46
	v_cndmask_b32_e64 v49, v49, v50, s[14:15]
	v_mov_b32_e32 v47, v24
	s_waitcnt lgkmcnt(0)
	s_barrier
	ds_write_b8 v0, v49
	s_waitcnt lgkmcnt(0)
	s_barrier
	s_and_saveexec_b64 s[16:17], s[0:1]
	s_cbranch_execz .LBB101_10
; %bb.7:                                ;   in Loop: Header=BB101_2 Depth=1
	s_mov_b64 s[20:21], 0
	v_mov_b32_e32 v47, v24
	v_mov_b32_e32 v48, v25
.LBB101_8:                              ;   Parent Loop BB101_2 Depth=1
                                        ; =>  This Inner Loop Header: Depth=2
	v_sub_u32_e32 v49, v48, v47
	v_lshrrev_b32_e32 v49, 1, v49
	v_add_u32_e32 v49, v49, v47
	v_add_u32_e32 v50, v1, v49
	v_xad_u32 v51, v49, -1, v26
	ds_read_u8 v50, v50
	ds_read_u8 v51, v51
	v_add_u32_e32 v52, 1, v49
	s_waitcnt lgkmcnt(0)
	v_cmp_lt_u16_e64 s[14:15], v51, v50
	v_cndmask_b32_e64 v48, v48, v49, s[14:15]
	v_cndmask_b32_e64 v47, v52, v47, s[14:15]
	v_cmp_ge_i32_e64 s[14:15], v47, v48
	s_or_b64 s[20:21], s[14:15], s[20:21]
	s_andn2_b64 exec, exec, s[20:21]
	s_cbranch_execnz .LBB101_8
; %bb.9:                                ;   in Loop: Header=BB101_2 Depth=1
	s_or_b64 exec, exec, s[20:21]
.LBB101_10:                             ;   in Loop: Header=BB101_2 Depth=1
	s_or_b64 exec, exec, s[16:17]
	v_add_u32_e32 v48, v47, v1
	v_sub_u32_e32 v47, v26, v47
	ds_read_u8 v49, v48
	ds_read_u8 v50, v47
	v_cmp_le_i32_e64 s[16:17], v2, v48
	v_cmp_gt_i32_e64 s[14:15], v3, v47
	s_waitcnt lgkmcnt(0)
	s_barrier
	v_cmp_lt_u16_sdwa s[20:21], v50, v49 src0_sel:BYTE_0 src1_sel:BYTE_0
	s_or_b64 s[16:17], s[16:17], s[20:21]
	s_and_b64 s[14:15], s[14:15], s[16:17]
	v_cndmask_b32_e64 v47, v48, v47, s[14:15]
	ds_write_b8 v0, v46
	s_waitcnt lgkmcnt(0)
	s_barrier
	ds_read_u8 v46, v47
	v_cndmask_b32_e64 v49, v49, v50, s[14:15]
	v_mov_b32_e32 v47, v27
	s_waitcnt lgkmcnt(0)
	s_barrier
	ds_write_b8 v0, v49
	s_waitcnt lgkmcnt(0)
	s_barrier
	s_and_saveexec_b64 s[16:17], s[2:3]
	s_cbranch_execz .LBB101_14
; %bb.11:                               ;   in Loop: Header=BB101_2 Depth=1
	s_mov_b64 s[20:21], 0
	v_mov_b32_e32 v47, v27
	v_mov_b32_e32 v48, v28
.LBB101_12:                             ;   Parent Loop BB101_2 Depth=1
                                        ; =>  This Inner Loop Header: Depth=2
	v_sub_u32_e32 v49, v48, v47
	v_lshrrev_b32_e32 v49, 1, v49
	v_add_u32_e32 v49, v49, v47
	v_add_u32_e32 v50, v4, v49
	v_xad_u32 v51, v49, -1, v29
	ds_read_u8 v50, v50
	ds_read_u8 v51, v51
	v_add_u32_e32 v52, 1, v49
	s_waitcnt lgkmcnt(0)
	v_cmp_lt_u16_e64 s[14:15], v51, v50
	v_cndmask_b32_e64 v48, v48, v49, s[14:15]
	v_cndmask_b32_e64 v47, v52, v47, s[14:15]
	v_cmp_ge_i32_e64 s[14:15], v47, v48
	s_or_b64 s[20:21], s[14:15], s[20:21]
	s_andn2_b64 exec, exec, s[20:21]
	s_cbranch_execnz .LBB101_12
; %bb.13:                               ;   in Loop: Header=BB101_2 Depth=1
	s_or_b64 exec, exec, s[20:21]
.LBB101_14:                             ;   in Loop: Header=BB101_2 Depth=1
	s_or_b64 exec, exec, s[16:17]
	v_add_u32_e32 v48, v47, v4
	v_sub_u32_e32 v47, v29, v47
	ds_read_u8 v49, v48
	ds_read_u8 v50, v47
	v_cmp_le_i32_e64 s[16:17], v5, v48
	v_cmp_gt_i32_e64 s[14:15], v6, v47
	s_waitcnt lgkmcnt(0)
	s_barrier
	v_cmp_lt_u16_sdwa s[20:21], v50, v49 src0_sel:BYTE_0 src1_sel:BYTE_0
	s_or_b64 s[16:17], s[16:17], s[20:21]
	s_and_b64 s[14:15], s[14:15], s[16:17]
	v_cndmask_b32_e64 v47, v48, v47, s[14:15]
	ds_write_b8 v0, v46
	s_waitcnt lgkmcnt(0)
	s_barrier
	ds_read_u8 v46, v47
	v_cndmask_b32_e64 v49, v49, v50, s[14:15]
	v_mov_b32_e32 v47, v30
	s_waitcnt lgkmcnt(0)
	s_barrier
	ds_write_b8 v0, v49
	s_waitcnt lgkmcnt(0)
	s_barrier
	s_and_saveexec_b64 s[16:17], s[4:5]
	s_cbranch_execz .LBB101_18
; %bb.15:                               ;   in Loop: Header=BB101_2 Depth=1
	s_mov_b64 s[20:21], 0
	v_mov_b32_e32 v47, v30
	v_mov_b32_e32 v48, v31
.LBB101_16:                             ;   Parent Loop BB101_2 Depth=1
                                        ; =>  This Inner Loop Header: Depth=2
	v_sub_u32_e32 v49, v48, v47
	v_lshrrev_b32_e32 v49, 1, v49
	v_add_u32_e32 v49, v49, v47
	v_add_u32_e32 v50, v7, v49
	v_xad_u32 v51, v49, -1, v32
	ds_read_u8 v50, v50
	ds_read_u8 v51, v51
	v_add_u32_e32 v52, 1, v49
	s_waitcnt lgkmcnt(0)
	v_cmp_lt_u16_e64 s[14:15], v51, v50
	v_cndmask_b32_e64 v48, v48, v49, s[14:15]
	v_cndmask_b32_e64 v47, v52, v47, s[14:15]
	v_cmp_ge_i32_e64 s[14:15], v47, v48
	s_or_b64 s[20:21], s[14:15], s[20:21]
	s_andn2_b64 exec, exec, s[20:21]
	s_cbranch_execnz .LBB101_16
; %bb.17:                               ;   in Loop: Header=BB101_2 Depth=1
	s_or_b64 exec, exec, s[20:21]
.LBB101_18:                             ;   in Loop: Header=BB101_2 Depth=1
	;; [unrolled: 51-line block ×5, first 2 shown]
	s_or_b64 exec, exec, s[16:17]
	v_add_u32_e32 v48, v47, v16
	v_sub_u32_e32 v47, v41, v47
	ds_read_u8 v49, v48
	ds_read_u8 v50, v47
	v_cmp_le_i32_e64 s[16:17], v17, v48
	v_cmp_gt_i32_e64 s[14:15], v18, v47
	s_waitcnt lgkmcnt(0)
	s_barrier
	v_cmp_lt_u16_sdwa s[20:21], v50, v49 src0_sel:BYTE_0 src1_sel:BYTE_0
	s_or_b64 s[16:17], s[16:17], s[20:21]
	s_and_b64 s[14:15], s[14:15], s[16:17]
	v_cndmask_b32_e64 v47, v48, v47, s[14:15]
	ds_write_b8 v0, v46
	s_waitcnt lgkmcnt(0)
	s_barrier
	ds_read_u8 v47, v47
	v_cndmask_b32_e64 v49, v49, v50, s[14:15]
	v_mov_b32_e32 v48, v43
	s_waitcnt lgkmcnt(0)
	s_barrier
	ds_write_b8 v0, v49
	s_waitcnt lgkmcnt(0)
	s_barrier
	s_and_saveexec_b64 s[16:17], s[12:13]
	s_cbranch_execz .LBB101_1
; %bb.31:                               ;   in Loop: Header=BB101_2 Depth=1
	s_mov_b64 s[20:21], 0
	v_mov_b32_e32 v48, v43
	v_mov_b32_e32 v46, v44
.LBB101_32:                             ;   Parent Loop BB101_2 Depth=1
                                        ; =>  This Inner Loop Header: Depth=2
	v_sub_u32_e32 v49, v46, v48
	v_lshrrev_b32_e32 v49, 1, v49
	v_add_u32_e32 v49, v49, v48
	v_xad_u32 v50, v49, -1, v45
	ds_read_u8 v51, v49
	ds_read_u8 v50, v50
	v_add_u32_e32 v52, 1, v49
	s_waitcnt lgkmcnt(0)
	v_cmp_lt_u16_e64 s[14:15], v50, v51
	v_cndmask_b32_e64 v46, v46, v49, s[14:15]
	v_cndmask_b32_e64 v48, v52, v48, s[14:15]
	v_cmp_ge_i32_e64 s[14:15], v48, v46
	s_or_b64 s[20:21], s[14:15], s[20:21]
	s_andn2_b64 exec, exec, s[20:21]
	s_cbranch_execnz .LBB101_32
; %bb.33:                               ;   in Loop: Header=BB101_2 Depth=1
	s_or_b64 exec, exec, s[20:21]
	s_branch .LBB101_1
.LBB101_34:
	s_add_u32 s0, s18, s22
	s_addc_u32 s1, s19, 0
	v_mov_b32_e32 v1, s1
	v_add_co_u32_e32 v0, vcc, s0, v0
	s_waitcnt lgkmcnt(0)
	v_add_u16_e32 v2, v46, v47
	v_addc_co_u32_e32 v1, vcc, 0, v1, vcc
	global_store_byte v[0:1], v2, off
	s_endpgm
	.section	.rodata,"a",@progbits
	.p2align	6, 0x0
	.amdhsa_kernel _Z17sort_pairs_kernelIhLj256ELj1EN10test_utils4lessELj10EEvPKT_PS2_T2_
		.amdhsa_group_segment_fixed_size 257
		.amdhsa_private_segment_fixed_size 0
		.amdhsa_kernarg_size 20
		.amdhsa_user_sgpr_count 6
		.amdhsa_user_sgpr_private_segment_buffer 1
		.amdhsa_user_sgpr_dispatch_ptr 0
		.amdhsa_user_sgpr_queue_ptr 0
		.amdhsa_user_sgpr_kernarg_segment_ptr 1
		.amdhsa_user_sgpr_dispatch_id 0
		.amdhsa_user_sgpr_flat_scratch_init 0
		.amdhsa_user_sgpr_private_segment_size 0
		.amdhsa_uses_dynamic_stack 0
		.amdhsa_system_sgpr_private_segment_wavefront_offset 0
		.amdhsa_system_sgpr_workgroup_id_x 1
		.amdhsa_system_sgpr_workgroup_id_y 0
		.amdhsa_system_sgpr_workgroup_id_z 0
		.amdhsa_system_sgpr_workgroup_info 0
		.amdhsa_system_vgpr_workitem_id 0
		.amdhsa_next_free_vgpr 53
		.amdhsa_next_free_sgpr 25
		.amdhsa_reserve_vcc 1
		.amdhsa_reserve_flat_scratch 0
		.amdhsa_float_round_mode_32 0
		.amdhsa_float_round_mode_16_64 0
		.amdhsa_float_denorm_mode_32 3
		.amdhsa_float_denorm_mode_16_64 3
		.amdhsa_dx10_clamp 1
		.amdhsa_ieee_mode 1
		.amdhsa_fp16_overflow 0
		.amdhsa_exception_fp_ieee_invalid_op 0
		.amdhsa_exception_fp_denorm_src 0
		.amdhsa_exception_fp_ieee_div_zero 0
		.amdhsa_exception_fp_ieee_overflow 0
		.amdhsa_exception_fp_ieee_underflow 0
		.amdhsa_exception_fp_ieee_inexact 0
		.amdhsa_exception_int_div_zero 0
	.end_amdhsa_kernel
	.section	.text._Z17sort_pairs_kernelIhLj256ELj1EN10test_utils4lessELj10EEvPKT_PS2_T2_,"axG",@progbits,_Z17sort_pairs_kernelIhLj256ELj1EN10test_utils4lessELj10EEvPKT_PS2_T2_,comdat
.Lfunc_end101:
	.size	_Z17sort_pairs_kernelIhLj256ELj1EN10test_utils4lessELj10EEvPKT_PS2_T2_, .Lfunc_end101-_Z17sort_pairs_kernelIhLj256ELj1EN10test_utils4lessELj10EEvPKT_PS2_T2_
                                        ; -- End function
	.set _Z17sort_pairs_kernelIhLj256ELj1EN10test_utils4lessELj10EEvPKT_PS2_T2_.num_vgpr, 53
	.set _Z17sort_pairs_kernelIhLj256ELj1EN10test_utils4lessELj10EEvPKT_PS2_T2_.num_agpr, 0
	.set _Z17sort_pairs_kernelIhLj256ELj1EN10test_utils4lessELj10EEvPKT_PS2_T2_.numbered_sgpr, 25
	.set _Z17sort_pairs_kernelIhLj256ELj1EN10test_utils4lessELj10EEvPKT_PS2_T2_.num_named_barrier, 0
	.set _Z17sort_pairs_kernelIhLj256ELj1EN10test_utils4lessELj10EEvPKT_PS2_T2_.private_seg_size, 0
	.set _Z17sort_pairs_kernelIhLj256ELj1EN10test_utils4lessELj10EEvPKT_PS2_T2_.uses_vcc, 1
	.set _Z17sort_pairs_kernelIhLj256ELj1EN10test_utils4lessELj10EEvPKT_PS2_T2_.uses_flat_scratch, 0
	.set _Z17sort_pairs_kernelIhLj256ELj1EN10test_utils4lessELj10EEvPKT_PS2_T2_.has_dyn_sized_stack, 0
	.set _Z17sort_pairs_kernelIhLj256ELj1EN10test_utils4lessELj10EEvPKT_PS2_T2_.has_recursion, 0
	.set _Z17sort_pairs_kernelIhLj256ELj1EN10test_utils4lessELj10EEvPKT_PS2_T2_.has_indirect_call, 0
	.section	.AMDGPU.csdata,"",@progbits
; Kernel info:
; codeLenInByte = 2592
; TotalNumSgprs: 29
; NumVgprs: 53
; ScratchSize: 0
; MemoryBound: 0
; FloatMode: 240
; IeeeMode: 1
; LDSByteSize: 257 bytes/workgroup (compile time only)
; SGPRBlocks: 3
; VGPRBlocks: 13
; NumSGPRsForWavesPerEU: 29
; NumVGPRsForWavesPerEU: 53
; Occupancy: 4
; WaveLimiterHint : 0
; COMPUTE_PGM_RSRC2:SCRATCH_EN: 0
; COMPUTE_PGM_RSRC2:USER_SGPR: 6
; COMPUTE_PGM_RSRC2:TRAP_HANDLER: 0
; COMPUTE_PGM_RSRC2:TGID_X_EN: 1
; COMPUTE_PGM_RSRC2:TGID_Y_EN: 0
; COMPUTE_PGM_RSRC2:TGID_Z_EN: 0
; COMPUTE_PGM_RSRC2:TIDIG_COMP_CNT: 0
	.section	.text._Z16sort_keys_kernelIhLj256ELj2EN10test_utils4lessELj10EEvPKT_PS2_T2_,"axG",@progbits,_Z16sort_keys_kernelIhLj256ELj2EN10test_utils4lessELj10EEvPKT_PS2_T2_,comdat
	.protected	_Z16sort_keys_kernelIhLj256ELj2EN10test_utils4lessELj10EEvPKT_PS2_T2_ ; -- Begin function _Z16sort_keys_kernelIhLj256ELj2EN10test_utils4lessELj10EEvPKT_PS2_T2_
	.globl	_Z16sort_keys_kernelIhLj256ELj2EN10test_utils4lessELj10EEvPKT_PS2_T2_
	.p2align	8
	.type	_Z16sort_keys_kernelIhLj256ELj2EN10test_utils4lessELj10EEvPKT_PS2_T2_,@function
_Z16sort_keys_kernelIhLj256ELj2EN10test_utils4lessELj10EEvPKT_PS2_T2_: ; @_Z16sort_keys_kernelIhLj256ELj2EN10test_utils4lessELj10EEvPKT_PS2_T2_
; %bb.0:
	s_load_dwordx4 s[16:19], s[4:5], 0x0
	s_lshl_b32 s22, s6, 9
	v_lshlrev_b32_e32 v1, 1, v0
	v_and_b32_e32 v2, 0x1fc, v1
	v_and_b32_e32 v5, 0x1f8, v1
	s_waitcnt lgkmcnt(0)
	s_add_u32 s0, s16, s22
	s_addc_u32 s1, s17, 0
	global_load_ubyte v49, v0, s[0:1] offset:256
	global_load_ubyte v48, v0, s[0:1]
	v_and_b32_e32 v8, 0x1f0, v1
	v_and_b32_e32 v11, 0x1e0, v1
	;; [unrolled: 1-line block ×5, first 2 shown]
	v_or_b32_e32 v3, 2, v2
	v_add_u32_e32 v4, 4, v2
	v_or_b32_e32 v6, 4, v5
	v_add_u32_e32 v7, 8, v5
	v_or_b32_e32 v9, 8, v8
	v_add_u32_e32 v10, 16, v8
	v_or_b32_e32 v12, 16, v11
	v_add_u32_e32 v13, 32, v11
	v_or_b32_e32 v15, 32, v14
	v_add_u32_e32 v16, 64, v14
	v_or_b32_e32 v18, 64, v17
	v_add_u32_e32 v19, 0x80, v17
	v_or_b32_e32 v21, 0x80, v20
	v_add_u32_e32 v22, 0x100, v20
	v_and_b32_e32 v25, 2, v1
	v_sub_u32_e32 v23, v4, v3
	v_and_b32_e32 v28, 6, v1
	v_sub_u32_e32 v26, v7, v6
	v_and_b32_e32 v31, 14, v1
	v_sub_u32_e32 v29, v10, v9
	v_and_b32_e32 v34, 30, v1
	v_sub_u32_e32 v32, v13, v12
	v_and_b32_e32 v37, 62, v1
	v_sub_u32_e32 v35, v16, v15
	v_and_b32_e32 v40, 0x7e, v1
	v_sub_u32_e32 v38, v19, v18
	v_and_b32_e32 v43, 0xfe, v1
	v_sub_u32_e32 v41, v22, v21
	v_sub_u32_e32 v24, v25, v23
	v_sub_u32_e32 v27, v28, v26
	;; [unrolled: 1-line block ×7, first 2 shown]
	v_cmp_ge_i32_e32 vcc, v25, v23
	v_cmp_ge_i32_e64 s[0:1], v28, v26
	v_cmp_ge_i32_e64 s[2:3], v31, v29
	;; [unrolled: 1-line block ×6, first 2 shown]
	v_cndmask_b32_e32 v23, 0, v24, vcc
	v_sub_u32_e32 v24, v3, v2
	v_cndmask_b32_e64 v26, 0, v27, s[0:1]
	v_sub_u32_e32 v27, v6, v5
	v_cndmask_b32_e64 v29, 0, v30, s[2:3]
	;; [unrolled: 2-line block ×6, first 2 shown]
	v_sub_u32_e32 v42, v21, v20
	v_mov_b32_e32 v44, 0x100
	v_min_i32_e32 v24, v25, v24
	v_min_i32_e32 v27, v28, v27
	;; [unrolled: 1-line block ×7, first 2 shown]
	v_sub_u32_e64 v45, v1, v44 clamp
	v_min_i32_e32 v46, 0x100, v1
	s_mov_b32 s23, 0
	v_cmp_lt_i32_e32 vcc, v23, v24
	v_add_u32_e32 v25, v3, v25
	v_cmp_lt_i32_e64 s[0:1], v26, v27
	v_add_u32_e32 v28, v6, v28
	v_cmp_lt_i32_e64 s[2:3], v29, v30
	;; [unrolled: 2-line block ×7, first 2 shown]
	s_mov_b32 s24, 0xc0c0004
	s_movk_i32 s25, 0x200
	v_add_u32_e32 v47, 0x100, v1
	s_branch .LBB102_2
.LBB102_1:                              ;   in Loop: Header=BB102_2 Depth=1
	s_or_b64 exec, exec, s[16:17]
	v_cmp_ge_i32_e64 s[16:17], v53, v44
	s_waitcnt lgkmcnt(0)
	v_cmp_lt_u16_sdwa s[20:21], v54, v52 src0_sel:BYTE_0 src1_sel:BYTE_0
	v_cndmask_b32_e64 v48, v49, v51, s[14:15]
	v_cmp_gt_i32_e64 s[14:15], s25, v50
	s_or_b64 s[16:17], s[16:17], s[20:21]
	s_and_b64 s[14:15], s[14:15], s[16:17]
	s_add_i32 s23, s23, 1
	s_cmp_eq_u32 s23, 10
	v_cndmask_b32_e64 v49, v52, v54, s[14:15]
	s_cbranch_scc1 .LBB102_66
.LBB102_2:                              ; =>This Loop Header: Depth=1
                                        ;     Child Loop BB102_4 Depth 2
                                        ;     Child Loop BB102_12 Depth 2
	;; [unrolled: 1-line block ×8, first 2 shown]
	s_waitcnt vmcnt(0)
	v_perm_b32 v50, v49, v48, s24
	v_perm_b32 v51, v48, v49, s24
	v_cmp_lt_u16_sdwa s[14:15], v49, v48 src0_sel:BYTE_0 src1_sel:BYTE_0
	v_cndmask_b32_e64 v48, v51, v50, s[14:15]
	s_barrier
	ds_write_b8 v1, v48
	v_lshrrev_b16_e32 v48, 8, v48
	v_mov_b32_e32 v49, v23
	ds_write_b8 v1, v48 offset:1
	s_waitcnt lgkmcnt(0)
	s_barrier
	s_and_saveexec_b64 s[16:17], vcc
	s_cbranch_execz .LBB102_6
; %bb.3:                                ;   in Loop: Header=BB102_2 Depth=1
	s_mov_b64 s[20:21], 0
	v_mov_b32_e32 v49, v23
	v_mov_b32_e32 v48, v24
.LBB102_4:                              ;   Parent Loop BB102_2 Depth=1
                                        ; =>  This Inner Loop Header: Depth=2
	v_sub_u32_e32 v50, v48, v49
	v_lshrrev_b32_e32 v50, 1, v50
	v_add_u32_e32 v50, v50, v49
	v_add_u32_e32 v51, v2, v50
	v_xad_u32 v52, v50, -1, v25
	ds_read_u8 v51, v51
	ds_read_u8 v52, v52
	v_add_u32_e32 v53, 1, v50
	s_waitcnt lgkmcnt(0)
	v_cmp_lt_u16_e64 s[14:15], v52, v51
	v_cndmask_b32_e64 v48, v48, v50, s[14:15]
	v_cndmask_b32_e64 v49, v53, v49, s[14:15]
	v_cmp_ge_i32_e64 s[14:15], v49, v48
	s_or_b64 s[20:21], s[14:15], s[20:21]
	s_andn2_b64 exec, exec, s[20:21]
	s_cbranch_execnz .LBB102_4
; %bb.5:                                ;   in Loop: Header=BB102_2 Depth=1
	s_or_b64 exec, exec, s[20:21]
.LBB102_6:                              ;   in Loop: Header=BB102_2 Depth=1
	s_or_b64 exec, exec, s[16:17]
	v_add_u32_e32 v48, v49, v2
	v_sub_u32_e32 v49, v25, v49
	ds_read_u8 v50, v48
	ds_read_u8 v51, v49
	v_cmp_le_i32_e64 s[16:17], v3, v48
	v_cmp_gt_i32_e64 s[14:15], v4, v49
                                        ; implicit-def: $vgpr52
	s_waitcnt lgkmcnt(0)
	v_cmp_lt_u16_sdwa s[20:21], v51, v50 src0_sel:BYTE_0 src1_sel:BYTE_0
	s_or_b64 s[16:17], s[16:17], s[20:21]
	s_and_b64 s[14:15], s[14:15], s[16:17]
	s_xor_b64 s[16:17], s[14:15], -1
	s_and_saveexec_b64 s[20:21], s[16:17]
	s_xor_b64 s[16:17], exec, s[20:21]
; %bb.7:                                ;   in Loop: Header=BB102_2 Depth=1
	ds_read_u8 v52, v48 offset:1
; %bb.8:                                ;   in Loop: Header=BB102_2 Depth=1
	s_or_saveexec_b64 s[16:17], s[16:17]
	v_mov_b32_e32 v53, v51
	s_xor_b64 exec, exec, s[16:17]
	s_cbranch_execz .LBB102_10
; %bb.9:                                ;   in Loop: Header=BB102_2 Depth=1
	ds_read_u8 v53, v49 offset:1
	s_waitcnt lgkmcnt(1)
	v_mov_b32_e32 v52, v50
.LBB102_10:                             ;   in Loop: Header=BB102_2 Depth=1
	s_or_b64 exec, exec, s[16:17]
	v_add_u32_e32 v54, 1, v48
	v_cndmask_b32_e64 v50, v50, v51, s[14:15]
	v_add_u32_e32 v51, 1, v49
	v_cndmask_b32_e64 v48, v54, v48, s[14:15]
	v_cndmask_b32_e64 v49, v49, v51, s[14:15]
	v_cmp_ge_i32_e64 s[16:17], v48, v3
	s_waitcnt lgkmcnt(0)
	v_cmp_lt_u16_sdwa s[20:21], v53, v52 src0_sel:BYTE_0 src1_sel:BYTE_0
	v_cmp_lt_i32_e64 s[14:15], v49, v4
	s_or_b64 s[16:17], s[16:17], s[20:21]
	s_and_b64 s[14:15], s[14:15], s[16:17]
	v_mov_b32_e32 v49, v26
	v_cndmask_b32_e64 v48, v52, v53, s[14:15]
	s_barrier
	ds_write_b8 v1, v50
	ds_write_b8 v1, v48 offset:1
	s_waitcnt lgkmcnt(0)
	s_barrier
	s_and_saveexec_b64 s[16:17], s[0:1]
	s_cbranch_execz .LBB102_14
; %bb.11:                               ;   in Loop: Header=BB102_2 Depth=1
	s_mov_b64 s[20:21], 0
	v_mov_b32_e32 v49, v26
	v_mov_b32_e32 v48, v27
.LBB102_12:                             ;   Parent Loop BB102_2 Depth=1
                                        ; =>  This Inner Loop Header: Depth=2
	v_sub_u32_e32 v50, v48, v49
	v_lshrrev_b32_e32 v50, 1, v50
	v_add_u32_e32 v50, v50, v49
	v_add_u32_e32 v51, v5, v50
	v_xad_u32 v52, v50, -1, v28
	ds_read_u8 v51, v51
	ds_read_u8 v52, v52
	v_add_u32_e32 v53, 1, v50
	s_waitcnt lgkmcnt(0)
	v_cmp_lt_u16_e64 s[14:15], v52, v51
	v_cndmask_b32_e64 v48, v48, v50, s[14:15]
	v_cndmask_b32_e64 v49, v53, v49, s[14:15]
	v_cmp_ge_i32_e64 s[14:15], v49, v48
	s_or_b64 s[20:21], s[14:15], s[20:21]
	s_andn2_b64 exec, exec, s[20:21]
	s_cbranch_execnz .LBB102_12
; %bb.13:                               ;   in Loop: Header=BB102_2 Depth=1
	s_or_b64 exec, exec, s[20:21]
.LBB102_14:                             ;   in Loop: Header=BB102_2 Depth=1
	s_or_b64 exec, exec, s[16:17]
	v_add_u32_e32 v48, v49, v5
	v_sub_u32_e32 v49, v28, v49
	ds_read_u8 v50, v48
	ds_read_u8 v51, v49
	v_cmp_le_i32_e64 s[16:17], v6, v48
	v_cmp_gt_i32_e64 s[14:15], v7, v49
                                        ; implicit-def: $vgpr52
	s_waitcnt lgkmcnt(0)
	v_cmp_lt_u16_sdwa s[20:21], v51, v50 src0_sel:BYTE_0 src1_sel:BYTE_0
	s_or_b64 s[16:17], s[16:17], s[20:21]
	s_and_b64 s[14:15], s[14:15], s[16:17]
	s_xor_b64 s[16:17], s[14:15], -1
	s_and_saveexec_b64 s[20:21], s[16:17]
	s_xor_b64 s[16:17], exec, s[20:21]
; %bb.15:                               ;   in Loop: Header=BB102_2 Depth=1
	ds_read_u8 v52, v48 offset:1
; %bb.16:                               ;   in Loop: Header=BB102_2 Depth=1
	s_or_saveexec_b64 s[16:17], s[16:17]
	v_mov_b32_e32 v53, v51
	s_xor_b64 exec, exec, s[16:17]
	s_cbranch_execz .LBB102_18
; %bb.17:                               ;   in Loop: Header=BB102_2 Depth=1
	ds_read_u8 v53, v49 offset:1
	s_waitcnt lgkmcnt(1)
	v_mov_b32_e32 v52, v50
.LBB102_18:                             ;   in Loop: Header=BB102_2 Depth=1
	s_or_b64 exec, exec, s[16:17]
	v_add_u32_e32 v54, 1, v48
	v_cndmask_b32_e64 v50, v50, v51, s[14:15]
	v_add_u32_e32 v51, 1, v49
	v_cndmask_b32_e64 v48, v54, v48, s[14:15]
	v_cndmask_b32_e64 v49, v49, v51, s[14:15]
	v_cmp_ge_i32_e64 s[16:17], v48, v6
	s_waitcnt lgkmcnt(0)
	v_cmp_lt_u16_sdwa s[20:21], v53, v52 src0_sel:BYTE_0 src1_sel:BYTE_0
	v_cmp_lt_i32_e64 s[14:15], v49, v7
	s_or_b64 s[16:17], s[16:17], s[20:21]
	s_and_b64 s[14:15], s[14:15], s[16:17]
	v_mov_b32_e32 v49, v29
	v_cndmask_b32_e64 v48, v52, v53, s[14:15]
	s_barrier
	ds_write_b8 v1, v50
	ds_write_b8 v1, v48 offset:1
	s_waitcnt lgkmcnt(0)
	s_barrier
	s_and_saveexec_b64 s[16:17], s[2:3]
	s_cbranch_execz .LBB102_22
; %bb.19:                               ;   in Loop: Header=BB102_2 Depth=1
	s_mov_b64 s[20:21], 0
	v_mov_b32_e32 v49, v29
	v_mov_b32_e32 v48, v30
.LBB102_20:                             ;   Parent Loop BB102_2 Depth=1
                                        ; =>  This Inner Loop Header: Depth=2
	v_sub_u32_e32 v50, v48, v49
	v_lshrrev_b32_e32 v50, 1, v50
	v_add_u32_e32 v50, v50, v49
	v_add_u32_e32 v51, v8, v50
	v_xad_u32 v52, v50, -1, v31
	ds_read_u8 v51, v51
	ds_read_u8 v52, v52
	v_add_u32_e32 v53, 1, v50
	s_waitcnt lgkmcnt(0)
	v_cmp_lt_u16_e64 s[14:15], v52, v51
	v_cndmask_b32_e64 v48, v48, v50, s[14:15]
	v_cndmask_b32_e64 v49, v53, v49, s[14:15]
	v_cmp_ge_i32_e64 s[14:15], v49, v48
	s_or_b64 s[20:21], s[14:15], s[20:21]
	s_andn2_b64 exec, exec, s[20:21]
	s_cbranch_execnz .LBB102_20
; %bb.21:                               ;   in Loop: Header=BB102_2 Depth=1
	s_or_b64 exec, exec, s[20:21]
.LBB102_22:                             ;   in Loop: Header=BB102_2 Depth=1
	s_or_b64 exec, exec, s[16:17]
	v_add_u32_e32 v48, v49, v8
	v_sub_u32_e32 v49, v31, v49
	ds_read_u8 v50, v48
	ds_read_u8 v51, v49
	v_cmp_le_i32_e64 s[16:17], v9, v48
	v_cmp_gt_i32_e64 s[14:15], v10, v49
                                        ; implicit-def: $vgpr52
	s_waitcnt lgkmcnt(0)
	v_cmp_lt_u16_sdwa s[20:21], v51, v50 src0_sel:BYTE_0 src1_sel:BYTE_0
	s_or_b64 s[16:17], s[16:17], s[20:21]
	s_and_b64 s[14:15], s[14:15], s[16:17]
	s_xor_b64 s[16:17], s[14:15], -1
	s_and_saveexec_b64 s[20:21], s[16:17]
	s_xor_b64 s[16:17], exec, s[20:21]
; %bb.23:                               ;   in Loop: Header=BB102_2 Depth=1
	ds_read_u8 v52, v48 offset:1
; %bb.24:                               ;   in Loop: Header=BB102_2 Depth=1
	s_or_saveexec_b64 s[16:17], s[16:17]
	v_mov_b32_e32 v53, v51
	s_xor_b64 exec, exec, s[16:17]
	s_cbranch_execz .LBB102_26
; %bb.25:                               ;   in Loop: Header=BB102_2 Depth=1
	ds_read_u8 v53, v49 offset:1
	s_waitcnt lgkmcnt(1)
	v_mov_b32_e32 v52, v50
.LBB102_26:                             ;   in Loop: Header=BB102_2 Depth=1
	s_or_b64 exec, exec, s[16:17]
	v_add_u32_e32 v54, 1, v48
	v_cndmask_b32_e64 v50, v50, v51, s[14:15]
	v_add_u32_e32 v51, 1, v49
	v_cndmask_b32_e64 v48, v54, v48, s[14:15]
	v_cndmask_b32_e64 v49, v49, v51, s[14:15]
	v_cmp_ge_i32_e64 s[16:17], v48, v9
	s_waitcnt lgkmcnt(0)
	v_cmp_lt_u16_sdwa s[20:21], v53, v52 src0_sel:BYTE_0 src1_sel:BYTE_0
	v_cmp_lt_i32_e64 s[14:15], v49, v10
	s_or_b64 s[16:17], s[16:17], s[20:21]
	s_and_b64 s[14:15], s[14:15], s[16:17]
	v_mov_b32_e32 v49, v32
	v_cndmask_b32_e64 v48, v52, v53, s[14:15]
	s_barrier
	ds_write_b8 v1, v50
	ds_write_b8 v1, v48 offset:1
	s_waitcnt lgkmcnt(0)
	s_barrier
	s_and_saveexec_b64 s[16:17], s[4:5]
	s_cbranch_execz .LBB102_30
; %bb.27:                               ;   in Loop: Header=BB102_2 Depth=1
	s_mov_b64 s[20:21], 0
	v_mov_b32_e32 v49, v32
	v_mov_b32_e32 v48, v33
.LBB102_28:                             ;   Parent Loop BB102_2 Depth=1
                                        ; =>  This Inner Loop Header: Depth=2
	v_sub_u32_e32 v50, v48, v49
	v_lshrrev_b32_e32 v50, 1, v50
	v_add_u32_e32 v50, v50, v49
	v_add_u32_e32 v51, v11, v50
	v_xad_u32 v52, v50, -1, v34
	ds_read_u8 v51, v51
	ds_read_u8 v52, v52
	v_add_u32_e32 v53, 1, v50
	s_waitcnt lgkmcnt(0)
	v_cmp_lt_u16_e64 s[14:15], v52, v51
	v_cndmask_b32_e64 v48, v48, v50, s[14:15]
	v_cndmask_b32_e64 v49, v53, v49, s[14:15]
	v_cmp_ge_i32_e64 s[14:15], v49, v48
	s_or_b64 s[20:21], s[14:15], s[20:21]
	s_andn2_b64 exec, exec, s[20:21]
	s_cbranch_execnz .LBB102_28
; %bb.29:                               ;   in Loop: Header=BB102_2 Depth=1
	s_or_b64 exec, exec, s[20:21]
.LBB102_30:                             ;   in Loop: Header=BB102_2 Depth=1
	s_or_b64 exec, exec, s[16:17]
	v_add_u32_e32 v48, v49, v11
	v_sub_u32_e32 v49, v34, v49
	ds_read_u8 v50, v48
	ds_read_u8 v51, v49
	v_cmp_le_i32_e64 s[16:17], v12, v48
	v_cmp_gt_i32_e64 s[14:15], v13, v49
                                        ; implicit-def: $vgpr52
	s_waitcnt lgkmcnt(0)
	v_cmp_lt_u16_sdwa s[20:21], v51, v50 src0_sel:BYTE_0 src1_sel:BYTE_0
	s_or_b64 s[16:17], s[16:17], s[20:21]
	s_and_b64 s[14:15], s[14:15], s[16:17]
	s_xor_b64 s[16:17], s[14:15], -1
	s_and_saveexec_b64 s[20:21], s[16:17]
	s_xor_b64 s[16:17], exec, s[20:21]
; %bb.31:                               ;   in Loop: Header=BB102_2 Depth=1
	ds_read_u8 v52, v48 offset:1
; %bb.32:                               ;   in Loop: Header=BB102_2 Depth=1
	s_or_saveexec_b64 s[16:17], s[16:17]
	v_mov_b32_e32 v53, v51
	s_xor_b64 exec, exec, s[16:17]
	s_cbranch_execz .LBB102_34
; %bb.33:                               ;   in Loop: Header=BB102_2 Depth=1
	ds_read_u8 v53, v49 offset:1
	s_waitcnt lgkmcnt(1)
	v_mov_b32_e32 v52, v50
.LBB102_34:                             ;   in Loop: Header=BB102_2 Depth=1
	s_or_b64 exec, exec, s[16:17]
	v_add_u32_e32 v54, 1, v48
	v_cndmask_b32_e64 v50, v50, v51, s[14:15]
	v_add_u32_e32 v51, 1, v49
	v_cndmask_b32_e64 v48, v54, v48, s[14:15]
	v_cndmask_b32_e64 v49, v49, v51, s[14:15]
	v_cmp_ge_i32_e64 s[16:17], v48, v12
	s_waitcnt lgkmcnt(0)
	v_cmp_lt_u16_sdwa s[20:21], v53, v52 src0_sel:BYTE_0 src1_sel:BYTE_0
	v_cmp_lt_i32_e64 s[14:15], v49, v13
	s_or_b64 s[16:17], s[16:17], s[20:21]
	s_and_b64 s[14:15], s[14:15], s[16:17]
	v_mov_b32_e32 v49, v35
	v_cndmask_b32_e64 v48, v52, v53, s[14:15]
	s_barrier
	ds_write_b8 v1, v50
	ds_write_b8 v1, v48 offset:1
	s_waitcnt lgkmcnt(0)
	s_barrier
	s_and_saveexec_b64 s[16:17], s[6:7]
	s_cbranch_execz .LBB102_38
; %bb.35:                               ;   in Loop: Header=BB102_2 Depth=1
	s_mov_b64 s[20:21], 0
	v_mov_b32_e32 v49, v35
	v_mov_b32_e32 v48, v36
.LBB102_36:                             ;   Parent Loop BB102_2 Depth=1
                                        ; =>  This Inner Loop Header: Depth=2
	v_sub_u32_e32 v50, v48, v49
	v_lshrrev_b32_e32 v50, 1, v50
	v_add_u32_e32 v50, v50, v49
	v_add_u32_e32 v51, v14, v50
	v_xad_u32 v52, v50, -1, v37
	ds_read_u8 v51, v51
	ds_read_u8 v52, v52
	v_add_u32_e32 v53, 1, v50
	s_waitcnt lgkmcnt(0)
	v_cmp_lt_u16_e64 s[14:15], v52, v51
	v_cndmask_b32_e64 v48, v48, v50, s[14:15]
	v_cndmask_b32_e64 v49, v53, v49, s[14:15]
	v_cmp_ge_i32_e64 s[14:15], v49, v48
	s_or_b64 s[20:21], s[14:15], s[20:21]
	s_andn2_b64 exec, exec, s[20:21]
	s_cbranch_execnz .LBB102_36
; %bb.37:                               ;   in Loop: Header=BB102_2 Depth=1
	s_or_b64 exec, exec, s[20:21]
.LBB102_38:                             ;   in Loop: Header=BB102_2 Depth=1
	s_or_b64 exec, exec, s[16:17]
	v_add_u32_e32 v48, v49, v14
	v_sub_u32_e32 v49, v37, v49
	ds_read_u8 v50, v48
	ds_read_u8 v51, v49
	v_cmp_le_i32_e64 s[16:17], v15, v48
	v_cmp_gt_i32_e64 s[14:15], v16, v49
                                        ; implicit-def: $vgpr52
	s_waitcnt lgkmcnt(0)
	v_cmp_lt_u16_sdwa s[20:21], v51, v50 src0_sel:BYTE_0 src1_sel:BYTE_0
	s_or_b64 s[16:17], s[16:17], s[20:21]
	s_and_b64 s[14:15], s[14:15], s[16:17]
	s_xor_b64 s[16:17], s[14:15], -1
	s_and_saveexec_b64 s[20:21], s[16:17]
	s_xor_b64 s[16:17], exec, s[20:21]
; %bb.39:                               ;   in Loop: Header=BB102_2 Depth=1
	ds_read_u8 v52, v48 offset:1
; %bb.40:                               ;   in Loop: Header=BB102_2 Depth=1
	s_or_saveexec_b64 s[16:17], s[16:17]
	v_mov_b32_e32 v53, v51
	s_xor_b64 exec, exec, s[16:17]
	s_cbranch_execz .LBB102_42
; %bb.41:                               ;   in Loop: Header=BB102_2 Depth=1
	ds_read_u8 v53, v49 offset:1
	s_waitcnt lgkmcnt(1)
	v_mov_b32_e32 v52, v50
.LBB102_42:                             ;   in Loop: Header=BB102_2 Depth=1
	s_or_b64 exec, exec, s[16:17]
	v_add_u32_e32 v54, 1, v48
	v_cndmask_b32_e64 v50, v50, v51, s[14:15]
	v_add_u32_e32 v51, 1, v49
	v_cndmask_b32_e64 v48, v54, v48, s[14:15]
	v_cndmask_b32_e64 v49, v49, v51, s[14:15]
	v_cmp_ge_i32_e64 s[16:17], v48, v15
	s_waitcnt lgkmcnt(0)
	v_cmp_lt_u16_sdwa s[20:21], v53, v52 src0_sel:BYTE_0 src1_sel:BYTE_0
	v_cmp_lt_i32_e64 s[14:15], v49, v16
	s_or_b64 s[16:17], s[16:17], s[20:21]
	s_and_b64 s[14:15], s[14:15], s[16:17]
	v_mov_b32_e32 v49, v38
	v_cndmask_b32_e64 v48, v52, v53, s[14:15]
	s_barrier
	ds_write_b8 v1, v50
	ds_write_b8 v1, v48 offset:1
	s_waitcnt lgkmcnt(0)
	s_barrier
	s_and_saveexec_b64 s[16:17], s[8:9]
	s_cbranch_execz .LBB102_46
; %bb.43:                               ;   in Loop: Header=BB102_2 Depth=1
	s_mov_b64 s[20:21], 0
	v_mov_b32_e32 v49, v38
	v_mov_b32_e32 v48, v39
.LBB102_44:                             ;   Parent Loop BB102_2 Depth=1
                                        ; =>  This Inner Loop Header: Depth=2
	v_sub_u32_e32 v50, v48, v49
	v_lshrrev_b32_e32 v50, 1, v50
	v_add_u32_e32 v50, v50, v49
	v_add_u32_e32 v51, v17, v50
	v_xad_u32 v52, v50, -1, v40
	ds_read_u8 v51, v51
	ds_read_u8 v52, v52
	v_add_u32_e32 v53, 1, v50
	s_waitcnt lgkmcnt(0)
	v_cmp_lt_u16_e64 s[14:15], v52, v51
	v_cndmask_b32_e64 v48, v48, v50, s[14:15]
	v_cndmask_b32_e64 v49, v53, v49, s[14:15]
	v_cmp_ge_i32_e64 s[14:15], v49, v48
	s_or_b64 s[20:21], s[14:15], s[20:21]
	s_andn2_b64 exec, exec, s[20:21]
	s_cbranch_execnz .LBB102_44
; %bb.45:                               ;   in Loop: Header=BB102_2 Depth=1
	s_or_b64 exec, exec, s[20:21]
.LBB102_46:                             ;   in Loop: Header=BB102_2 Depth=1
	s_or_b64 exec, exec, s[16:17]
	v_add_u32_e32 v48, v49, v17
	v_sub_u32_e32 v49, v40, v49
	ds_read_u8 v50, v48
	ds_read_u8 v51, v49
	v_cmp_le_i32_e64 s[16:17], v18, v48
	v_cmp_gt_i32_e64 s[14:15], v19, v49
                                        ; implicit-def: $vgpr52
	s_waitcnt lgkmcnt(0)
	v_cmp_lt_u16_sdwa s[20:21], v51, v50 src0_sel:BYTE_0 src1_sel:BYTE_0
	s_or_b64 s[16:17], s[16:17], s[20:21]
	s_and_b64 s[14:15], s[14:15], s[16:17]
	s_xor_b64 s[16:17], s[14:15], -1
	s_and_saveexec_b64 s[20:21], s[16:17]
	s_xor_b64 s[16:17], exec, s[20:21]
; %bb.47:                               ;   in Loop: Header=BB102_2 Depth=1
	ds_read_u8 v52, v48 offset:1
; %bb.48:                               ;   in Loop: Header=BB102_2 Depth=1
	s_or_saveexec_b64 s[16:17], s[16:17]
	v_mov_b32_e32 v53, v51
	s_xor_b64 exec, exec, s[16:17]
	s_cbranch_execz .LBB102_50
; %bb.49:                               ;   in Loop: Header=BB102_2 Depth=1
	ds_read_u8 v53, v49 offset:1
	s_waitcnt lgkmcnt(1)
	v_mov_b32_e32 v52, v50
.LBB102_50:                             ;   in Loop: Header=BB102_2 Depth=1
	s_or_b64 exec, exec, s[16:17]
	v_add_u32_e32 v54, 1, v48
	v_cndmask_b32_e64 v50, v50, v51, s[14:15]
	v_add_u32_e32 v51, 1, v49
	v_cndmask_b32_e64 v48, v54, v48, s[14:15]
	v_cndmask_b32_e64 v49, v49, v51, s[14:15]
	v_cmp_ge_i32_e64 s[16:17], v48, v18
	s_waitcnt lgkmcnt(0)
	v_cmp_lt_u16_sdwa s[20:21], v53, v52 src0_sel:BYTE_0 src1_sel:BYTE_0
	v_cmp_lt_i32_e64 s[14:15], v49, v19
	s_or_b64 s[16:17], s[16:17], s[20:21]
	s_and_b64 s[14:15], s[14:15], s[16:17]
	v_mov_b32_e32 v49, v41
	v_cndmask_b32_e64 v48, v52, v53, s[14:15]
	s_barrier
	ds_write_b8 v1, v50
	ds_write_b8 v1, v48 offset:1
	s_waitcnt lgkmcnt(0)
	s_barrier
	s_and_saveexec_b64 s[16:17], s[10:11]
	s_cbranch_execz .LBB102_54
; %bb.51:                               ;   in Loop: Header=BB102_2 Depth=1
	s_mov_b64 s[20:21], 0
	v_mov_b32_e32 v49, v41
	v_mov_b32_e32 v48, v42
.LBB102_52:                             ;   Parent Loop BB102_2 Depth=1
                                        ; =>  This Inner Loop Header: Depth=2
	v_sub_u32_e32 v50, v48, v49
	v_lshrrev_b32_e32 v50, 1, v50
	v_add_u32_e32 v50, v50, v49
	v_add_u32_e32 v51, v20, v50
	v_xad_u32 v52, v50, -1, v43
	ds_read_u8 v51, v51
	ds_read_u8 v52, v52
	v_add_u32_e32 v53, 1, v50
	s_waitcnt lgkmcnt(0)
	v_cmp_lt_u16_e64 s[14:15], v52, v51
	v_cndmask_b32_e64 v48, v48, v50, s[14:15]
	v_cndmask_b32_e64 v49, v53, v49, s[14:15]
	v_cmp_ge_i32_e64 s[14:15], v49, v48
	s_or_b64 s[20:21], s[14:15], s[20:21]
	s_andn2_b64 exec, exec, s[20:21]
	s_cbranch_execnz .LBB102_52
; %bb.53:                               ;   in Loop: Header=BB102_2 Depth=1
	s_or_b64 exec, exec, s[20:21]
.LBB102_54:                             ;   in Loop: Header=BB102_2 Depth=1
	s_or_b64 exec, exec, s[16:17]
	v_add_u32_e32 v48, v49, v20
	v_sub_u32_e32 v49, v43, v49
	ds_read_u8 v50, v48
	ds_read_u8 v51, v49
	v_cmp_le_i32_e64 s[16:17], v21, v48
	v_cmp_gt_i32_e64 s[14:15], v22, v49
                                        ; implicit-def: $vgpr52
	s_waitcnt lgkmcnt(0)
	v_cmp_lt_u16_sdwa s[20:21], v51, v50 src0_sel:BYTE_0 src1_sel:BYTE_0
	s_or_b64 s[16:17], s[16:17], s[20:21]
	s_and_b64 s[14:15], s[14:15], s[16:17]
	s_xor_b64 s[16:17], s[14:15], -1
	s_and_saveexec_b64 s[20:21], s[16:17]
	s_xor_b64 s[16:17], exec, s[20:21]
; %bb.55:                               ;   in Loop: Header=BB102_2 Depth=1
	ds_read_u8 v52, v48 offset:1
; %bb.56:                               ;   in Loop: Header=BB102_2 Depth=1
	s_or_saveexec_b64 s[16:17], s[16:17]
	v_mov_b32_e32 v53, v51
	s_xor_b64 exec, exec, s[16:17]
	s_cbranch_execz .LBB102_58
; %bb.57:                               ;   in Loop: Header=BB102_2 Depth=1
	ds_read_u8 v53, v49 offset:1
	s_waitcnt lgkmcnt(1)
	v_mov_b32_e32 v52, v50
.LBB102_58:                             ;   in Loop: Header=BB102_2 Depth=1
	s_or_b64 exec, exec, s[16:17]
	v_add_u32_e32 v54, 1, v48
	v_cndmask_b32_e64 v50, v50, v51, s[14:15]
	v_add_u32_e32 v51, 1, v49
	v_cndmask_b32_e64 v48, v54, v48, s[14:15]
	v_cndmask_b32_e64 v49, v49, v51, s[14:15]
	v_cmp_ge_i32_e64 s[16:17], v48, v21
	s_waitcnt lgkmcnt(0)
	v_cmp_lt_u16_sdwa s[20:21], v53, v52 src0_sel:BYTE_0 src1_sel:BYTE_0
	v_cmp_lt_i32_e64 s[14:15], v49, v22
	s_or_b64 s[16:17], s[16:17], s[20:21]
	s_and_b64 s[14:15], s[14:15], s[16:17]
	v_cndmask_b32_e64 v48, v52, v53, s[14:15]
	s_barrier
	ds_write_b8 v1, v50
	ds_write_b8 v1, v48 offset:1
	v_mov_b32_e32 v48, v45
	s_waitcnt lgkmcnt(0)
	s_barrier
	s_and_saveexec_b64 s[16:17], s[12:13]
	s_cbranch_execz .LBB102_62
; %bb.59:                               ;   in Loop: Header=BB102_2 Depth=1
	s_mov_b64 s[20:21], 0
	v_mov_b32_e32 v48, v45
	v_mov_b32_e32 v49, v46
.LBB102_60:                             ;   Parent Loop BB102_2 Depth=1
                                        ; =>  This Inner Loop Header: Depth=2
	v_sub_u32_e32 v50, v49, v48
	v_lshrrev_b32_e32 v50, 1, v50
	v_add_u32_e32 v50, v50, v48
	v_xad_u32 v51, v50, -1, v47
	ds_read_u8 v52, v50
	ds_read_u8 v51, v51
	v_add_u32_e32 v53, 1, v50
	s_waitcnt lgkmcnt(0)
	v_cmp_lt_u16_e64 s[14:15], v51, v52
	v_cndmask_b32_e64 v49, v49, v50, s[14:15]
	v_cndmask_b32_e64 v48, v53, v48, s[14:15]
	v_cmp_ge_i32_e64 s[14:15], v48, v49
	s_or_b64 s[20:21], s[14:15], s[20:21]
	s_andn2_b64 exec, exec, s[20:21]
	s_cbranch_execnz .LBB102_60
; %bb.61:                               ;   in Loop: Header=BB102_2 Depth=1
	s_or_b64 exec, exec, s[20:21]
.LBB102_62:                             ;   in Loop: Header=BB102_2 Depth=1
	s_or_b64 exec, exec, s[16:17]
	v_sub_u32_e32 v50, v47, v48
	ds_read_u8 v49, v48
	ds_read_u8 v51, v50
	v_cmp_le_i32_e64 s[16:17], v44, v48
	v_cmp_gt_i32_e64 s[14:15], s25, v50
                                        ; implicit-def: $vgpr52
                                        ; implicit-def: $vgpr53
	s_waitcnt lgkmcnt(0)
	v_cmp_lt_u16_sdwa s[20:21], v51, v49 src0_sel:BYTE_0 src1_sel:BYTE_0
	s_or_b64 s[16:17], s[16:17], s[20:21]
	s_and_b64 s[14:15], s[14:15], s[16:17]
	s_xor_b64 s[16:17], s[14:15], -1
	s_and_saveexec_b64 s[20:21], s[16:17]
	s_xor_b64 s[16:17], exec, s[20:21]
; %bb.63:                               ;   in Loop: Header=BB102_2 Depth=1
	ds_read_u8 v52, v48 offset:1
	v_add_u32_e32 v53, 1, v48
                                        ; implicit-def: $vgpr48
; %bb.64:                               ;   in Loop: Header=BB102_2 Depth=1
	s_or_saveexec_b64 s[16:17], s[16:17]
	v_mov_b32_e32 v54, v51
	s_xor_b64 exec, exec, s[16:17]
	s_cbranch_execz .LBB102_1
; %bb.65:                               ;   in Loop: Header=BB102_2 Depth=1
	ds_read_u8 v54, v50 offset:1
	v_add_u32_e32 v50, 1, v50
	v_mov_b32_e32 v53, v48
	s_waitcnt lgkmcnt(1)
	v_mov_b32_e32 v52, v49
	s_branch .LBB102_1
.LBB102_66:
	s_add_u32 s0, s18, s22
	s_addc_u32 s1, s19, 0
	v_mov_b32_e32 v1, s1
	v_add_co_u32_e32 v0, vcc, s0, v0
	v_addc_co_u32_e32 v1, vcc, 0, v1, vcc
	global_store_byte v[0:1], v48, off
	global_store_byte v[0:1], v49, off offset:256
	s_endpgm
	.section	.rodata,"a",@progbits
	.p2align	6, 0x0
	.amdhsa_kernel _Z16sort_keys_kernelIhLj256ELj2EN10test_utils4lessELj10EEvPKT_PS2_T2_
		.amdhsa_group_segment_fixed_size 513
		.amdhsa_private_segment_fixed_size 0
		.amdhsa_kernarg_size 20
		.amdhsa_user_sgpr_count 6
		.amdhsa_user_sgpr_private_segment_buffer 1
		.amdhsa_user_sgpr_dispatch_ptr 0
		.amdhsa_user_sgpr_queue_ptr 0
		.amdhsa_user_sgpr_kernarg_segment_ptr 1
		.amdhsa_user_sgpr_dispatch_id 0
		.amdhsa_user_sgpr_flat_scratch_init 0
		.amdhsa_user_sgpr_private_segment_size 0
		.amdhsa_uses_dynamic_stack 0
		.amdhsa_system_sgpr_private_segment_wavefront_offset 0
		.amdhsa_system_sgpr_workgroup_id_x 1
		.amdhsa_system_sgpr_workgroup_id_y 0
		.amdhsa_system_sgpr_workgroup_id_z 0
		.amdhsa_system_sgpr_workgroup_info 0
		.amdhsa_system_vgpr_workitem_id 0
		.amdhsa_next_free_vgpr 55
		.amdhsa_next_free_sgpr 26
		.amdhsa_reserve_vcc 1
		.amdhsa_reserve_flat_scratch 0
		.amdhsa_float_round_mode_32 0
		.amdhsa_float_round_mode_16_64 0
		.amdhsa_float_denorm_mode_32 3
		.amdhsa_float_denorm_mode_16_64 3
		.amdhsa_dx10_clamp 1
		.amdhsa_ieee_mode 1
		.amdhsa_fp16_overflow 0
		.amdhsa_exception_fp_ieee_invalid_op 0
		.amdhsa_exception_fp_denorm_src 0
		.amdhsa_exception_fp_ieee_div_zero 0
		.amdhsa_exception_fp_ieee_overflow 0
		.amdhsa_exception_fp_ieee_underflow 0
		.amdhsa_exception_fp_ieee_inexact 0
		.amdhsa_exception_int_div_zero 0
	.end_amdhsa_kernel
	.section	.text._Z16sort_keys_kernelIhLj256ELj2EN10test_utils4lessELj10EEvPKT_PS2_T2_,"axG",@progbits,_Z16sort_keys_kernelIhLj256ELj2EN10test_utils4lessELj10EEvPKT_PS2_T2_,comdat
.Lfunc_end102:
	.size	_Z16sort_keys_kernelIhLj256ELj2EN10test_utils4lessELj10EEvPKT_PS2_T2_, .Lfunc_end102-_Z16sort_keys_kernelIhLj256ELj2EN10test_utils4lessELj10EEvPKT_PS2_T2_
                                        ; -- End function
	.set _Z16sort_keys_kernelIhLj256ELj2EN10test_utils4lessELj10EEvPKT_PS2_T2_.num_vgpr, 55
	.set _Z16sort_keys_kernelIhLj256ELj2EN10test_utils4lessELj10EEvPKT_PS2_T2_.num_agpr, 0
	.set _Z16sort_keys_kernelIhLj256ELj2EN10test_utils4lessELj10EEvPKT_PS2_T2_.numbered_sgpr, 26
	.set _Z16sort_keys_kernelIhLj256ELj2EN10test_utils4lessELj10EEvPKT_PS2_T2_.num_named_barrier, 0
	.set _Z16sort_keys_kernelIhLj256ELj2EN10test_utils4lessELj10EEvPKT_PS2_T2_.private_seg_size, 0
	.set _Z16sort_keys_kernelIhLj256ELj2EN10test_utils4lessELj10EEvPKT_PS2_T2_.uses_vcc, 1
	.set _Z16sort_keys_kernelIhLj256ELj2EN10test_utils4lessELj10EEvPKT_PS2_T2_.uses_flat_scratch, 0
	.set _Z16sort_keys_kernelIhLj256ELj2EN10test_utils4lessELj10EEvPKT_PS2_T2_.has_dyn_sized_stack, 0
	.set _Z16sort_keys_kernelIhLj256ELj2EN10test_utils4lessELj10EEvPKT_PS2_T2_.has_recursion, 0
	.set _Z16sort_keys_kernelIhLj256ELj2EN10test_utils4lessELj10EEvPKT_PS2_T2_.has_indirect_call, 0
	.section	.AMDGPU.csdata,"",@progbits
; Kernel info:
; codeLenInByte = 3388
; TotalNumSgprs: 30
; NumVgprs: 55
; ScratchSize: 0
; MemoryBound: 0
; FloatMode: 240
; IeeeMode: 1
; LDSByteSize: 513 bytes/workgroup (compile time only)
; SGPRBlocks: 3
; VGPRBlocks: 13
; NumSGPRsForWavesPerEU: 30
; NumVGPRsForWavesPerEU: 55
; Occupancy: 4
; WaveLimiterHint : 1
; COMPUTE_PGM_RSRC2:SCRATCH_EN: 0
; COMPUTE_PGM_RSRC2:USER_SGPR: 6
; COMPUTE_PGM_RSRC2:TRAP_HANDLER: 0
; COMPUTE_PGM_RSRC2:TGID_X_EN: 1
; COMPUTE_PGM_RSRC2:TGID_Y_EN: 0
; COMPUTE_PGM_RSRC2:TGID_Z_EN: 0
; COMPUTE_PGM_RSRC2:TIDIG_COMP_CNT: 0
	.section	.text._Z17sort_pairs_kernelIhLj256ELj2EN10test_utils4lessELj10EEvPKT_PS2_T2_,"axG",@progbits,_Z17sort_pairs_kernelIhLj256ELj2EN10test_utils4lessELj10EEvPKT_PS2_T2_,comdat
	.protected	_Z17sort_pairs_kernelIhLj256ELj2EN10test_utils4lessELj10EEvPKT_PS2_T2_ ; -- Begin function _Z17sort_pairs_kernelIhLj256ELj2EN10test_utils4lessELj10EEvPKT_PS2_T2_
	.globl	_Z17sort_pairs_kernelIhLj256ELj2EN10test_utils4lessELj10EEvPKT_PS2_T2_
	.p2align	8
	.type	_Z17sort_pairs_kernelIhLj256ELj2EN10test_utils4lessELj10EEvPKT_PS2_T2_,@function
_Z17sort_pairs_kernelIhLj256ELj2EN10test_utils4lessELj10EEvPKT_PS2_T2_: ; @_Z17sort_pairs_kernelIhLj256ELj2EN10test_utils4lessELj10EEvPKT_PS2_T2_
; %bb.0:
	s_load_dwordx4 s[20:23], s[4:5], 0x0
	s_lshl_b32 s24, s6, 9
	v_lshlrev_b32_e32 v1, 1, v0
	v_and_b32_e32 v2, 0x1fc, v1
	v_and_b32_e32 v5, 0x1f8, v1
	s_waitcnt lgkmcnt(0)
	s_add_u32 s0, s20, s24
	s_addc_u32 s1, s21, 0
	global_load_ubyte v51, v0, s[0:1]
	global_load_ubyte v50, v0, s[0:1] offset:256
	v_and_b32_e32 v8, 0x1f0, v1
	v_and_b32_e32 v11, 0x1e0, v1
	;; [unrolled: 1-line block ×5, first 2 shown]
	v_or_b32_e32 v3, 2, v2
	v_add_u32_e32 v4, 4, v2
	v_or_b32_e32 v6, 4, v5
	v_add_u32_e32 v7, 8, v5
	;; [unrolled: 2-line block ×7, first 2 shown]
	v_and_b32_e32 v25, 2, v1
	v_sub_u32_e32 v23, v4, v3
	v_and_b32_e32 v28, 6, v1
	v_sub_u32_e32 v26, v7, v6
	;; [unrolled: 2-line block ×7, first 2 shown]
	v_sub_u32_e32 v24, v25, v23
	v_sub_u32_e32 v27, v28, v26
	;; [unrolled: 1-line block ×7, first 2 shown]
	v_cmp_ge_i32_e32 vcc, v25, v23
	v_cmp_ge_i32_e64 s[0:1], v28, v26
	v_cmp_ge_i32_e64 s[2:3], v31, v29
	v_cmp_ge_i32_e64 s[4:5], v34, v32
	v_cmp_ge_i32_e64 s[6:7], v37, v35
	v_cmp_ge_i32_e64 s[8:9], v40, v38
	v_cmp_ge_i32_e64 s[10:11], v43, v41
	v_cndmask_b32_e32 v23, 0, v24, vcc
	v_sub_u32_e32 v24, v3, v2
	v_cndmask_b32_e64 v26, 0, v27, s[0:1]
	v_sub_u32_e32 v27, v6, v5
	v_cndmask_b32_e64 v29, 0, v30, s[2:3]
	v_sub_u32_e32 v30, v9, v8
	v_cndmask_b32_e64 v32, 0, v33, s[4:5]
	v_sub_u32_e32 v33, v12, v11
	v_cndmask_b32_e64 v35, 0, v36, s[6:7]
	v_sub_u32_e32 v36, v15, v14
	v_cndmask_b32_e64 v38, 0, v39, s[8:9]
	v_sub_u32_e32 v39, v18, v17
	v_cndmask_b32_e64 v41, 0, v42, s[10:11]
	v_sub_u32_e32 v42, v21, v20
	v_mov_b32_e32 v44, 0x100
	v_min_i32_e32 v24, v25, v24
	v_min_i32_e32 v27, v28, v27
	;; [unrolled: 1-line block ×7, first 2 shown]
	v_sub_u32_e64 v45, v1, v44 clamp
	v_min_i32_e32 v46, 0x100, v1
	s_mov_b32 s25, 0
	v_cmp_lt_i32_e32 vcc, v23, v24
	v_add_u32_e32 v25, v3, v25
	v_cmp_lt_i32_e64 s[0:1], v26, v27
	v_add_u32_e32 v28, v6, v28
	v_cmp_lt_i32_e64 s[2:3], v29, v30
	;; [unrolled: 2-line block ×7, first 2 shown]
	s_mov_b32 s26, 0xc0c0004
	s_movk_i32 s27, 0x200
	s_waitcnt vmcnt(1)
	v_add_u16_e32 v48, 1, v51
	s_waitcnt vmcnt(0)
	v_add_u16_e32 v49, 1, v50
	v_add_u32_e32 v47, 0x100, v1
	s_branch .LBB103_2
.LBB103_1:                              ;   in Loop: Header=BB103_2 Depth=1
	s_or_b64 exec, exec, s[16:17]
	v_cmp_ge_i32_e64 s[18:19], v54, v44
	s_waitcnt lgkmcnt(0)
	v_cmp_lt_u16_sdwa s[20:21], v57, v55 src0_sel:BYTE_0 src1_sel:BYTE_0
	v_cmp_gt_i32_e64 s[16:17], s27, v53
	s_or_b64 s[18:19], s[18:19], s[20:21]
	s_and_b64 s[16:17], s[16:17], s[18:19]
	v_cndmask_b32_e64 v53, v54, v53, s[16:17]
	s_barrier
	ds_write_b8 v1, v48
	ds_write_b8 v1, v49 offset:1
	s_waitcnt lgkmcnt(0)
	s_barrier
	ds_read_u8 v48, v56
	ds_read_u8 v49, v53
	s_add_i32 s25, s25, 1
	v_cndmask_b32_e64 v50, v55, v57, s[16:17]
	s_cmp_eq_u32 s25, 10
	v_cndmask_b32_e64 v51, v51, v52, s[14:15]
	s_cbranch_scc1 .LBB103_66
.LBB103_2:                              ; =>This Loop Header: Depth=1
                                        ;     Child Loop BB103_4 Depth 2
                                        ;     Child Loop BB103_12 Depth 2
	;; [unrolled: 1-line block ×8, first 2 shown]
	v_perm_b32 v52, v50, v51, s26
	v_perm_b32 v53, v51, v50, s26
	v_cmp_lt_u16_sdwa s[14:15], v50, v51 src0_sel:BYTE_0 src1_sel:BYTE_0
	v_cndmask_b32_e64 v50, v53, v52, s[14:15]
	s_waitcnt lgkmcnt(0)
	s_barrier
	ds_write_b8 v1, v50
	v_lshrrev_b16_e32 v50, 8, v50
	v_mov_b32_e32 v51, v23
	ds_write_b8 v1, v50 offset:1
	s_waitcnt lgkmcnt(0)
	s_barrier
	s_and_saveexec_b64 s[18:19], vcc
	s_cbranch_execz .LBB103_6
; %bb.3:                                ;   in Loop: Header=BB103_2 Depth=1
	s_mov_b64 s[20:21], 0
	v_mov_b32_e32 v51, v23
	v_mov_b32_e32 v50, v24
.LBB103_4:                              ;   Parent Loop BB103_2 Depth=1
                                        ; =>  This Inner Loop Header: Depth=2
	v_sub_u32_e32 v52, v50, v51
	v_lshrrev_b32_e32 v52, 1, v52
	v_add_u32_e32 v52, v52, v51
	v_add_u32_e32 v53, v2, v52
	v_xad_u32 v54, v52, -1, v25
	ds_read_u8 v53, v53
	ds_read_u8 v54, v54
	v_add_u32_e32 v55, 1, v52
	s_waitcnt lgkmcnt(0)
	v_cmp_lt_u16_e64 s[16:17], v54, v53
	v_cndmask_b32_e64 v50, v50, v52, s[16:17]
	v_cndmask_b32_e64 v51, v55, v51, s[16:17]
	v_cmp_ge_i32_e64 s[16:17], v51, v50
	s_or_b64 s[20:21], s[16:17], s[20:21]
	s_andn2_b64 exec, exec, s[20:21]
	s_cbranch_execnz .LBB103_4
; %bb.5:                                ;   in Loop: Header=BB103_2 Depth=1
	s_or_b64 exec, exec, s[20:21]
.LBB103_6:                              ;   in Loop: Header=BB103_2 Depth=1
	s_or_b64 exec, exec, s[18:19]
	v_add_u32_e32 v50, v51, v2
	v_sub_u32_e32 v51, v25, v51
	ds_read_u8 v53, v50
	ds_read_u8 v54, v51
	v_cmp_le_i32_e64 s[18:19], v3, v50
	v_cmp_gt_i32_e64 s[16:17], v4, v51
                                        ; implicit-def: $vgpr52
	s_waitcnt lgkmcnt(0)
	v_cmp_lt_u16_sdwa s[20:21], v54, v53 src0_sel:BYTE_0 src1_sel:BYTE_0
	s_or_b64 s[18:19], s[18:19], s[20:21]
	s_and_b64 s[16:17], s[16:17], s[18:19]
	s_xor_b64 s[18:19], s[16:17], -1
	s_and_saveexec_b64 s[20:21], s[18:19]
	s_xor_b64 s[18:19], exec, s[20:21]
; %bb.7:                                ;   in Loop: Header=BB103_2 Depth=1
	ds_read_u8 v52, v50 offset:1
; %bb.8:                                ;   in Loop: Header=BB103_2 Depth=1
	s_or_saveexec_b64 s[18:19], s[18:19]
	v_mov_b32_e32 v55, v54
	s_xor_b64 exec, exec, s[18:19]
	s_cbranch_execz .LBB103_10
; %bb.9:                                ;   in Loop: Header=BB103_2 Depth=1
	ds_read_u8 v55, v51 offset:1
	s_waitcnt lgkmcnt(1)
	v_mov_b32_e32 v52, v53
.LBB103_10:                             ;   in Loop: Header=BB103_2 Depth=1
	s_or_b64 exec, exec, s[18:19]
	v_add_u32_e32 v56, 1, v50
	v_cndmask_b32_e64 v53, v53, v54, s[16:17]
	v_add_u32_e32 v54, 1, v51
	v_cndmask_b32_e64 v56, v56, v50, s[16:17]
	v_cndmask_b32_e64 v54, v51, v54, s[16:17]
	;; [unrolled: 1-line block ×3, first 2 shown]
	v_perm_b32 v51, v49, v48, s26
	v_perm_b32 v48, v48, v49, s26
	v_cmp_ge_i32_e64 s[16:17], v56, v3
	s_waitcnt lgkmcnt(0)
	v_cmp_lt_u16_sdwa s[18:19], v55, v52 src0_sel:BYTE_0 src1_sel:BYTE_0
	v_cndmask_b32_e64 v48, v48, v51, s[14:15]
	v_cmp_lt_i32_e64 s[14:15], v54, v4
	s_or_b64 s[16:17], s[16:17], s[18:19]
	s_and_b64 s[14:15], s[14:15], s[16:17]
	v_cndmask_b32_e64 v49, v56, v54, s[14:15]
	s_barrier
	ds_write_b8 v1, v48
	v_lshrrev_b16_e32 v48, 8, v48
	ds_write_b8 v1, v48 offset:1
	s_waitcnt lgkmcnt(0)
	s_barrier
	ds_read_u8 v48, v50
	ds_read_u8 v49, v49
	v_cndmask_b32_e64 v51, v52, v55, s[14:15]
	s_waitcnt lgkmcnt(0)
	s_barrier
	ds_write_b8 v1, v53
	ds_write_b8 v1, v51 offset:1
	v_mov_b32_e32 v51, v26
	s_waitcnt lgkmcnt(0)
	s_barrier
	s_and_saveexec_b64 s[16:17], s[0:1]
	s_cbranch_execz .LBB103_14
; %bb.11:                               ;   in Loop: Header=BB103_2 Depth=1
	s_mov_b64 s[18:19], 0
	v_mov_b32_e32 v51, v26
	v_mov_b32_e32 v50, v27
.LBB103_12:                             ;   Parent Loop BB103_2 Depth=1
                                        ; =>  This Inner Loop Header: Depth=2
	v_sub_u32_e32 v52, v50, v51
	v_lshrrev_b32_e32 v52, 1, v52
	v_add_u32_e32 v52, v52, v51
	v_add_u32_e32 v53, v5, v52
	v_xad_u32 v54, v52, -1, v28
	ds_read_u8 v53, v53
	ds_read_u8 v54, v54
	v_add_u32_e32 v55, 1, v52
	s_waitcnt lgkmcnt(0)
	v_cmp_lt_u16_e64 s[14:15], v54, v53
	v_cndmask_b32_e64 v50, v50, v52, s[14:15]
	v_cndmask_b32_e64 v51, v55, v51, s[14:15]
	v_cmp_ge_i32_e64 s[14:15], v51, v50
	s_or_b64 s[18:19], s[14:15], s[18:19]
	s_andn2_b64 exec, exec, s[18:19]
	s_cbranch_execnz .LBB103_12
; %bb.13:                               ;   in Loop: Header=BB103_2 Depth=1
	s_or_b64 exec, exec, s[18:19]
.LBB103_14:                             ;   in Loop: Header=BB103_2 Depth=1
	s_or_b64 exec, exec, s[16:17]
	v_add_u32_e32 v50, v51, v5
	v_sub_u32_e32 v51, v28, v51
	ds_read_u8 v52, v50
	ds_read_u8 v53, v51
	v_cmp_le_i32_e64 s[16:17], v6, v50
	v_cmp_gt_i32_e64 s[14:15], v7, v51
                                        ; implicit-def: $vgpr54
	s_waitcnt lgkmcnt(0)
	v_cmp_lt_u16_sdwa s[18:19], v53, v52 src0_sel:BYTE_0 src1_sel:BYTE_0
	s_or_b64 s[16:17], s[16:17], s[18:19]
	s_and_b64 s[14:15], s[14:15], s[16:17]
	s_xor_b64 s[16:17], s[14:15], -1
	s_and_saveexec_b64 s[18:19], s[16:17]
	s_xor_b64 s[16:17], exec, s[18:19]
; %bb.15:                               ;   in Loop: Header=BB103_2 Depth=1
	ds_read_u8 v54, v50 offset:1
; %bb.16:                               ;   in Loop: Header=BB103_2 Depth=1
	s_or_saveexec_b64 s[16:17], s[16:17]
	v_mov_b32_e32 v55, v53
	s_xor_b64 exec, exec, s[16:17]
	s_cbranch_execz .LBB103_18
; %bb.17:                               ;   in Loop: Header=BB103_2 Depth=1
	ds_read_u8 v55, v51 offset:1
	s_waitcnt lgkmcnt(1)
	v_mov_b32_e32 v54, v52
.LBB103_18:                             ;   in Loop: Header=BB103_2 Depth=1
	s_or_b64 exec, exec, s[16:17]
	v_add_u32_e32 v56, 1, v50
	v_cndmask_b32_e64 v52, v52, v53, s[14:15]
	v_add_u32_e32 v53, 1, v51
	v_cndmask_b32_e64 v56, v56, v50, s[14:15]
	v_cndmask_b32_e64 v53, v51, v53, s[14:15]
	v_cmp_ge_i32_e64 s[16:17], v56, v6
	s_waitcnt lgkmcnt(0)
	v_cmp_lt_u16_sdwa s[18:19], v55, v54 src0_sel:BYTE_0 src1_sel:BYTE_0
	v_cndmask_b32_e64 v50, v50, v51, s[14:15]
	v_cmp_lt_i32_e64 s[14:15], v53, v7
	s_or_b64 s[16:17], s[16:17], s[18:19]
	s_and_b64 s[14:15], s[14:15], s[16:17]
	v_cndmask_b32_e64 v53, v56, v53, s[14:15]
	s_barrier
	ds_write_b8 v1, v48
	ds_write_b8 v1, v49 offset:1
	s_waitcnt lgkmcnt(0)
	s_barrier
	ds_read_u8 v48, v50
	ds_read_u8 v49, v53
	v_cndmask_b32_e64 v51, v54, v55, s[14:15]
	s_waitcnt lgkmcnt(0)
	s_barrier
	ds_write_b8 v1, v52
	ds_write_b8 v1, v51 offset:1
	v_mov_b32_e32 v51, v29
	s_waitcnt lgkmcnt(0)
	s_barrier
	s_and_saveexec_b64 s[16:17], s[2:3]
	s_cbranch_execz .LBB103_22
; %bb.19:                               ;   in Loop: Header=BB103_2 Depth=1
	s_mov_b64 s[18:19], 0
	v_mov_b32_e32 v51, v29
	v_mov_b32_e32 v50, v30
.LBB103_20:                             ;   Parent Loop BB103_2 Depth=1
                                        ; =>  This Inner Loop Header: Depth=2
	v_sub_u32_e32 v52, v50, v51
	v_lshrrev_b32_e32 v52, 1, v52
	v_add_u32_e32 v52, v52, v51
	v_add_u32_e32 v53, v8, v52
	v_xad_u32 v54, v52, -1, v31
	ds_read_u8 v53, v53
	ds_read_u8 v54, v54
	v_add_u32_e32 v55, 1, v52
	s_waitcnt lgkmcnt(0)
	v_cmp_lt_u16_e64 s[14:15], v54, v53
	v_cndmask_b32_e64 v50, v50, v52, s[14:15]
	v_cndmask_b32_e64 v51, v55, v51, s[14:15]
	v_cmp_ge_i32_e64 s[14:15], v51, v50
	s_or_b64 s[18:19], s[14:15], s[18:19]
	s_andn2_b64 exec, exec, s[18:19]
	s_cbranch_execnz .LBB103_20
; %bb.21:                               ;   in Loop: Header=BB103_2 Depth=1
	s_or_b64 exec, exec, s[18:19]
.LBB103_22:                             ;   in Loop: Header=BB103_2 Depth=1
	s_or_b64 exec, exec, s[16:17]
	v_add_u32_e32 v50, v51, v8
	v_sub_u32_e32 v51, v31, v51
	ds_read_u8 v52, v50
	ds_read_u8 v53, v51
	v_cmp_le_i32_e64 s[16:17], v9, v50
	v_cmp_gt_i32_e64 s[14:15], v10, v51
                                        ; implicit-def: $vgpr54
	s_waitcnt lgkmcnt(0)
	v_cmp_lt_u16_sdwa s[18:19], v53, v52 src0_sel:BYTE_0 src1_sel:BYTE_0
	s_or_b64 s[16:17], s[16:17], s[18:19]
	s_and_b64 s[14:15], s[14:15], s[16:17]
	s_xor_b64 s[16:17], s[14:15], -1
	s_and_saveexec_b64 s[18:19], s[16:17]
	s_xor_b64 s[16:17], exec, s[18:19]
; %bb.23:                               ;   in Loop: Header=BB103_2 Depth=1
	ds_read_u8 v54, v50 offset:1
; %bb.24:                               ;   in Loop: Header=BB103_2 Depth=1
	s_or_saveexec_b64 s[16:17], s[16:17]
	v_mov_b32_e32 v55, v53
	s_xor_b64 exec, exec, s[16:17]
	s_cbranch_execz .LBB103_26
; %bb.25:                               ;   in Loop: Header=BB103_2 Depth=1
	ds_read_u8 v55, v51 offset:1
	s_waitcnt lgkmcnt(1)
	v_mov_b32_e32 v54, v52
.LBB103_26:                             ;   in Loop: Header=BB103_2 Depth=1
	s_or_b64 exec, exec, s[16:17]
	v_add_u32_e32 v56, 1, v50
	v_cndmask_b32_e64 v52, v52, v53, s[14:15]
	v_add_u32_e32 v53, 1, v51
	v_cndmask_b32_e64 v56, v56, v50, s[14:15]
	v_cndmask_b32_e64 v53, v51, v53, s[14:15]
	v_cmp_ge_i32_e64 s[16:17], v56, v9
	s_waitcnt lgkmcnt(0)
	v_cmp_lt_u16_sdwa s[18:19], v55, v54 src0_sel:BYTE_0 src1_sel:BYTE_0
	v_cndmask_b32_e64 v50, v50, v51, s[14:15]
	v_cmp_lt_i32_e64 s[14:15], v53, v10
	s_or_b64 s[16:17], s[16:17], s[18:19]
	s_and_b64 s[14:15], s[14:15], s[16:17]
	v_cndmask_b32_e64 v53, v56, v53, s[14:15]
	s_barrier
	ds_write_b8 v1, v48
	ds_write_b8 v1, v49 offset:1
	s_waitcnt lgkmcnt(0)
	s_barrier
	ds_read_u8 v48, v50
	ds_read_u8 v49, v53
	v_cndmask_b32_e64 v51, v54, v55, s[14:15]
	s_waitcnt lgkmcnt(0)
	s_barrier
	ds_write_b8 v1, v52
	ds_write_b8 v1, v51 offset:1
	v_mov_b32_e32 v51, v32
	s_waitcnt lgkmcnt(0)
	s_barrier
	s_and_saveexec_b64 s[16:17], s[4:5]
	s_cbranch_execz .LBB103_30
; %bb.27:                               ;   in Loop: Header=BB103_2 Depth=1
	s_mov_b64 s[18:19], 0
	v_mov_b32_e32 v51, v32
	v_mov_b32_e32 v50, v33
.LBB103_28:                             ;   Parent Loop BB103_2 Depth=1
                                        ; =>  This Inner Loop Header: Depth=2
	v_sub_u32_e32 v52, v50, v51
	v_lshrrev_b32_e32 v52, 1, v52
	v_add_u32_e32 v52, v52, v51
	v_add_u32_e32 v53, v11, v52
	v_xad_u32 v54, v52, -1, v34
	ds_read_u8 v53, v53
	ds_read_u8 v54, v54
	v_add_u32_e32 v55, 1, v52
	s_waitcnt lgkmcnt(0)
	v_cmp_lt_u16_e64 s[14:15], v54, v53
	v_cndmask_b32_e64 v50, v50, v52, s[14:15]
	v_cndmask_b32_e64 v51, v55, v51, s[14:15]
	v_cmp_ge_i32_e64 s[14:15], v51, v50
	s_or_b64 s[18:19], s[14:15], s[18:19]
	s_andn2_b64 exec, exec, s[18:19]
	s_cbranch_execnz .LBB103_28
; %bb.29:                               ;   in Loop: Header=BB103_2 Depth=1
	s_or_b64 exec, exec, s[18:19]
.LBB103_30:                             ;   in Loop: Header=BB103_2 Depth=1
	s_or_b64 exec, exec, s[16:17]
	v_add_u32_e32 v50, v51, v11
	v_sub_u32_e32 v51, v34, v51
	ds_read_u8 v52, v50
	ds_read_u8 v53, v51
	v_cmp_le_i32_e64 s[16:17], v12, v50
	v_cmp_gt_i32_e64 s[14:15], v13, v51
                                        ; implicit-def: $vgpr54
	s_waitcnt lgkmcnt(0)
	v_cmp_lt_u16_sdwa s[18:19], v53, v52 src0_sel:BYTE_0 src1_sel:BYTE_0
	s_or_b64 s[16:17], s[16:17], s[18:19]
	s_and_b64 s[14:15], s[14:15], s[16:17]
	s_xor_b64 s[16:17], s[14:15], -1
	s_and_saveexec_b64 s[18:19], s[16:17]
	s_xor_b64 s[16:17], exec, s[18:19]
; %bb.31:                               ;   in Loop: Header=BB103_2 Depth=1
	ds_read_u8 v54, v50 offset:1
; %bb.32:                               ;   in Loop: Header=BB103_2 Depth=1
	s_or_saveexec_b64 s[16:17], s[16:17]
	v_mov_b32_e32 v55, v53
	s_xor_b64 exec, exec, s[16:17]
	s_cbranch_execz .LBB103_34
; %bb.33:                               ;   in Loop: Header=BB103_2 Depth=1
	ds_read_u8 v55, v51 offset:1
	s_waitcnt lgkmcnt(1)
	v_mov_b32_e32 v54, v52
.LBB103_34:                             ;   in Loop: Header=BB103_2 Depth=1
	s_or_b64 exec, exec, s[16:17]
	v_add_u32_e32 v56, 1, v50
	v_cndmask_b32_e64 v52, v52, v53, s[14:15]
	v_add_u32_e32 v53, 1, v51
	v_cndmask_b32_e64 v56, v56, v50, s[14:15]
	v_cndmask_b32_e64 v53, v51, v53, s[14:15]
	v_cmp_ge_i32_e64 s[16:17], v56, v12
	s_waitcnt lgkmcnt(0)
	v_cmp_lt_u16_sdwa s[18:19], v55, v54 src0_sel:BYTE_0 src1_sel:BYTE_0
	v_cndmask_b32_e64 v50, v50, v51, s[14:15]
	v_cmp_lt_i32_e64 s[14:15], v53, v13
	s_or_b64 s[16:17], s[16:17], s[18:19]
	s_and_b64 s[14:15], s[14:15], s[16:17]
	v_cndmask_b32_e64 v53, v56, v53, s[14:15]
	s_barrier
	ds_write_b8 v1, v48
	ds_write_b8 v1, v49 offset:1
	s_waitcnt lgkmcnt(0)
	s_barrier
	ds_read_u8 v48, v50
	ds_read_u8 v49, v53
	v_cndmask_b32_e64 v51, v54, v55, s[14:15]
	s_waitcnt lgkmcnt(0)
	s_barrier
	ds_write_b8 v1, v52
	ds_write_b8 v1, v51 offset:1
	v_mov_b32_e32 v51, v35
	s_waitcnt lgkmcnt(0)
	s_barrier
	s_and_saveexec_b64 s[16:17], s[6:7]
	s_cbranch_execz .LBB103_38
; %bb.35:                               ;   in Loop: Header=BB103_2 Depth=1
	s_mov_b64 s[18:19], 0
	v_mov_b32_e32 v51, v35
	v_mov_b32_e32 v50, v36
.LBB103_36:                             ;   Parent Loop BB103_2 Depth=1
                                        ; =>  This Inner Loop Header: Depth=2
	v_sub_u32_e32 v52, v50, v51
	v_lshrrev_b32_e32 v52, 1, v52
	v_add_u32_e32 v52, v52, v51
	v_add_u32_e32 v53, v14, v52
	v_xad_u32 v54, v52, -1, v37
	ds_read_u8 v53, v53
	ds_read_u8 v54, v54
	v_add_u32_e32 v55, 1, v52
	s_waitcnt lgkmcnt(0)
	v_cmp_lt_u16_e64 s[14:15], v54, v53
	v_cndmask_b32_e64 v50, v50, v52, s[14:15]
	v_cndmask_b32_e64 v51, v55, v51, s[14:15]
	v_cmp_ge_i32_e64 s[14:15], v51, v50
	s_or_b64 s[18:19], s[14:15], s[18:19]
	s_andn2_b64 exec, exec, s[18:19]
	s_cbranch_execnz .LBB103_36
; %bb.37:                               ;   in Loop: Header=BB103_2 Depth=1
	s_or_b64 exec, exec, s[18:19]
.LBB103_38:                             ;   in Loop: Header=BB103_2 Depth=1
	s_or_b64 exec, exec, s[16:17]
	v_add_u32_e32 v50, v51, v14
	v_sub_u32_e32 v51, v37, v51
	ds_read_u8 v52, v50
	ds_read_u8 v53, v51
	v_cmp_le_i32_e64 s[16:17], v15, v50
	v_cmp_gt_i32_e64 s[14:15], v16, v51
                                        ; implicit-def: $vgpr54
	s_waitcnt lgkmcnt(0)
	v_cmp_lt_u16_sdwa s[18:19], v53, v52 src0_sel:BYTE_0 src1_sel:BYTE_0
	s_or_b64 s[16:17], s[16:17], s[18:19]
	s_and_b64 s[14:15], s[14:15], s[16:17]
	s_xor_b64 s[16:17], s[14:15], -1
	s_and_saveexec_b64 s[18:19], s[16:17]
	s_xor_b64 s[16:17], exec, s[18:19]
; %bb.39:                               ;   in Loop: Header=BB103_2 Depth=1
	ds_read_u8 v54, v50 offset:1
; %bb.40:                               ;   in Loop: Header=BB103_2 Depth=1
	s_or_saveexec_b64 s[16:17], s[16:17]
	v_mov_b32_e32 v55, v53
	s_xor_b64 exec, exec, s[16:17]
	s_cbranch_execz .LBB103_42
; %bb.41:                               ;   in Loop: Header=BB103_2 Depth=1
	ds_read_u8 v55, v51 offset:1
	s_waitcnt lgkmcnt(1)
	v_mov_b32_e32 v54, v52
.LBB103_42:                             ;   in Loop: Header=BB103_2 Depth=1
	s_or_b64 exec, exec, s[16:17]
	v_add_u32_e32 v56, 1, v50
	v_cndmask_b32_e64 v52, v52, v53, s[14:15]
	v_add_u32_e32 v53, 1, v51
	v_cndmask_b32_e64 v56, v56, v50, s[14:15]
	v_cndmask_b32_e64 v53, v51, v53, s[14:15]
	v_cmp_ge_i32_e64 s[16:17], v56, v15
	s_waitcnt lgkmcnt(0)
	v_cmp_lt_u16_sdwa s[18:19], v55, v54 src0_sel:BYTE_0 src1_sel:BYTE_0
	v_cndmask_b32_e64 v50, v50, v51, s[14:15]
	v_cmp_lt_i32_e64 s[14:15], v53, v16
	s_or_b64 s[16:17], s[16:17], s[18:19]
	s_and_b64 s[14:15], s[14:15], s[16:17]
	v_cndmask_b32_e64 v53, v56, v53, s[14:15]
	s_barrier
	ds_write_b8 v1, v48
	ds_write_b8 v1, v49 offset:1
	s_waitcnt lgkmcnt(0)
	s_barrier
	ds_read_u8 v48, v50
	ds_read_u8 v49, v53
	v_cndmask_b32_e64 v51, v54, v55, s[14:15]
	s_waitcnt lgkmcnt(0)
	s_barrier
	ds_write_b8 v1, v52
	ds_write_b8 v1, v51 offset:1
	v_mov_b32_e32 v51, v38
	s_waitcnt lgkmcnt(0)
	s_barrier
	s_and_saveexec_b64 s[16:17], s[8:9]
	s_cbranch_execz .LBB103_46
; %bb.43:                               ;   in Loop: Header=BB103_2 Depth=1
	s_mov_b64 s[18:19], 0
	v_mov_b32_e32 v51, v38
	v_mov_b32_e32 v50, v39
.LBB103_44:                             ;   Parent Loop BB103_2 Depth=1
                                        ; =>  This Inner Loop Header: Depth=2
	v_sub_u32_e32 v52, v50, v51
	v_lshrrev_b32_e32 v52, 1, v52
	v_add_u32_e32 v52, v52, v51
	v_add_u32_e32 v53, v17, v52
	v_xad_u32 v54, v52, -1, v40
	ds_read_u8 v53, v53
	ds_read_u8 v54, v54
	v_add_u32_e32 v55, 1, v52
	s_waitcnt lgkmcnt(0)
	v_cmp_lt_u16_e64 s[14:15], v54, v53
	v_cndmask_b32_e64 v50, v50, v52, s[14:15]
	v_cndmask_b32_e64 v51, v55, v51, s[14:15]
	v_cmp_ge_i32_e64 s[14:15], v51, v50
	s_or_b64 s[18:19], s[14:15], s[18:19]
	s_andn2_b64 exec, exec, s[18:19]
	s_cbranch_execnz .LBB103_44
; %bb.45:                               ;   in Loop: Header=BB103_2 Depth=1
	s_or_b64 exec, exec, s[18:19]
.LBB103_46:                             ;   in Loop: Header=BB103_2 Depth=1
	s_or_b64 exec, exec, s[16:17]
	v_add_u32_e32 v50, v51, v17
	v_sub_u32_e32 v51, v40, v51
	ds_read_u8 v52, v50
	ds_read_u8 v53, v51
	v_cmp_le_i32_e64 s[16:17], v18, v50
	v_cmp_gt_i32_e64 s[14:15], v19, v51
                                        ; implicit-def: $vgpr54
	s_waitcnt lgkmcnt(0)
	v_cmp_lt_u16_sdwa s[18:19], v53, v52 src0_sel:BYTE_0 src1_sel:BYTE_0
	s_or_b64 s[16:17], s[16:17], s[18:19]
	s_and_b64 s[14:15], s[14:15], s[16:17]
	s_xor_b64 s[16:17], s[14:15], -1
	s_and_saveexec_b64 s[18:19], s[16:17]
	s_xor_b64 s[16:17], exec, s[18:19]
; %bb.47:                               ;   in Loop: Header=BB103_2 Depth=1
	ds_read_u8 v54, v50 offset:1
; %bb.48:                               ;   in Loop: Header=BB103_2 Depth=1
	s_or_saveexec_b64 s[16:17], s[16:17]
	v_mov_b32_e32 v55, v53
	s_xor_b64 exec, exec, s[16:17]
	s_cbranch_execz .LBB103_50
; %bb.49:                               ;   in Loop: Header=BB103_2 Depth=1
	ds_read_u8 v55, v51 offset:1
	s_waitcnt lgkmcnt(1)
	v_mov_b32_e32 v54, v52
.LBB103_50:                             ;   in Loop: Header=BB103_2 Depth=1
	s_or_b64 exec, exec, s[16:17]
	v_add_u32_e32 v56, 1, v50
	v_cndmask_b32_e64 v52, v52, v53, s[14:15]
	v_add_u32_e32 v53, 1, v51
	v_cndmask_b32_e64 v56, v56, v50, s[14:15]
	v_cndmask_b32_e64 v53, v51, v53, s[14:15]
	v_cmp_ge_i32_e64 s[16:17], v56, v18
	s_waitcnt lgkmcnt(0)
	v_cmp_lt_u16_sdwa s[18:19], v55, v54 src0_sel:BYTE_0 src1_sel:BYTE_0
	v_cndmask_b32_e64 v50, v50, v51, s[14:15]
	v_cmp_lt_i32_e64 s[14:15], v53, v19
	s_or_b64 s[16:17], s[16:17], s[18:19]
	s_and_b64 s[14:15], s[14:15], s[16:17]
	v_cndmask_b32_e64 v53, v56, v53, s[14:15]
	s_barrier
	ds_write_b8 v1, v48
	ds_write_b8 v1, v49 offset:1
	s_waitcnt lgkmcnt(0)
	s_barrier
	ds_read_u8 v48, v50
	ds_read_u8 v49, v53
	v_cndmask_b32_e64 v51, v54, v55, s[14:15]
	s_waitcnt lgkmcnt(0)
	s_barrier
	ds_write_b8 v1, v52
	ds_write_b8 v1, v51 offset:1
	v_mov_b32_e32 v51, v41
	s_waitcnt lgkmcnt(0)
	s_barrier
	s_and_saveexec_b64 s[16:17], s[10:11]
	s_cbranch_execz .LBB103_54
; %bb.51:                               ;   in Loop: Header=BB103_2 Depth=1
	s_mov_b64 s[18:19], 0
	v_mov_b32_e32 v51, v41
	v_mov_b32_e32 v50, v42
.LBB103_52:                             ;   Parent Loop BB103_2 Depth=1
                                        ; =>  This Inner Loop Header: Depth=2
	v_sub_u32_e32 v52, v50, v51
	v_lshrrev_b32_e32 v52, 1, v52
	v_add_u32_e32 v52, v52, v51
	v_add_u32_e32 v53, v20, v52
	v_xad_u32 v54, v52, -1, v43
	ds_read_u8 v53, v53
	ds_read_u8 v54, v54
	v_add_u32_e32 v55, 1, v52
	s_waitcnt lgkmcnt(0)
	v_cmp_lt_u16_e64 s[14:15], v54, v53
	v_cndmask_b32_e64 v50, v50, v52, s[14:15]
	v_cndmask_b32_e64 v51, v55, v51, s[14:15]
	v_cmp_ge_i32_e64 s[14:15], v51, v50
	s_or_b64 s[18:19], s[14:15], s[18:19]
	s_andn2_b64 exec, exec, s[18:19]
	s_cbranch_execnz .LBB103_52
; %bb.53:                               ;   in Loop: Header=BB103_2 Depth=1
	s_or_b64 exec, exec, s[18:19]
.LBB103_54:                             ;   in Loop: Header=BB103_2 Depth=1
	s_or_b64 exec, exec, s[16:17]
	v_add_u32_e32 v50, v51, v20
	v_sub_u32_e32 v51, v43, v51
	ds_read_u8 v52, v50
	ds_read_u8 v53, v51
	v_cmp_le_i32_e64 s[16:17], v21, v50
	v_cmp_gt_i32_e64 s[14:15], v22, v51
                                        ; implicit-def: $vgpr54
	s_waitcnt lgkmcnt(0)
	v_cmp_lt_u16_sdwa s[18:19], v53, v52 src0_sel:BYTE_0 src1_sel:BYTE_0
	s_or_b64 s[16:17], s[16:17], s[18:19]
	s_and_b64 s[14:15], s[14:15], s[16:17]
	s_xor_b64 s[16:17], s[14:15], -1
	s_and_saveexec_b64 s[18:19], s[16:17]
	s_xor_b64 s[16:17], exec, s[18:19]
; %bb.55:                               ;   in Loop: Header=BB103_2 Depth=1
	ds_read_u8 v54, v50 offset:1
; %bb.56:                               ;   in Loop: Header=BB103_2 Depth=1
	s_or_saveexec_b64 s[16:17], s[16:17]
	v_mov_b32_e32 v55, v53
	s_xor_b64 exec, exec, s[16:17]
	s_cbranch_execz .LBB103_58
; %bb.57:                               ;   in Loop: Header=BB103_2 Depth=1
	ds_read_u8 v55, v51 offset:1
	s_waitcnt lgkmcnt(1)
	v_mov_b32_e32 v54, v52
.LBB103_58:                             ;   in Loop: Header=BB103_2 Depth=1
	s_or_b64 exec, exec, s[16:17]
	v_add_u32_e32 v56, 1, v50
	v_cndmask_b32_e64 v52, v52, v53, s[14:15]
	v_add_u32_e32 v53, 1, v51
	v_cndmask_b32_e64 v56, v56, v50, s[14:15]
	v_cndmask_b32_e64 v53, v51, v53, s[14:15]
	v_cmp_ge_i32_e64 s[16:17], v56, v21
	s_waitcnt lgkmcnt(0)
	v_cmp_lt_u16_sdwa s[18:19], v55, v54 src0_sel:BYTE_0 src1_sel:BYTE_0
	v_cndmask_b32_e64 v50, v50, v51, s[14:15]
	v_cmp_lt_i32_e64 s[14:15], v53, v22
	s_or_b64 s[16:17], s[16:17], s[18:19]
	s_and_b64 s[14:15], s[14:15], s[16:17]
	v_cndmask_b32_e64 v53, v56, v53, s[14:15]
	s_barrier
	ds_write_b8 v1, v48
	ds_write_b8 v1, v49 offset:1
	s_waitcnt lgkmcnt(0)
	s_barrier
	ds_read_u8 v48, v50
	ds_read_u8 v49, v53
	v_mov_b32_e32 v50, v45
	v_cndmask_b32_e64 v51, v54, v55, s[14:15]
	s_waitcnt lgkmcnt(0)
	s_barrier
	ds_write_b8 v1, v52
	ds_write_b8 v1, v51 offset:1
	s_waitcnt lgkmcnt(0)
	s_barrier
	s_and_saveexec_b64 s[16:17], s[12:13]
	s_cbranch_execz .LBB103_62
; %bb.59:                               ;   in Loop: Header=BB103_2 Depth=1
	s_mov_b64 s[18:19], 0
	v_mov_b32_e32 v50, v45
	v_mov_b32_e32 v51, v46
.LBB103_60:                             ;   Parent Loop BB103_2 Depth=1
                                        ; =>  This Inner Loop Header: Depth=2
	v_sub_u32_e32 v52, v51, v50
	v_lshrrev_b32_e32 v52, 1, v52
	v_add_u32_e32 v52, v52, v50
	v_xad_u32 v53, v52, -1, v47
	ds_read_u8 v54, v52
	ds_read_u8 v53, v53
	v_add_u32_e32 v55, 1, v52
	s_waitcnt lgkmcnt(0)
	v_cmp_lt_u16_e64 s[14:15], v53, v54
	v_cndmask_b32_e64 v51, v51, v52, s[14:15]
	v_cndmask_b32_e64 v50, v55, v50, s[14:15]
	v_cmp_ge_i32_e64 s[14:15], v50, v51
	s_or_b64 s[18:19], s[14:15], s[18:19]
	s_andn2_b64 exec, exec, s[18:19]
	s_cbranch_execnz .LBB103_60
; %bb.61:                               ;   in Loop: Header=BB103_2 Depth=1
	s_or_b64 exec, exec, s[18:19]
.LBB103_62:                             ;   in Loop: Header=BB103_2 Depth=1
	s_or_b64 exec, exec, s[16:17]
	v_sub_u32_e32 v53, v47, v50
	ds_read_u8 v51, v50
	ds_read_u8 v52, v53
	v_cmp_le_i32_e64 s[16:17], v44, v50
	v_cmp_gt_i32_e64 s[14:15], s27, v53
                                        ; implicit-def: $vgpr55
                                        ; implicit-def: $vgpr54
	s_waitcnt lgkmcnt(0)
	v_cmp_lt_u16_sdwa s[18:19], v52, v51 src0_sel:BYTE_0 src1_sel:BYTE_0
	s_or_b64 s[16:17], s[16:17], s[18:19]
	s_and_b64 s[14:15], s[14:15], s[16:17]
	s_xor_b64 s[16:17], s[14:15], -1
	s_and_saveexec_b64 s[18:19], s[16:17]
	s_xor_b64 s[16:17], exec, s[18:19]
; %bb.63:                               ;   in Loop: Header=BB103_2 Depth=1
	ds_read_u8 v55, v50 offset:1
	v_add_u32_e32 v54, 1, v50
; %bb.64:                               ;   in Loop: Header=BB103_2 Depth=1
	s_or_saveexec_b64 s[16:17], s[16:17]
	v_mov_b32_e32 v56, v50
	v_mov_b32_e32 v57, v52
	s_xor_b64 exec, exec, s[16:17]
	s_cbranch_execz .LBB103_1
; %bb.65:                               ;   in Loop: Header=BB103_2 Depth=1
	ds_read_u8 v57, v53 offset:1
	s_waitcnt lgkmcnt(1)
	v_add_u32_e32 v55, 1, v53
	v_mov_b32_e32 v56, v53
	v_mov_b32_e32 v54, v50
	;; [unrolled: 1-line block ×4, first 2 shown]
	s_branch .LBB103_1
.LBB103_66:
	s_add_u32 s0, s22, s24
	s_addc_u32 s1, s23, 0
	v_mov_b32_e32 v1, s1
	v_add_co_u32_e32 v0, vcc, s0, v0
	s_waitcnt lgkmcnt(1)
	v_add_u16_e32 v2, v51, v48
	v_addc_co_u32_e32 v1, vcc, 0, v1, vcc
	s_waitcnt lgkmcnt(0)
	v_add_u16_e32 v3, v50, v49
	global_store_byte v[0:1], v2, off
	global_store_byte v[0:1], v3, off offset:256
	s_endpgm
	.section	.rodata,"a",@progbits
	.p2align	6, 0x0
	.amdhsa_kernel _Z17sort_pairs_kernelIhLj256ELj2EN10test_utils4lessELj10EEvPKT_PS2_T2_
		.amdhsa_group_segment_fixed_size 513
		.amdhsa_private_segment_fixed_size 0
		.amdhsa_kernarg_size 20
		.amdhsa_user_sgpr_count 6
		.amdhsa_user_sgpr_private_segment_buffer 1
		.amdhsa_user_sgpr_dispatch_ptr 0
		.amdhsa_user_sgpr_queue_ptr 0
		.amdhsa_user_sgpr_kernarg_segment_ptr 1
		.amdhsa_user_sgpr_dispatch_id 0
		.amdhsa_user_sgpr_flat_scratch_init 0
		.amdhsa_user_sgpr_private_segment_size 0
		.amdhsa_uses_dynamic_stack 0
		.amdhsa_system_sgpr_private_segment_wavefront_offset 0
		.amdhsa_system_sgpr_workgroup_id_x 1
		.amdhsa_system_sgpr_workgroup_id_y 0
		.amdhsa_system_sgpr_workgroup_id_z 0
		.amdhsa_system_sgpr_workgroup_info 0
		.amdhsa_system_vgpr_workitem_id 0
		.amdhsa_next_free_vgpr 58
		.amdhsa_next_free_sgpr 28
		.amdhsa_reserve_vcc 1
		.amdhsa_reserve_flat_scratch 0
		.amdhsa_float_round_mode_32 0
		.amdhsa_float_round_mode_16_64 0
		.amdhsa_float_denorm_mode_32 3
		.amdhsa_float_denorm_mode_16_64 3
		.amdhsa_dx10_clamp 1
		.amdhsa_ieee_mode 1
		.amdhsa_fp16_overflow 0
		.amdhsa_exception_fp_ieee_invalid_op 0
		.amdhsa_exception_fp_denorm_src 0
		.amdhsa_exception_fp_ieee_div_zero 0
		.amdhsa_exception_fp_ieee_overflow 0
		.amdhsa_exception_fp_ieee_underflow 0
		.amdhsa_exception_fp_ieee_inexact 0
		.amdhsa_exception_int_div_zero 0
	.end_amdhsa_kernel
	.section	.text._Z17sort_pairs_kernelIhLj256ELj2EN10test_utils4lessELj10EEvPKT_PS2_T2_,"axG",@progbits,_Z17sort_pairs_kernelIhLj256ELj2EN10test_utils4lessELj10EEvPKT_PS2_T2_,comdat
.Lfunc_end103:
	.size	_Z17sort_pairs_kernelIhLj256ELj2EN10test_utils4lessELj10EEvPKT_PS2_T2_, .Lfunc_end103-_Z17sort_pairs_kernelIhLj256ELj2EN10test_utils4lessELj10EEvPKT_PS2_T2_
                                        ; -- End function
	.set _Z17sort_pairs_kernelIhLj256ELj2EN10test_utils4lessELj10EEvPKT_PS2_T2_.num_vgpr, 58
	.set _Z17sort_pairs_kernelIhLj256ELj2EN10test_utils4lessELj10EEvPKT_PS2_T2_.num_agpr, 0
	.set _Z17sort_pairs_kernelIhLj256ELj2EN10test_utils4lessELj10EEvPKT_PS2_T2_.numbered_sgpr, 28
	.set _Z17sort_pairs_kernelIhLj256ELj2EN10test_utils4lessELj10EEvPKT_PS2_T2_.num_named_barrier, 0
	.set _Z17sort_pairs_kernelIhLj256ELj2EN10test_utils4lessELj10EEvPKT_PS2_T2_.private_seg_size, 0
	.set _Z17sort_pairs_kernelIhLj256ELj2EN10test_utils4lessELj10EEvPKT_PS2_T2_.uses_vcc, 1
	.set _Z17sort_pairs_kernelIhLj256ELj2EN10test_utils4lessELj10EEvPKT_PS2_T2_.uses_flat_scratch, 0
	.set _Z17sort_pairs_kernelIhLj256ELj2EN10test_utils4lessELj10EEvPKT_PS2_T2_.has_dyn_sized_stack, 0
	.set _Z17sort_pairs_kernelIhLj256ELj2EN10test_utils4lessELj10EEvPKT_PS2_T2_.has_recursion, 0
	.set _Z17sort_pairs_kernelIhLj256ELj2EN10test_utils4lessELj10EEvPKT_PS2_T2_.has_indirect_call, 0
	.section	.AMDGPU.csdata,"",@progbits
; Kernel info:
; codeLenInByte = 3960
; TotalNumSgprs: 32
; NumVgprs: 58
; ScratchSize: 0
; MemoryBound: 0
; FloatMode: 240
; IeeeMode: 1
; LDSByteSize: 513 bytes/workgroup (compile time only)
; SGPRBlocks: 3
; VGPRBlocks: 14
; NumSGPRsForWavesPerEU: 32
; NumVGPRsForWavesPerEU: 58
; Occupancy: 4
; WaveLimiterHint : 1
; COMPUTE_PGM_RSRC2:SCRATCH_EN: 0
; COMPUTE_PGM_RSRC2:USER_SGPR: 6
; COMPUTE_PGM_RSRC2:TRAP_HANDLER: 0
; COMPUTE_PGM_RSRC2:TGID_X_EN: 1
; COMPUTE_PGM_RSRC2:TGID_Y_EN: 0
; COMPUTE_PGM_RSRC2:TGID_Z_EN: 0
; COMPUTE_PGM_RSRC2:TIDIG_COMP_CNT: 0
	.section	.text._Z16sort_keys_kernelIhLj256ELj3EN10test_utils4lessELj10EEvPKT_PS2_T2_,"axG",@progbits,_Z16sort_keys_kernelIhLj256ELj3EN10test_utils4lessELj10EEvPKT_PS2_T2_,comdat
	.protected	_Z16sort_keys_kernelIhLj256ELj3EN10test_utils4lessELj10EEvPKT_PS2_T2_ ; -- Begin function _Z16sort_keys_kernelIhLj256ELj3EN10test_utils4lessELj10EEvPKT_PS2_T2_
	.globl	_Z16sort_keys_kernelIhLj256ELj3EN10test_utils4lessELj10EEvPKT_PS2_T2_
	.p2align	8
	.type	_Z16sort_keys_kernelIhLj256ELj3EN10test_utils4lessELj10EEvPKT_PS2_T2_,@function
_Z16sort_keys_kernelIhLj256ELj3EN10test_utils4lessELj10EEvPKT_PS2_T2_: ; @_Z16sort_keys_kernelIhLj256ELj3EN10test_utils4lessELj10EEvPKT_PS2_T2_
; %bb.0:
	s_load_dwordx4 s[20:23], s[4:5], 0x0
	s_mul_i32 s24, s6, 0x300
	v_and_b32_e32 v1, 0xfe, v0
	v_and_b32_e32 v2, 1, v0
	;; [unrolled: 1-line block ×3, first 2 shown]
	s_waitcnt lgkmcnt(0)
	s_add_u32 s0, s20, s24
	s_addc_u32 s1, s21, 0
	global_load_ubyte v23, v0, s[0:1] offset:256
	global_load_ubyte v24, v0, s[0:1] offset:512
	global_load_ubyte v25, v0, s[0:1]
	s_mov_b32 s0, 0xc0c0004
	v_and_b32_e32 v4, 0xf8, v0
	v_and_b32_e32 v5, 0xf0, v0
	;; [unrolled: 1-line block ×5, first 2 shown]
	v_mul_u32_u24_e32 v27, 3, v1
	v_cmp_eq_u32_e32 vcc, 1, v2
	v_mul_u32_u24_e32 v2, 3, v3
	v_mul_u32_u24_e32 v3, 3, v4
	;; [unrolled: 1-line block ×5, first 2 shown]
	v_min_u32_e32 v30, 0x2fd, v27
	v_min_u32_e32 v7, 0x2fa, v27
	;; [unrolled: 1-line block ×17, first 2 shown]
	v_add_u32_e32 v6, 3, v30
	v_add_u32_e32 v7, 6, v7
	v_and_b32_e32 v34, 3, v0
	v_and_b32_e32 v37, 7, v0
	;; [unrolled: 1-line block ×5, first 2 shown]
	v_cndmask_b32_e64 v31, 0, 3, vcc
	v_add_u32_e32 v8, 6, v33
	v_add_u32_e32 v9, 12, v9
	v_add_u32_e32 v10, 12, v36
	v_add_u32_e32 v11, 24, v11
	v_add_u32_e32 v12, 48, v12
	v_add_u32_e32 v13, 24, v39
	v_add_u32_e32 v14, 0x60, v14
	v_add_u32_e32 v15, 48, v42
	v_add_u32_e32 v16, 0xc0, v16
	v_add_u32_e32 v17, 0x60, v45
	v_sub_u32_e32 v32, v7, v6
	v_and_b32_e32 v58, 0x7f, v0
	v_mul_u32_u24_e32 v28, 3, v34
	v_mul_u32_u24_e32 v29, 3, v37
	;; [unrolled: 1-line block ×5, first 2 shown]
	v_sub_u32_e32 v18, v8, v1
	v_sub_u32_e32 v35, v9, v8
	;; [unrolled: 1-line block ×8, first 2 shown]
	v_mul_u32_u24_e32 v59, 3, v58
	v_cmp_ge_i32_e32 vcc, v31, v32
	v_min_u32_e32 v27, 0x300, v27
	v_sub_u32_e32 v20, v13, v3
	v_sub_u32_e32 v21, v15, v4
	;; [unrolled: 1-line block ×4, first 2 shown]
	v_min_i32_e32 v18, v28, v18
	v_sub_u32_e32 v53, v29, v47
	v_min_i32_e32 v19, v29, v19
	v_sub_u32_e32 v55, v38, v48
	v_sub_u32_e32 v56, v41, v49
	;; [unrolled: 1-line block ×3, first 2 shown]
	v_cmp_ge_i32_e64 s[2:3], v29, v47
	v_sub_u32_e32 v29, v6, v27
	v_cmp_ge_i32_e64 s[4:5], v38, v48
	s_waitcnt vmcnt(0)
	v_perm_b32 v23, v25, v23, s0
	v_mul_u32_u24_e32 v25, 3, v26
	v_lshl_or_b32 v54, v24, 16, v23
	v_min_u32_e32 v23, 0x180, v25
	v_min_u32_e32 v60, 0x240, v25
	v_add_u32_e32 v23, 0x180, v23
	v_add_u32_e32 v24, 0xc0, v60
	v_sub_u32_e32 v61, v23, v24
	v_min_u32_e32 v25, 0x300, v25
	v_cmp_ge_i32_e64 s[0:1], v28, v35
	v_sub_u32_e32 v62, v59, v61
	v_sub_u32_e32 v26, v24, v25
	v_cndmask_b32_e32 v28, 0, v51, vcc
	v_cmp_ge_i32_e64 s[6:7], v41, v49
	v_cmp_ge_i32_e64 s[8:9], v44, v50
	;; [unrolled: 1-line block ×3, first 2 shown]
	v_mul_u32_u24_e32 v50, 3, v0
	v_mov_b32_e32 v51, 0x180
	v_min_i32_e32 v20, v38, v20
	v_min_i32_e32 v21, v41, v21
	;; [unrolled: 1-line block ×5, first 2 shown]
	v_cndmask_b32_e64 v32, 0, v52, s[0:1]
	v_cndmask_b32_e64 v35, 0, v53, s[2:3]
	;; [unrolled: 1-line block ×6, first 2 shown]
	v_sub_u32_e64 v52, v50, v51 clamp
	v_min_i32_e32 v53, 0x180, v50
	s_movk_i32 s20, 0x300
	s_mov_b32 s21, 0
	v_cmp_lt_i32_e32 vcc, v28, v29
	v_add_u32_e32 v30, v30, v31
	v_add_u32_e32 v31, v6, v31
	v_cmp_lt_i32_e64 s[0:1], v32, v18
	v_mad_u32_u24 v33, v34, 3, v33
	v_mad_u32_u24 v34, v34, 3, v8
	v_cmp_lt_i32_e64 s[2:3], v35, v19
	v_mad_u32_u24 v36, v37, 3, v36
	v_mad_u32_u24 v37, v37, 3, v10
	;; [unrolled: 3-line block ×6, first 2 shown]
	v_cmp_lt_i32_e64 s[12:13], v52, v53
	s_mov_b32 s25, 0x7060405
	s_movk_i32 s26, 0xff
	s_movk_i32 s27, 0xff00
	s_mov_b32 s28, 0xffff0000
	s_branch .LBB104_2
.LBB104_1:                              ;   in Loop: Header=BB104_2 Depth=1
	s_or_b64 exec, exec, s[18:19]
	v_cndmask_b32_e64 v57, v57, v58, s[16:17]
	v_cmp_ge_i32_e64 s[16:17], v60, v51
	s_waitcnt lgkmcnt(0)
	v_cmp_lt_u16_sdwa s[18:19], v62, v56 src0_sel:BYTE_0 src1_sel:BYTE_0
	v_cndmask_b32_e64 v55, v54, v55, s[14:15]
	v_cmp_gt_i32_e64 s[14:15], s20, v59
	s_or_b64 s[16:17], s[16:17], s[18:19]
	s_and_b64 s[14:15], s[14:15], s[16:17]
	v_cndmask_b32_e64 v56, v56, v62, s[14:15]
	v_lshlrev_b16_e32 v54, 8, v57
	v_and_b32_e32 v58, 0xff, v56
	v_or_b32_sdwa v54, v55, v54 dst_sel:DWORD dst_unused:UNUSED_PAD src0_sel:BYTE_0 src1_sel:DWORD
	v_lshlrev_b32_e32 v58, 16, v58
	s_add_i32 s21, s21, 1
	s_cmp_eq_u32 s21, 10
	v_or_b32_sdwa v54, v54, v58 dst_sel:DWORD dst_unused:UNUSED_PAD src0_sel:WORD_0 src1_sel:DWORD
	s_cbranch_scc1 .LBB104_98
.LBB104_2:                              ; =>This Loop Header: Depth=1
                                        ;     Child Loop BB104_4 Depth 2
                                        ;     Child Loop BB104_16 Depth 2
	;; [unrolled: 1-line block ×8, first 2 shown]
	v_lshrrev_b32_e32 v56, 8, v54
	v_perm_b32 v55, v54, v54, s25
	v_cmp_lt_u16_sdwa s[14:15], v56, v54 src0_sel:BYTE_0 src1_sel:BYTE_0
	v_cndmask_b32_e64 v55, v54, v55, s[14:15]
	v_mov_b32_e32 v59, 8
	v_and_b32_sdwa v57, v55, s27 dst_sel:DWORD dst_unused:UNUSED_PAD src0_sel:WORD_1 src1_sel:DWORD
	v_max_u16_sdwa v58, v56, v54 dst_sel:DWORD dst_unused:UNUSED_PAD src0_sel:BYTE_0 src1_sel:BYTE_0
	v_lshlrev_b16_sdwa v59, v59, v55 dst_sel:DWORD dst_unused:UNUSED_PAD src0_sel:DWORD src1_sel:WORD_1
	v_or_b32_sdwa v57, v58, v57 dst_sel:WORD_1 dst_unused:UNUSED_PAD src0_sel:DWORD src1_sel:DWORD
	v_min_u16_sdwa v54, v56, v54 dst_sel:DWORD dst_unused:UNUSED_PAD src0_sel:BYTE_0 src1_sel:BYTE_0
	v_and_b32_sdwa v56, v55, s26 dst_sel:DWORD dst_unused:UNUSED_PAD src0_sel:WORD_1 src1_sel:DWORD
	v_or_b32_sdwa v59, v55, v59 dst_sel:DWORD dst_unused:UNUSED_PAD src0_sel:BYTE_0 src1_sel:DWORD
	v_or_b32_sdwa v57, v59, v57 dst_sel:DWORD dst_unused:UNUSED_PAD src0_sel:WORD_0 src1_sel:DWORD
	v_cmp_lt_u16_e64 s[14:15], v56, v58
	v_cndmask_b32_e64 v55, v55, v57, s[14:15]
	v_min_u16_e32 v57, v56, v58
	v_lshlrev_b16_e32 v58, 8, v54
	v_or_b32_e32 v57, v57, v58
	v_and_b32_e32 v57, 0xffff, v57
	v_and_or_b32 v57, v55, s28, v57
	v_cmp_lt_u16_e64 s[14:15], v56, v54
	v_cndmask_b32_e64 v54, v55, v57, s[14:15]
	v_lshrrev_b32_e32 v55, 8, v54
	v_mov_b32_e32 v56, v28
	s_barrier
	ds_write_b8 v50, v54
	ds_write_b8 v50, v55 offset:1
	ds_write_b8_d16_hi v50, v54 offset:2
	s_waitcnt lgkmcnt(0)
	s_barrier
	s_and_saveexec_b64 s[16:17], vcc
	s_cbranch_execz .LBB104_6
; %bb.3:                                ;   in Loop: Header=BB104_2 Depth=1
	s_mov_b64 s[18:19], 0
	v_mov_b32_e32 v56, v28
	v_mov_b32_e32 v54, v29
.LBB104_4:                              ;   Parent Loop BB104_2 Depth=1
                                        ; =>  This Inner Loop Header: Depth=2
	v_sub_u32_e32 v55, v54, v56
	v_lshrrev_b32_e32 v55, 1, v55
	v_add_u32_e32 v55, v55, v56
	v_add_u32_e32 v57, v27, v55
	v_xad_u32 v58, v55, -1, v30
	ds_read_u8 v57, v57
	ds_read_u8 v58, v58 offset:3
	v_add_u32_e32 v59, 1, v55
	s_waitcnt lgkmcnt(0)
	v_cmp_lt_u16_e64 s[14:15], v58, v57
	v_cndmask_b32_e64 v54, v54, v55, s[14:15]
	v_cndmask_b32_e64 v56, v59, v56, s[14:15]
	v_cmp_ge_i32_e64 s[14:15], v56, v54
	s_or_b64 s[18:19], s[14:15], s[18:19]
	s_andn2_b64 exec, exec, s[18:19]
	s_cbranch_execnz .LBB104_4
; %bb.5:                                ;   in Loop: Header=BB104_2 Depth=1
	s_or_b64 exec, exec, s[18:19]
.LBB104_6:                              ;   in Loop: Header=BB104_2 Depth=1
	s_or_b64 exec, exec, s[16:17]
	v_add_u32_e32 v57, v56, v27
	v_sub_u32_e32 v60, v30, v56
	ds_read_u8 v54, v57
	ds_read_u8 v55, v60 offset:3
	v_sub_u32_e32 v59, v31, v56
	v_cmp_le_i32_e64 s[16:17], v6, v57
	v_cmp_gt_i32_e64 s[14:15], v7, v59
                                        ; implicit-def: $vgpr56
	s_waitcnt lgkmcnt(0)
	v_cmp_lt_u16_sdwa s[18:19], v55, v54 src0_sel:BYTE_0 src1_sel:BYTE_0
	s_or_b64 s[16:17], s[16:17], s[18:19]
	s_and_b64 s[14:15], s[14:15], s[16:17]
	s_xor_b64 s[16:17], s[14:15], -1
	s_and_saveexec_b64 s[18:19], s[16:17]
	s_xor_b64 s[16:17], exec, s[18:19]
; %bb.7:                                ;   in Loop: Header=BB104_2 Depth=1
	ds_read_u8 v56, v57 offset:1
                                        ; implicit-def: $vgpr60
; %bb.8:                                ;   in Loop: Header=BB104_2 Depth=1
	s_or_saveexec_b64 s[16:17], s[16:17]
	v_mov_b32_e32 v58, v55
	s_xor_b64 exec, exec, s[16:17]
	s_cbranch_execz .LBB104_10
; %bb.9:                                ;   in Loop: Header=BB104_2 Depth=1
	ds_read_u8 v58, v60 offset:4
	s_waitcnt lgkmcnt(1)
	v_mov_b32_e32 v56, v54
.LBB104_10:                             ;   in Loop: Header=BB104_2 Depth=1
	s_or_b64 exec, exec, s[16:17]
	v_add_u32_e32 v61, 1, v57
	v_add_u32_e32 v60, 1, v59
	v_cndmask_b32_e64 v57, v61, v57, s[14:15]
	v_cndmask_b32_e64 v59, v59, v60, s[14:15]
	v_cmp_ge_i32_e64 s[18:19], v57, v6
	s_waitcnt lgkmcnt(0)
	v_cmp_lt_u16_sdwa s[30:31], v58, v56 src0_sel:BYTE_0 src1_sel:BYTE_0
	v_cmp_lt_i32_e64 s[16:17], v59, v7
	s_or_b64 s[18:19], s[18:19], s[30:31]
	s_and_b64 s[16:17], s[16:17], s[18:19]
	s_xor_b64 s[18:19], s[16:17], -1
                                        ; implicit-def: $vgpr60
	s_and_saveexec_b64 s[30:31], s[18:19]
	s_xor_b64 s[18:19], exec, s[30:31]
; %bb.11:                               ;   in Loop: Header=BB104_2 Depth=1
	ds_read_u8 v60, v57 offset:1
; %bb.12:                               ;   in Loop: Header=BB104_2 Depth=1
	s_or_saveexec_b64 s[18:19], s[18:19]
	v_mov_b32_e32 v61, v58
	s_xor_b64 exec, exec, s[18:19]
	s_cbranch_execz .LBB104_14
; %bb.13:                               ;   in Loop: Header=BB104_2 Depth=1
	ds_read_u8 v61, v59 offset:1
	s_waitcnt lgkmcnt(1)
	v_mov_b32_e32 v60, v56
.LBB104_14:                             ;   in Loop: Header=BB104_2 Depth=1
	s_or_b64 exec, exec, s[18:19]
	v_add_u32_e32 v62, 1, v57
	v_cndmask_b32_e64 v56, v56, v58, s[16:17]
	v_add_u32_e32 v58, 1, v59
	v_cndmask_b32_e64 v57, v62, v57, s[16:17]
	v_cndmask_b32_e64 v58, v59, v58, s[16:17]
	v_cmp_ge_i32_e64 s[16:17], v57, v6
	s_waitcnt lgkmcnt(0)
	v_cmp_lt_u16_sdwa s[18:19], v61, v60 src0_sel:BYTE_0 src1_sel:BYTE_0
	v_cndmask_b32_e64 v54, v54, v55, s[14:15]
	v_cmp_lt_i32_e64 s[14:15], v58, v7
	s_or_b64 s[16:17], s[16:17], s[18:19]
	s_and_b64 s[14:15], s[14:15], s[16:17]
	v_cndmask_b32_e64 v55, v60, v61, s[14:15]
	s_barrier
	ds_write_b8 v50, v54
	ds_write_b8 v50, v56 offset:1
	ds_write_b8 v50, v55 offset:2
	v_mov_b32_e32 v56, v32
	s_waitcnt lgkmcnt(0)
	s_barrier
	s_and_saveexec_b64 s[16:17], s[0:1]
	s_cbranch_execz .LBB104_18
; %bb.15:                               ;   in Loop: Header=BB104_2 Depth=1
	s_mov_b64 s[18:19], 0
	v_mov_b32_e32 v56, v32
	v_mov_b32_e32 v54, v18
.LBB104_16:                             ;   Parent Loop BB104_2 Depth=1
                                        ; =>  This Inner Loop Header: Depth=2
	v_sub_u32_e32 v55, v54, v56
	v_lshrrev_b32_e32 v55, 1, v55
	v_add_u32_e32 v55, v55, v56
	v_add_u32_e32 v57, v1, v55
	v_xad_u32 v58, v55, -1, v33
	ds_read_u8 v57, v57
	ds_read_u8 v58, v58 offset:6
	v_add_u32_e32 v59, 1, v55
	s_waitcnt lgkmcnt(0)
	v_cmp_lt_u16_e64 s[14:15], v58, v57
	v_cndmask_b32_e64 v54, v54, v55, s[14:15]
	v_cndmask_b32_e64 v56, v59, v56, s[14:15]
	v_cmp_ge_i32_e64 s[14:15], v56, v54
	s_or_b64 s[18:19], s[14:15], s[18:19]
	s_andn2_b64 exec, exec, s[18:19]
	s_cbranch_execnz .LBB104_16
; %bb.17:                               ;   in Loop: Header=BB104_2 Depth=1
	s_or_b64 exec, exec, s[18:19]
.LBB104_18:                             ;   in Loop: Header=BB104_2 Depth=1
	s_or_b64 exec, exec, s[16:17]
	v_add_u32_e32 v57, v56, v1
	v_sub_u32_e32 v60, v33, v56
	ds_read_u8 v54, v57
	ds_read_u8 v55, v60 offset:6
	v_sub_u32_e32 v59, v34, v56
	v_cmp_le_i32_e64 s[16:17], v8, v57
	v_cmp_gt_i32_e64 s[14:15], v9, v59
                                        ; implicit-def: $vgpr56
	s_waitcnt lgkmcnt(0)
	v_cmp_lt_u16_sdwa s[18:19], v55, v54 src0_sel:BYTE_0 src1_sel:BYTE_0
	s_or_b64 s[16:17], s[16:17], s[18:19]
	s_and_b64 s[14:15], s[14:15], s[16:17]
	s_xor_b64 s[16:17], s[14:15], -1
	s_and_saveexec_b64 s[18:19], s[16:17]
	s_xor_b64 s[16:17], exec, s[18:19]
; %bb.19:                               ;   in Loop: Header=BB104_2 Depth=1
	ds_read_u8 v56, v57 offset:1
                                        ; implicit-def: $vgpr60
; %bb.20:                               ;   in Loop: Header=BB104_2 Depth=1
	s_or_saveexec_b64 s[16:17], s[16:17]
	v_mov_b32_e32 v58, v55
	s_xor_b64 exec, exec, s[16:17]
	s_cbranch_execz .LBB104_22
; %bb.21:                               ;   in Loop: Header=BB104_2 Depth=1
	ds_read_u8 v58, v60 offset:7
	s_waitcnt lgkmcnt(1)
	v_mov_b32_e32 v56, v54
.LBB104_22:                             ;   in Loop: Header=BB104_2 Depth=1
	s_or_b64 exec, exec, s[16:17]
	v_add_u32_e32 v61, 1, v57
	v_add_u32_e32 v60, 1, v59
	v_cndmask_b32_e64 v57, v61, v57, s[14:15]
	v_cndmask_b32_e64 v59, v59, v60, s[14:15]
	v_cmp_ge_i32_e64 s[18:19], v57, v8
	s_waitcnt lgkmcnt(0)
	v_cmp_lt_u16_sdwa s[30:31], v58, v56 src0_sel:BYTE_0 src1_sel:BYTE_0
	v_cmp_lt_i32_e64 s[16:17], v59, v9
	s_or_b64 s[18:19], s[18:19], s[30:31]
	s_and_b64 s[16:17], s[16:17], s[18:19]
	s_xor_b64 s[18:19], s[16:17], -1
                                        ; implicit-def: $vgpr60
	s_and_saveexec_b64 s[30:31], s[18:19]
	s_xor_b64 s[18:19], exec, s[30:31]
; %bb.23:                               ;   in Loop: Header=BB104_2 Depth=1
	ds_read_u8 v60, v57 offset:1
; %bb.24:                               ;   in Loop: Header=BB104_2 Depth=1
	s_or_saveexec_b64 s[18:19], s[18:19]
	v_mov_b32_e32 v61, v58
	s_xor_b64 exec, exec, s[18:19]
	s_cbranch_execz .LBB104_26
; %bb.25:                               ;   in Loop: Header=BB104_2 Depth=1
	ds_read_u8 v61, v59 offset:1
	s_waitcnt lgkmcnt(1)
	v_mov_b32_e32 v60, v56
.LBB104_26:                             ;   in Loop: Header=BB104_2 Depth=1
	s_or_b64 exec, exec, s[18:19]
	v_add_u32_e32 v62, 1, v57
	v_cndmask_b32_e64 v56, v56, v58, s[16:17]
	v_add_u32_e32 v58, 1, v59
	v_cndmask_b32_e64 v57, v62, v57, s[16:17]
	v_cndmask_b32_e64 v58, v59, v58, s[16:17]
	v_cmp_ge_i32_e64 s[16:17], v57, v8
	s_waitcnt lgkmcnt(0)
	v_cmp_lt_u16_sdwa s[18:19], v61, v60 src0_sel:BYTE_0 src1_sel:BYTE_0
	v_cndmask_b32_e64 v54, v54, v55, s[14:15]
	v_cmp_lt_i32_e64 s[14:15], v58, v9
	s_or_b64 s[16:17], s[16:17], s[18:19]
	s_and_b64 s[14:15], s[14:15], s[16:17]
	v_cndmask_b32_e64 v55, v60, v61, s[14:15]
	s_barrier
	ds_write_b8 v50, v54
	ds_write_b8 v50, v56 offset:1
	ds_write_b8 v50, v55 offset:2
	v_mov_b32_e32 v56, v35
	s_waitcnt lgkmcnt(0)
	s_barrier
	s_and_saveexec_b64 s[16:17], s[2:3]
	s_cbranch_execz .LBB104_30
; %bb.27:                               ;   in Loop: Header=BB104_2 Depth=1
	s_mov_b64 s[18:19], 0
	v_mov_b32_e32 v56, v35
	v_mov_b32_e32 v54, v19
.LBB104_28:                             ;   Parent Loop BB104_2 Depth=1
                                        ; =>  This Inner Loop Header: Depth=2
	v_sub_u32_e32 v55, v54, v56
	v_lshrrev_b32_e32 v55, 1, v55
	v_add_u32_e32 v55, v55, v56
	v_add_u32_e32 v57, v2, v55
	v_xad_u32 v58, v55, -1, v36
	ds_read_u8 v57, v57
	ds_read_u8 v58, v58 offset:12
	v_add_u32_e32 v59, 1, v55
	s_waitcnt lgkmcnt(0)
	v_cmp_lt_u16_e64 s[14:15], v58, v57
	v_cndmask_b32_e64 v54, v54, v55, s[14:15]
	v_cndmask_b32_e64 v56, v59, v56, s[14:15]
	v_cmp_ge_i32_e64 s[14:15], v56, v54
	s_or_b64 s[18:19], s[14:15], s[18:19]
	s_andn2_b64 exec, exec, s[18:19]
	s_cbranch_execnz .LBB104_28
; %bb.29:                               ;   in Loop: Header=BB104_2 Depth=1
	s_or_b64 exec, exec, s[18:19]
.LBB104_30:                             ;   in Loop: Header=BB104_2 Depth=1
	s_or_b64 exec, exec, s[16:17]
	v_add_u32_e32 v57, v56, v2
	v_sub_u32_e32 v60, v36, v56
	ds_read_u8 v54, v57
	ds_read_u8 v55, v60 offset:12
	v_sub_u32_e32 v59, v37, v56
	v_cmp_le_i32_e64 s[16:17], v10, v57
	v_cmp_gt_i32_e64 s[14:15], v11, v59
                                        ; implicit-def: $vgpr56
	s_waitcnt lgkmcnt(0)
	v_cmp_lt_u16_sdwa s[18:19], v55, v54 src0_sel:BYTE_0 src1_sel:BYTE_0
	s_or_b64 s[16:17], s[16:17], s[18:19]
	s_and_b64 s[14:15], s[14:15], s[16:17]
	s_xor_b64 s[16:17], s[14:15], -1
	s_and_saveexec_b64 s[18:19], s[16:17]
	s_xor_b64 s[16:17], exec, s[18:19]
; %bb.31:                               ;   in Loop: Header=BB104_2 Depth=1
	ds_read_u8 v56, v57 offset:1
                                        ; implicit-def: $vgpr60
; %bb.32:                               ;   in Loop: Header=BB104_2 Depth=1
	s_or_saveexec_b64 s[16:17], s[16:17]
	v_mov_b32_e32 v58, v55
	s_xor_b64 exec, exec, s[16:17]
	s_cbranch_execz .LBB104_34
; %bb.33:                               ;   in Loop: Header=BB104_2 Depth=1
	ds_read_u8 v58, v60 offset:13
	s_waitcnt lgkmcnt(1)
	v_mov_b32_e32 v56, v54
.LBB104_34:                             ;   in Loop: Header=BB104_2 Depth=1
	s_or_b64 exec, exec, s[16:17]
	v_add_u32_e32 v61, 1, v57
	v_add_u32_e32 v60, 1, v59
	v_cndmask_b32_e64 v57, v61, v57, s[14:15]
	v_cndmask_b32_e64 v59, v59, v60, s[14:15]
	v_cmp_ge_i32_e64 s[18:19], v57, v10
	s_waitcnt lgkmcnt(0)
	v_cmp_lt_u16_sdwa s[30:31], v58, v56 src0_sel:BYTE_0 src1_sel:BYTE_0
	v_cmp_lt_i32_e64 s[16:17], v59, v11
	s_or_b64 s[18:19], s[18:19], s[30:31]
	s_and_b64 s[16:17], s[16:17], s[18:19]
	s_xor_b64 s[18:19], s[16:17], -1
                                        ; implicit-def: $vgpr60
	s_and_saveexec_b64 s[30:31], s[18:19]
	s_xor_b64 s[18:19], exec, s[30:31]
; %bb.35:                               ;   in Loop: Header=BB104_2 Depth=1
	ds_read_u8 v60, v57 offset:1
; %bb.36:                               ;   in Loop: Header=BB104_2 Depth=1
	s_or_saveexec_b64 s[18:19], s[18:19]
	v_mov_b32_e32 v61, v58
	s_xor_b64 exec, exec, s[18:19]
	s_cbranch_execz .LBB104_38
; %bb.37:                               ;   in Loop: Header=BB104_2 Depth=1
	ds_read_u8 v61, v59 offset:1
	s_waitcnt lgkmcnt(1)
	v_mov_b32_e32 v60, v56
.LBB104_38:                             ;   in Loop: Header=BB104_2 Depth=1
	s_or_b64 exec, exec, s[18:19]
	v_add_u32_e32 v62, 1, v57
	v_cndmask_b32_e64 v56, v56, v58, s[16:17]
	v_add_u32_e32 v58, 1, v59
	v_cndmask_b32_e64 v57, v62, v57, s[16:17]
	v_cndmask_b32_e64 v58, v59, v58, s[16:17]
	v_cmp_ge_i32_e64 s[16:17], v57, v10
	s_waitcnt lgkmcnt(0)
	v_cmp_lt_u16_sdwa s[18:19], v61, v60 src0_sel:BYTE_0 src1_sel:BYTE_0
	v_cndmask_b32_e64 v54, v54, v55, s[14:15]
	v_cmp_lt_i32_e64 s[14:15], v58, v11
	s_or_b64 s[16:17], s[16:17], s[18:19]
	s_and_b64 s[14:15], s[14:15], s[16:17]
	v_cndmask_b32_e64 v55, v60, v61, s[14:15]
	s_barrier
	ds_write_b8 v50, v54
	ds_write_b8 v50, v56 offset:1
	ds_write_b8 v50, v55 offset:2
	v_mov_b32_e32 v56, v38
	s_waitcnt lgkmcnt(0)
	s_barrier
	s_and_saveexec_b64 s[16:17], s[4:5]
	s_cbranch_execz .LBB104_42
; %bb.39:                               ;   in Loop: Header=BB104_2 Depth=1
	s_mov_b64 s[18:19], 0
	v_mov_b32_e32 v56, v38
	v_mov_b32_e32 v54, v20
.LBB104_40:                             ;   Parent Loop BB104_2 Depth=1
                                        ; =>  This Inner Loop Header: Depth=2
	v_sub_u32_e32 v55, v54, v56
	v_lshrrev_b32_e32 v55, 1, v55
	v_add_u32_e32 v55, v55, v56
	v_add_u32_e32 v57, v3, v55
	v_xad_u32 v58, v55, -1, v39
	ds_read_u8 v57, v57
	ds_read_u8 v58, v58 offset:24
	v_add_u32_e32 v59, 1, v55
	s_waitcnt lgkmcnt(0)
	v_cmp_lt_u16_e64 s[14:15], v58, v57
	v_cndmask_b32_e64 v54, v54, v55, s[14:15]
	v_cndmask_b32_e64 v56, v59, v56, s[14:15]
	v_cmp_ge_i32_e64 s[14:15], v56, v54
	s_or_b64 s[18:19], s[14:15], s[18:19]
	s_andn2_b64 exec, exec, s[18:19]
	s_cbranch_execnz .LBB104_40
; %bb.41:                               ;   in Loop: Header=BB104_2 Depth=1
	s_or_b64 exec, exec, s[18:19]
.LBB104_42:                             ;   in Loop: Header=BB104_2 Depth=1
	s_or_b64 exec, exec, s[16:17]
	v_add_u32_e32 v57, v56, v3
	v_sub_u32_e32 v60, v39, v56
	ds_read_u8 v54, v57
	ds_read_u8 v55, v60 offset:24
	v_sub_u32_e32 v59, v40, v56
	v_cmp_le_i32_e64 s[16:17], v13, v57
	v_cmp_gt_i32_e64 s[14:15], v12, v59
                                        ; implicit-def: $vgpr56
	s_waitcnt lgkmcnt(0)
	v_cmp_lt_u16_sdwa s[18:19], v55, v54 src0_sel:BYTE_0 src1_sel:BYTE_0
	s_or_b64 s[16:17], s[16:17], s[18:19]
	s_and_b64 s[14:15], s[14:15], s[16:17]
	s_xor_b64 s[16:17], s[14:15], -1
	s_and_saveexec_b64 s[18:19], s[16:17]
	s_xor_b64 s[16:17], exec, s[18:19]
; %bb.43:                               ;   in Loop: Header=BB104_2 Depth=1
	ds_read_u8 v56, v57 offset:1
                                        ; implicit-def: $vgpr60
; %bb.44:                               ;   in Loop: Header=BB104_2 Depth=1
	s_or_saveexec_b64 s[16:17], s[16:17]
	v_mov_b32_e32 v58, v55
	s_xor_b64 exec, exec, s[16:17]
	s_cbranch_execz .LBB104_46
; %bb.45:                               ;   in Loop: Header=BB104_2 Depth=1
	ds_read_u8 v58, v60 offset:25
	s_waitcnt lgkmcnt(1)
	v_mov_b32_e32 v56, v54
.LBB104_46:                             ;   in Loop: Header=BB104_2 Depth=1
	s_or_b64 exec, exec, s[16:17]
	v_add_u32_e32 v61, 1, v57
	v_add_u32_e32 v60, 1, v59
	v_cndmask_b32_e64 v57, v61, v57, s[14:15]
	v_cndmask_b32_e64 v59, v59, v60, s[14:15]
	v_cmp_ge_i32_e64 s[18:19], v57, v13
	s_waitcnt lgkmcnt(0)
	v_cmp_lt_u16_sdwa s[30:31], v58, v56 src0_sel:BYTE_0 src1_sel:BYTE_0
	v_cmp_lt_i32_e64 s[16:17], v59, v12
	s_or_b64 s[18:19], s[18:19], s[30:31]
	s_and_b64 s[16:17], s[16:17], s[18:19]
	s_xor_b64 s[18:19], s[16:17], -1
                                        ; implicit-def: $vgpr60
	s_and_saveexec_b64 s[30:31], s[18:19]
	s_xor_b64 s[18:19], exec, s[30:31]
; %bb.47:                               ;   in Loop: Header=BB104_2 Depth=1
	ds_read_u8 v60, v57 offset:1
; %bb.48:                               ;   in Loop: Header=BB104_2 Depth=1
	s_or_saveexec_b64 s[18:19], s[18:19]
	v_mov_b32_e32 v61, v58
	s_xor_b64 exec, exec, s[18:19]
	s_cbranch_execz .LBB104_50
; %bb.49:                               ;   in Loop: Header=BB104_2 Depth=1
	ds_read_u8 v61, v59 offset:1
	s_waitcnt lgkmcnt(1)
	v_mov_b32_e32 v60, v56
.LBB104_50:                             ;   in Loop: Header=BB104_2 Depth=1
	s_or_b64 exec, exec, s[18:19]
	v_add_u32_e32 v62, 1, v57
	v_cndmask_b32_e64 v56, v56, v58, s[16:17]
	v_add_u32_e32 v58, 1, v59
	v_cndmask_b32_e64 v57, v62, v57, s[16:17]
	v_cndmask_b32_e64 v58, v59, v58, s[16:17]
	v_cmp_ge_i32_e64 s[16:17], v57, v13
	s_waitcnt lgkmcnt(0)
	v_cmp_lt_u16_sdwa s[18:19], v61, v60 src0_sel:BYTE_0 src1_sel:BYTE_0
	v_cndmask_b32_e64 v54, v54, v55, s[14:15]
	v_cmp_lt_i32_e64 s[14:15], v58, v12
	s_or_b64 s[16:17], s[16:17], s[18:19]
	s_and_b64 s[14:15], s[14:15], s[16:17]
	v_cndmask_b32_e64 v55, v60, v61, s[14:15]
	s_barrier
	ds_write_b8 v50, v54
	ds_write_b8 v50, v56 offset:1
	ds_write_b8 v50, v55 offset:2
	v_mov_b32_e32 v56, v41
	s_waitcnt lgkmcnt(0)
	s_barrier
	s_and_saveexec_b64 s[16:17], s[6:7]
	s_cbranch_execz .LBB104_54
; %bb.51:                               ;   in Loop: Header=BB104_2 Depth=1
	s_mov_b64 s[18:19], 0
	v_mov_b32_e32 v56, v41
	v_mov_b32_e32 v54, v21
.LBB104_52:                             ;   Parent Loop BB104_2 Depth=1
                                        ; =>  This Inner Loop Header: Depth=2
	v_sub_u32_e32 v55, v54, v56
	v_lshrrev_b32_e32 v55, 1, v55
	v_add_u32_e32 v55, v55, v56
	v_add_u32_e32 v57, v4, v55
	v_xad_u32 v58, v55, -1, v42
	ds_read_u8 v57, v57
	ds_read_u8 v58, v58 offset:48
	v_add_u32_e32 v59, 1, v55
	s_waitcnt lgkmcnt(0)
	v_cmp_lt_u16_e64 s[14:15], v58, v57
	v_cndmask_b32_e64 v54, v54, v55, s[14:15]
	v_cndmask_b32_e64 v56, v59, v56, s[14:15]
	v_cmp_ge_i32_e64 s[14:15], v56, v54
	s_or_b64 s[18:19], s[14:15], s[18:19]
	s_andn2_b64 exec, exec, s[18:19]
	s_cbranch_execnz .LBB104_52
; %bb.53:                               ;   in Loop: Header=BB104_2 Depth=1
	s_or_b64 exec, exec, s[18:19]
.LBB104_54:                             ;   in Loop: Header=BB104_2 Depth=1
	s_or_b64 exec, exec, s[16:17]
	v_add_u32_e32 v57, v56, v4
	v_sub_u32_e32 v60, v42, v56
	ds_read_u8 v54, v57
	ds_read_u8 v55, v60 offset:48
	v_sub_u32_e32 v59, v43, v56
	v_cmp_le_i32_e64 s[16:17], v15, v57
	v_cmp_gt_i32_e64 s[14:15], v14, v59
                                        ; implicit-def: $vgpr56
	s_waitcnt lgkmcnt(0)
	v_cmp_lt_u16_sdwa s[18:19], v55, v54 src0_sel:BYTE_0 src1_sel:BYTE_0
	s_or_b64 s[16:17], s[16:17], s[18:19]
	s_and_b64 s[14:15], s[14:15], s[16:17]
	s_xor_b64 s[16:17], s[14:15], -1
	s_and_saveexec_b64 s[18:19], s[16:17]
	s_xor_b64 s[16:17], exec, s[18:19]
; %bb.55:                               ;   in Loop: Header=BB104_2 Depth=1
	ds_read_u8 v56, v57 offset:1
                                        ; implicit-def: $vgpr60
; %bb.56:                               ;   in Loop: Header=BB104_2 Depth=1
	s_or_saveexec_b64 s[16:17], s[16:17]
	v_mov_b32_e32 v58, v55
	s_xor_b64 exec, exec, s[16:17]
	s_cbranch_execz .LBB104_58
; %bb.57:                               ;   in Loop: Header=BB104_2 Depth=1
	ds_read_u8 v58, v60 offset:49
	s_waitcnt lgkmcnt(1)
	v_mov_b32_e32 v56, v54
.LBB104_58:                             ;   in Loop: Header=BB104_2 Depth=1
	s_or_b64 exec, exec, s[16:17]
	v_add_u32_e32 v61, 1, v57
	v_add_u32_e32 v60, 1, v59
	v_cndmask_b32_e64 v57, v61, v57, s[14:15]
	v_cndmask_b32_e64 v59, v59, v60, s[14:15]
	v_cmp_ge_i32_e64 s[18:19], v57, v15
	s_waitcnt lgkmcnt(0)
	v_cmp_lt_u16_sdwa s[30:31], v58, v56 src0_sel:BYTE_0 src1_sel:BYTE_0
	v_cmp_lt_i32_e64 s[16:17], v59, v14
	s_or_b64 s[18:19], s[18:19], s[30:31]
	s_and_b64 s[16:17], s[16:17], s[18:19]
	s_xor_b64 s[18:19], s[16:17], -1
                                        ; implicit-def: $vgpr60
	s_and_saveexec_b64 s[30:31], s[18:19]
	s_xor_b64 s[18:19], exec, s[30:31]
; %bb.59:                               ;   in Loop: Header=BB104_2 Depth=1
	ds_read_u8 v60, v57 offset:1
; %bb.60:                               ;   in Loop: Header=BB104_2 Depth=1
	s_or_saveexec_b64 s[18:19], s[18:19]
	v_mov_b32_e32 v61, v58
	s_xor_b64 exec, exec, s[18:19]
	s_cbranch_execz .LBB104_62
; %bb.61:                               ;   in Loop: Header=BB104_2 Depth=1
	ds_read_u8 v61, v59 offset:1
	s_waitcnt lgkmcnt(1)
	v_mov_b32_e32 v60, v56
.LBB104_62:                             ;   in Loop: Header=BB104_2 Depth=1
	s_or_b64 exec, exec, s[18:19]
	v_add_u32_e32 v62, 1, v57
	v_cndmask_b32_e64 v56, v56, v58, s[16:17]
	v_add_u32_e32 v58, 1, v59
	v_cndmask_b32_e64 v57, v62, v57, s[16:17]
	v_cndmask_b32_e64 v58, v59, v58, s[16:17]
	v_cmp_ge_i32_e64 s[16:17], v57, v15
	s_waitcnt lgkmcnt(0)
	v_cmp_lt_u16_sdwa s[18:19], v61, v60 src0_sel:BYTE_0 src1_sel:BYTE_0
	v_cndmask_b32_e64 v54, v54, v55, s[14:15]
	v_cmp_lt_i32_e64 s[14:15], v58, v14
	s_or_b64 s[16:17], s[16:17], s[18:19]
	s_and_b64 s[14:15], s[14:15], s[16:17]
	v_cndmask_b32_e64 v55, v60, v61, s[14:15]
	s_barrier
	ds_write_b8 v50, v54
	ds_write_b8 v50, v56 offset:1
	ds_write_b8 v50, v55 offset:2
	v_mov_b32_e32 v56, v44
	s_waitcnt lgkmcnt(0)
	s_barrier
	s_and_saveexec_b64 s[16:17], s[8:9]
	s_cbranch_execz .LBB104_66
; %bb.63:                               ;   in Loop: Header=BB104_2 Depth=1
	s_mov_b64 s[18:19], 0
	v_mov_b32_e32 v56, v44
	v_mov_b32_e32 v54, v22
.LBB104_64:                             ;   Parent Loop BB104_2 Depth=1
                                        ; =>  This Inner Loop Header: Depth=2
	v_sub_u32_e32 v55, v54, v56
	v_lshrrev_b32_e32 v55, 1, v55
	v_add_u32_e32 v55, v55, v56
	v_add_u32_e32 v57, v5, v55
	v_xad_u32 v58, v55, -1, v45
	ds_read_u8 v57, v57
	ds_read_u8 v58, v58 offset:96
	v_add_u32_e32 v59, 1, v55
	s_waitcnt lgkmcnt(0)
	v_cmp_lt_u16_e64 s[14:15], v58, v57
	v_cndmask_b32_e64 v54, v54, v55, s[14:15]
	v_cndmask_b32_e64 v56, v59, v56, s[14:15]
	v_cmp_ge_i32_e64 s[14:15], v56, v54
	s_or_b64 s[18:19], s[14:15], s[18:19]
	s_andn2_b64 exec, exec, s[18:19]
	s_cbranch_execnz .LBB104_64
; %bb.65:                               ;   in Loop: Header=BB104_2 Depth=1
	s_or_b64 exec, exec, s[18:19]
.LBB104_66:                             ;   in Loop: Header=BB104_2 Depth=1
	s_or_b64 exec, exec, s[16:17]
	v_add_u32_e32 v57, v56, v5
	v_sub_u32_e32 v60, v45, v56
	ds_read_u8 v54, v57
	ds_read_u8 v55, v60 offset:96
	v_sub_u32_e32 v59, v46, v56
	v_cmp_le_i32_e64 s[16:17], v17, v57
	v_cmp_gt_i32_e64 s[14:15], v16, v59
                                        ; implicit-def: $vgpr56
	s_waitcnt lgkmcnt(0)
	v_cmp_lt_u16_sdwa s[18:19], v55, v54 src0_sel:BYTE_0 src1_sel:BYTE_0
	s_or_b64 s[16:17], s[16:17], s[18:19]
	s_and_b64 s[14:15], s[14:15], s[16:17]
	s_xor_b64 s[16:17], s[14:15], -1
	s_and_saveexec_b64 s[18:19], s[16:17]
	s_xor_b64 s[16:17], exec, s[18:19]
; %bb.67:                               ;   in Loop: Header=BB104_2 Depth=1
	ds_read_u8 v56, v57 offset:1
                                        ; implicit-def: $vgpr60
; %bb.68:                               ;   in Loop: Header=BB104_2 Depth=1
	s_or_saveexec_b64 s[16:17], s[16:17]
	v_mov_b32_e32 v58, v55
	s_xor_b64 exec, exec, s[16:17]
	s_cbranch_execz .LBB104_70
; %bb.69:                               ;   in Loop: Header=BB104_2 Depth=1
	ds_read_u8 v58, v60 offset:97
	s_waitcnt lgkmcnt(1)
	v_mov_b32_e32 v56, v54
.LBB104_70:                             ;   in Loop: Header=BB104_2 Depth=1
	s_or_b64 exec, exec, s[16:17]
	v_add_u32_e32 v61, 1, v57
	v_add_u32_e32 v60, 1, v59
	v_cndmask_b32_e64 v57, v61, v57, s[14:15]
	v_cndmask_b32_e64 v59, v59, v60, s[14:15]
	v_cmp_ge_i32_e64 s[18:19], v57, v17
	s_waitcnt lgkmcnt(0)
	v_cmp_lt_u16_sdwa s[30:31], v58, v56 src0_sel:BYTE_0 src1_sel:BYTE_0
	v_cmp_lt_i32_e64 s[16:17], v59, v16
	s_or_b64 s[18:19], s[18:19], s[30:31]
	s_and_b64 s[16:17], s[16:17], s[18:19]
	s_xor_b64 s[18:19], s[16:17], -1
                                        ; implicit-def: $vgpr60
	s_and_saveexec_b64 s[30:31], s[18:19]
	s_xor_b64 s[18:19], exec, s[30:31]
; %bb.71:                               ;   in Loop: Header=BB104_2 Depth=1
	ds_read_u8 v60, v57 offset:1
; %bb.72:                               ;   in Loop: Header=BB104_2 Depth=1
	s_or_saveexec_b64 s[18:19], s[18:19]
	v_mov_b32_e32 v61, v58
	s_xor_b64 exec, exec, s[18:19]
	s_cbranch_execz .LBB104_74
; %bb.73:                               ;   in Loop: Header=BB104_2 Depth=1
	ds_read_u8 v61, v59 offset:1
	s_waitcnt lgkmcnt(1)
	v_mov_b32_e32 v60, v56
.LBB104_74:                             ;   in Loop: Header=BB104_2 Depth=1
	s_or_b64 exec, exec, s[18:19]
	v_add_u32_e32 v62, 1, v57
	v_cndmask_b32_e64 v56, v56, v58, s[16:17]
	v_add_u32_e32 v58, 1, v59
	v_cndmask_b32_e64 v57, v62, v57, s[16:17]
	v_cndmask_b32_e64 v58, v59, v58, s[16:17]
	v_cmp_ge_i32_e64 s[16:17], v57, v17
	s_waitcnt lgkmcnt(0)
	v_cmp_lt_u16_sdwa s[18:19], v61, v60 src0_sel:BYTE_0 src1_sel:BYTE_0
	v_cndmask_b32_e64 v54, v54, v55, s[14:15]
	v_cmp_lt_i32_e64 s[14:15], v58, v16
	s_or_b64 s[16:17], s[16:17], s[18:19]
	s_and_b64 s[14:15], s[14:15], s[16:17]
	v_cndmask_b32_e64 v55, v60, v61, s[14:15]
	s_barrier
	ds_write_b8 v50, v54
	ds_write_b8 v50, v56 offset:1
	ds_write_b8 v50, v55 offset:2
	v_mov_b32_e32 v56, v47
	s_waitcnt lgkmcnt(0)
	s_barrier
	s_and_saveexec_b64 s[16:17], s[10:11]
	s_cbranch_execz .LBB104_78
; %bb.75:                               ;   in Loop: Header=BB104_2 Depth=1
	s_mov_b64 s[18:19], 0
	v_mov_b32_e32 v56, v47
	v_mov_b32_e32 v54, v26
.LBB104_76:                             ;   Parent Loop BB104_2 Depth=1
                                        ; =>  This Inner Loop Header: Depth=2
	v_sub_u32_e32 v55, v54, v56
	v_lshrrev_b32_e32 v55, 1, v55
	v_add_u32_e32 v55, v55, v56
	v_add_u32_e32 v57, v25, v55
	v_xad_u32 v58, v55, -1, v48
	ds_read_u8 v57, v57
	ds_read_u8 v58, v58 offset:192
	v_add_u32_e32 v59, 1, v55
	s_waitcnt lgkmcnt(0)
	v_cmp_lt_u16_e64 s[14:15], v58, v57
	v_cndmask_b32_e64 v54, v54, v55, s[14:15]
	v_cndmask_b32_e64 v56, v59, v56, s[14:15]
	v_cmp_ge_i32_e64 s[14:15], v56, v54
	s_or_b64 s[18:19], s[14:15], s[18:19]
	s_andn2_b64 exec, exec, s[18:19]
	s_cbranch_execnz .LBB104_76
; %bb.77:                               ;   in Loop: Header=BB104_2 Depth=1
	s_or_b64 exec, exec, s[18:19]
.LBB104_78:                             ;   in Loop: Header=BB104_2 Depth=1
	s_or_b64 exec, exec, s[16:17]
	v_add_u32_e32 v57, v56, v25
	v_sub_u32_e32 v60, v48, v56
	ds_read_u8 v54, v57
	ds_read_u8 v55, v60 offset:192
	v_sub_u32_e32 v59, v49, v56
	v_cmp_le_i32_e64 s[16:17], v24, v57
	v_cmp_gt_i32_e64 s[14:15], v23, v59
                                        ; implicit-def: $vgpr56
	s_waitcnt lgkmcnt(0)
	v_cmp_lt_u16_sdwa s[18:19], v55, v54 src0_sel:BYTE_0 src1_sel:BYTE_0
	s_or_b64 s[16:17], s[16:17], s[18:19]
	s_and_b64 s[14:15], s[14:15], s[16:17]
	s_xor_b64 s[16:17], s[14:15], -1
	s_and_saveexec_b64 s[18:19], s[16:17]
	s_xor_b64 s[16:17], exec, s[18:19]
; %bb.79:                               ;   in Loop: Header=BB104_2 Depth=1
	ds_read_u8 v56, v57 offset:1
                                        ; implicit-def: $vgpr60
; %bb.80:                               ;   in Loop: Header=BB104_2 Depth=1
	s_or_saveexec_b64 s[16:17], s[16:17]
	v_mov_b32_e32 v58, v55
	s_xor_b64 exec, exec, s[16:17]
	s_cbranch_execz .LBB104_82
; %bb.81:                               ;   in Loop: Header=BB104_2 Depth=1
	ds_read_u8 v58, v60 offset:193
	s_waitcnt lgkmcnt(1)
	v_mov_b32_e32 v56, v54
.LBB104_82:                             ;   in Loop: Header=BB104_2 Depth=1
	s_or_b64 exec, exec, s[16:17]
	v_add_u32_e32 v61, 1, v57
	v_add_u32_e32 v60, 1, v59
	v_cndmask_b32_e64 v57, v61, v57, s[14:15]
	v_cndmask_b32_e64 v59, v59, v60, s[14:15]
	v_cmp_ge_i32_e64 s[18:19], v57, v24
	s_waitcnt lgkmcnt(0)
	v_cmp_lt_u16_sdwa s[30:31], v58, v56 src0_sel:BYTE_0 src1_sel:BYTE_0
	v_cmp_lt_i32_e64 s[16:17], v59, v23
	s_or_b64 s[18:19], s[18:19], s[30:31]
	s_and_b64 s[16:17], s[16:17], s[18:19]
	s_xor_b64 s[18:19], s[16:17], -1
                                        ; implicit-def: $vgpr60
	s_and_saveexec_b64 s[30:31], s[18:19]
	s_xor_b64 s[18:19], exec, s[30:31]
; %bb.83:                               ;   in Loop: Header=BB104_2 Depth=1
	ds_read_u8 v60, v57 offset:1
; %bb.84:                               ;   in Loop: Header=BB104_2 Depth=1
	s_or_saveexec_b64 s[18:19], s[18:19]
	v_mov_b32_e32 v61, v58
	s_xor_b64 exec, exec, s[18:19]
	s_cbranch_execz .LBB104_86
; %bb.85:                               ;   in Loop: Header=BB104_2 Depth=1
	ds_read_u8 v61, v59 offset:1
	s_waitcnt lgkmcnt(1)
	v_mov_b32_e32 v60, v56
.LBB104_86:                             ;   in Loop: Header=BB104_2 Depth=1
	s_or_b64 exec, exec, s[18:19]
	v_add_u32_e32 v62, 1, v57
	v_cndmask_b32_e64 v56, v56, v58, s[16:17]
	v_add_u32_e32 v58, 1, v59
	v_cndmask_b32_e64 v57, v62, v57, s[16:17]
	v_cndmask_b32_e64 v58, v59, v58, s[16:17]
	v_cmp_ge_i32_e64 s[16:17], v57, v24
	s_waitcnt lgkmcnt(0)
	v_cmp_lt_u16_sdwa s[18:19], v61, v60 src0_sel:BYTE_0 src1_sel:BYTE_0
	v_cndmask_b32_e64 v54, v54, v55, s[14:15]
	v_cmp_lt_i32_e64 s[14:15], v58, v23
	s_or_b64 s[16:17], s[16:17], s[18:19]
	s_and_b64 s[14:15], s[14:15], s[16:17]
	v_cndmask_b32_e64 v55, v60, v61, s[14:15]
	s_barrier
	ds_write_b8 v50, v54
	ds_write_b8 v50, v56 offset:1
	ds_write_b8 v50, v55 offset:2
	v_mov_b32_e32 v56, v52
	s_waitcnt lgkmcnt(0)
	s_barrier
	s_and_saveexec_b64 s[16:17], s[12:13]
	s_cbranch_execz .LBB104_90
; %bb.87:                               ;   in Loop: Header=BB104_2 Depth=1
	s_mov_b64 s[18:19], 0
	v_mov_b32_e32 v56, v52
	v_mov_b32_e32 v54, v53
.LBB104_88:                             ;   Parent Loop BB104_2 Depth=1
                                        ; =>  This Inner Loop Header: Depth=2
	v_sub_u32_e32 v55, v54, v56
	v_lshrrev_b32_e32 v55, 1, v55
	v_add_u32_e32 v55, v55, v56
	v_xad_u32 v57, v55, -1, v50
	ds_read_u8 v58, v55
	ds_read_u8 v57, v57 offset:384
	v_add_u32_e32 v59, 1, v55
	s_waitcnt lgkmcnt(0)
	v_cmp_lt_u16_e64 s[14:15], v57, v58
	v_cndmask_b32_e64 v54, v54, v55, s[14:15]
	v_cndmask_b32_e64 v56, v59, v56, s[14:15]
	v_cmp_ge_i32_e64 s[14:15], v56, v54
	s_or_b64 s[18:19], s[14:15], s[18:19]
	s_andn2_b64 exec, exec, s[18:19]
	s_cbranch_execnz .LBB104_88
; %bb.89:                               ;   in Loop: Header=BB104_2 Depth=1
	s_or_b64 exec, exec, s[18:19]
.LBB104_90:                             ;   in Loop: Header=BB104_2 Depth=1
	s_or_b64 exec, exec, s[16:17]
	v_sub_u32_e32 v60, v50, v56
	ds_read_u8 v54, v56
	ds_read_u8 v55, v60 offset:384
	v_mad_u32_u24 v57, v0, 3, v51
	v_sub_u32_e32 v59, v57, v56
	v_cmp_le_i32_e64 s[16:17], v51, v56
	v_cmp_gt_i32_e64 s[14:15], s20, v59
	s_waitcnt lgkmcnt(0)
	v_cmp_lt_u16_sdwa s[18:19], v55, v54 src0_sel:BYTE_0 src1_sel:BYTE_0
	s_or_b64 s[16:17], s[16:17], s[18:19]
	s_and_b64 s[14:15], s[14:15], s[16:17]
	s_xor_b64 s[16:17], s[14:15], -1
                                        ; implicit-def: $vgpr57
	s_and_saveexec_b64 s[18:19], s[16:17]
	s_xor_b64 s[16:17], exec, s[18:19]
; %bb.91:                               ;   in Loop: Header=BB104_2 Depth=1
	ds_read_u8 v57, v56 offset:1
                                        ; implicit-def: $vgpr60
; %bb.92:                               ;   in Loop: Header=BB104_2 Depth=1
	s_or_saveexec_b64 s[16:17], s[16:17]
	v_mov_b32_e32 v58, v55
	s_xor_b64 exec, exec, s[16:17]
	s_cbranch_execz .LBB104_94
; %bb.93:                               ;   in Loop: Header=BB104_2 Depth=1
	ds_read_u8 v58, v60 offset:385
	s_waitcnt lgkmcnt(1)
	v_mov_b32_e32 v57, v54
.LBB104_94:                             ;   in Loop: Header=BB104_2 Depth=1
	s_or_b64 exec, exec, s[16:17]
	v_add_u32_e32 v61, 1, v56
	v_add_u32_e32 v60, 1, v59
	v_cndmask_b32_e64 v61, v61, v56, s[14:15]
	v_cndmask_b32_e64 v59, v59, v60, s[14:15]
	v_cmp_ge_i32_e64 s[18:19], v61, v51
	s_waitcnt lgkmcnt(0)
	v_cmp_lt_u16_sdwa s[30:31], v58, v57 src0_sel:BYTE_0 src1_sel:BYTE_0
	v_cmp_gt_i32_e64 s[16:17], s20, v59
	s_or_b64 s[18:19], s[18:19], s[30:31]
	s_and_b64 s[16:17], s[16:17], s[18:19]
	s_xor_b64 s[18:19], s[16:17], -1
                                        ; implicit-def: $vgpr56
                                        ; implicit-def: $vgpr60
	s_and_saveexec_b64 s[30:31], s[18:19]
	s_xor_b64 s[18:19], exec, s[30:31]
; %bb.95:                               ;   in Loop: Header=BB104_2 Depth=1
	ds_read_u8 v56, v61 offset:1
	v_add_u32_e32 v60, 1, v61
                                        ; implicit-def: $vgpr61
; %bb.96:                               ;   in Loop: Header=BB104_2 Depth=1
	s_or_saveexec_b64 s[18:19], s[18:19]
	v_mov_b32_e32 v62, v58
	s_xor_b64 exec, exec, s[18:19]
	s_cbranch_execz .LBB104_1
; %bb.97:                               ;   in Loop: Header=BB104_2 Depth=1
	ds_read_u8 v62, v59 offset:1
	v_add_u32_e32 v59, 1, v59
	v_mov_b32_e32 v60, v61
	s_waitcnt lgkmcnt(1)
	v_mov_b32_e32 v56, v57
	s_branch .LBB104_1
.LBB104_98:
	s_add_u32 s0, s22, s24
	s_addc_u32 s1, s23, 0
	v_mov_b32_e32 v1, s1
	v_add_co_u32_e32 v0, vcc, s0, v0
	v_addc_co_u32_e32 v1, vcc, 0, v1, vcc
	global_store_byte v[0:1], v55, off
	global_store_byte v[0:1], v57, off offset:256
	global_store_byte v[0:1], v56, off offset:512
	s_endpgm
	.section	.rodata,"a",@progbits
	.p2align	6, 0x0
	.amdhsa_kernel _Z16sort_keys_kernelIhLj256ELj3EN10test_utils4lessELj10EEvPKT_PS2_T2_
		.amdhsa_group_segment_fixed_size 769
		.amdhsa_private_segment_fixed_size 0
		.amdhsa_kernarg_size 20
		.amdhsa_user_sgpr_count 6
		.amdhsa_user_sgpr_private_segment_buffer 1
		.amdhsa_user_sgpr_dispatch_ptr 0
		.amdhsa_user_sgpr_queue_ptr 0
		.amdhsa_user_sgpr_kernarg_segment_ptr 1
		.amdhsa_user_sgpr_dispatch_id 0
		.amdhsa_user_sgpr_flat_scratch_init 0
		.amdhsa_user_sgpr_private_segment_size 0
		.amdhsa_uses_dynamic_stack 0
		.amdhsa_system_sgpr_private_segment_wavefront_offset 0
		.amdhsa_system_sgpr_workgroup_id_x 1
		.amdhsa_system_sgpr_workgroup_id_y 0
		.amdhsa_system_sgpr_workgroup_id_z 0
		.amdhsa_system_sgpr_workgroup_info 0
		.amdhsa_system_vgpr_workitem_id 0
		.amdhsa_next_free_vgpr 63
		.amdhsa_next_free_sgpr 32
		.amdhsa_reserve_vcc 1
		.amdhsa_reserve_flat_scratch 0
		.amdhsa_float_round_mode_32 0
		.amdhsa_float_round_mode_16_64 0
		.amdhsa_float_denorm_mode_32 3
		.amdhsa_float_denorm_mode_16_64 3
		.amdhsa_dx10_clamp 1
		.amdhsa_ieee_mode 1
		.amdhsa_fp16_overflow 0
		.amdhsa_exception_fp_ieee_invalid_op 0
		.amdhsa_exception_fp_denorm_src 0
		.amdhsa_exception_fp_ieee_div_zero 0
		.amdhsa_exception_fp_ieee_overflow 0
		.amdhsa_exception_fp_ieee_underflow 0
		.amdhsa_exception_fp_ieee_inexact 0
		.amdhsa_exception_int_div_zero 0
	.end_amdhsa_kernel
	.section	.text._Z16sort_keys_kernelIhLj256ELj3EN10test_utils4lessELj10EEvPKT_PS2_T2_,"axG",@progbits,_Z16sort_keys_kernelIhLj256ELj3EN10test_utils4lessELj10EEvPKT_PS2_T2_,comdat
.Lfunc_end104:
	.size	_Z16sort_keys_kernelIhLj256ELj3EN10test_utils4lessELj10EEvPKT_PS2_T2_, .Lfunc_end104-_Z16sort_keys_kernelIhLj256ELj3EN10test_utils4lessELj10EEvPKT_PS2_T2_
                                        ; -- End function
	.set _Z16sort_keys_kernelIhLj256ELj3EN10test_utils4lessELj10EEvPKT_PS2_T2_.num_vgpr, 63
	.set _Z16sort_keys_kernelIhLj256ELj3EN10test_utils4lessELj10EEvPKT_PS2_T2_.num_agpr, 0
	.set _Z16sort_keys_kernelIhLj256ELj3EN10test_utils4lessELj10EEvPKT_PS2_T2_.numbered_sgpr, 32
	.set _Z16sort_keys_kernelIhLj256ELj3EN10test_utils4lessELj10EEvPKT_PS2_T2_.num_named_barrier, 0
	.set _Z16sort_keys_kernelIhLj256ELj3EN10test_utils4lessELj10EEvPKT_PS2_T2_.private_seg_size, 0
	.set _Z16sort_keys_kernelIhLj256ELj3EN10test_utils4lessELj10EEvPKT_PS2_T2_.uses_vcc, 1
	.set _Z16sort_keys_kernelIhLj256ELj3EN10test_utils4lessELj10EEvPKT_PS2_T2_.uses_flat_scratch, 0
	.set _Z16sort_keys_kernelIhLj256ELj3EN10test_utils4lessELj10EEvPKT_PS2_T2_.has_dyn_sized_stack, 0
	.set _Z16sort_keys_kernelIhLj256ELj3EN10test_utils4lessELj10EEvPKT_PS2_T2_.has_recursion, 0
	.set _Z16sort_keys_kernelIhLj256ELj3EN10test_utils4lessELj10EEvPKT_PS2_T2_.has_indirect_call, 0
	.section	.AMDGPU.csdata,"",@progbits
; Kernel info:
; codeLenInByte = 5004
; TotalNumSgprs: 36
; NumVgprs: 63
; ScratchSize: 0
; MemoryBound: 0
; FloatMode: 240
; IeeeMode: 1
; LDSByteSize: 769 bytes/workgroup (compile time only)
; SGPRBlocks: 4
; VGPRBlocks: 15
; NumSGPRsForWavesPerEU: 36
; NumVGPRsForWavesPerEU: 63
; Occupancy: 4
; WaveLimiterHint : 1
; COMPUTE_PGM_RSRC2:SCRATCH_EN: 0
; COMPUTE_PGM_RSRC2:USER_SGPR: 6
; COMPUTE_PGM_RSRC2:TRAP_HANDLER: 0
; COMPUTE_PGM_RSRC2:TGID_X_EN: 1
; COMPUTE_PGM_RSRC2:TGID_Y_EN: 0
; COMPUTE_PGM_RSRC2:TGID_Z_EN: 0
; COMPUTE_PGM_RSRC2:TIDIG_COMP_CNT: 0
	.section	.text._Z17sort_pairs_kernelIhLj256ELj3EN10test_utils4lessELj10EEvPKT_PS2_T2_,"axG",@progbits,_Z17sort_pairs_kernelIhLj256ELj3EN10test_utils4lessELj10EEvPKT_PS2_T2_,comdat
	.protected	_Z17sort_pairs_kernelIhLj256ELj3EN10test_utils4lessELj10EEvPKT_PS2_T2_ ; -- Begin function _Z17sort_pairs_kernelIhLj256ELj3EN10test_utils4lessELj10EEvPKT_PS2_T2_
	.globl	_Z17sort_pairs_kernelIhLj256ELj3EN10test_utils4lessELj10EEvPKT_PS2_T2_
	.p2align	8
	.type	_Z17sort_pairs_kernelIhLj256ELj3EN10test_utils4lessELj10EEvPKT_PS2_T2_,@function
_Z17sort_pairs_kernelIhLj256ELj3EN10test_utils4lessELj10EEvPKT_PS2_T2_: ; @_Z17sort_pairs_kernelIhLj256ELj3EN10test_utils4lessELj10EEvPKT_PS2_T2_
; %bb.0:
	s_load_dwordx4 s[24:27], s[4:5], 0x0
	s_mul_i32 s28, s6, 0x300
	s_mov_b32 s29, 0xc0c0004
	v_and_b32_e32 v1, 0xfe, v0
	v_and_b32_e32 v2, 1, v0
	s_waitcnt lgkmcnt(0)
	s_add_u32 s0, s24, s28
	s_addc_u32 s1, s25, 0
	global_load_ubyte v27, v0, s[0:1]
	global_load_ubyte v28, v0, s[0:1] offset:256
	global_load_ubyte v29, v0, s[0:1] offset:512
	v_and_b32_e32 v3, 0xfc, v0
	v_and_b32_e32 v4, 0xf8, v0
	;; [unrolled: 1-line block ×5, first 2 shown]
	v_mul_u32_u24_e32 v30, 3, v1
	v_cmp_eq_u32_e32 vcc, 1, v2
	v_mul_u32_u24_e32 v2, 3, v3
	v_mul_u32_u24_e32 v3, 3, v4
	;; [unrolled: 1-line block ×5, first 2 shown]
	v_min_u32_e32 v33, 0x2fd, v30
	v_min_u32_e32 v7, 0x2fa, v30
	;; [unrolled: 1-line block ×12, first 2 shown]
	v_and_b32_e32 v34, 3, v0
	v_and_b32_e32 v37, 7, v0
	;; [unrolled: 1-line block ×5, first 2 shown]
	v_min_u32_e32 v1, 0x300, v2
	v_min_u32_e32 v2, 0x300, v3
	;; [unrolled: 1-line block ×5, first 2 shown]
	v_add_u32_e32 v6, 3, v33
	v_add_u32_e32 v7, 6, v7
	;; [unrolled: 1-line block ×12, first 2 shown]
	v_and_b32_e32 v64, 0x7f, v0
	v_cndmask_b32_e64 v31, 0, 3, vcc
	v_mul_u32_u24_e32 v32, 3, v34
	v_mul_u32_u24_e32 v35, 3, v37
	v_mul_u32_u24_e32 v38, 3, v40
	v_mul_u32_u24_e32 v41, 3, v43
	v_mul_u32_u24_e32 v44, 3, v46
	v_sub_u32_e32 v48, v7, v6
	v_sub_u32_e32 v49, v9, v8
	;; [unrolled: 1-line block ×6, first 2 shown]
	v_mul_u32_u24_e32 v65, 3, v64
	v_sub_u32_e32 v18, v8, v1
	v_sub_u32_e32 v19, v10, v2
	;; [unrolled: 1-line block ×11, first 2 shown]
	v_cmp_ge_i32_e32 vcc, v31, v48
	v_cmp_ge_i32_e64 s[0:1], v32, v49
	v_cmp_ge_i32_e64 s[2:3], v35, v50
	;; [unrolled: 1-line block ×5, first 2 shown]
	s_waitcnt vmcnt(2)
	v_add_u16_e32 v57, 1, v27
	s_waitcnt vmcnt(1)
	v_perm_b32 v23, v27, v28, s29
	s_waitcnt vmcnt(0)
	v_lshlrev_b32_e32 v24, 16, v29
	v_or_b32_e32 v59, v23, v24
	v_and_b32_e32 v23, 0x80, v0
	v_mul_u32_u24_e32 v25, 3, v23
	v_min_u32_e32 v23, 0x180, v25
	v_min_u32_e32 v66, 0x240, v25
	v_add_u32_e32 v23, 0x180, v23
	v_add_u32_e32 v24, 0xc0, v66
	v_sub_u32_e32 v67, v23, v24
	v_min_u32_e32 v25, 0x300, v25
	v_min_u32_e32 v27, 0x300, v30
	v_sub_u32_e32 v68, v65, v67
	v_sub_u32_e32 v26, v24, v25
	v_add_u16_e32 v56, 1, v29
	v_sub_u32_e32 v29, v6, v27
	v_cmp_ge_i32_e64 s[10:11], v65, v67
	v_mul_u32_u24_e32 v50, 3, v0
	v_mov_b32_e32 v51, 0x180
	v_min_i32_e32 v18, v32, v18
	v_min_i32_e32 v19, v35, v19
	v_min_i32_e32 v20, v38, v20
	v_min_i32_e32 v21, v41, v21
	v_min_i32_e32 v22, v44, v22
	v_min_i32_e32 v26, v65, v26
	v_add_u16_e32 v58, 1, v28
	v_cndmask_b32_e32 v28, 0, v54, vcc
	v_min_i32_e32 v29, v31, v29
	v_add_u32_e32 v30, v33, v31
	v_cndmask_b32_e64 v32, 0, v55, s[0:1]
	v_mad_u32_u24 v33, v34, 3, v36
	v_cndmask_b32_e64 v35, 0, v60, s[2:3]
	v_mad_u32_u24 v36, v37, 3, v39
	;; [unrolled: 2-line block ×5, first 2 shown]
	v_cndmask_b32_e64 v47, 0, v68, s[10:11]
	v_sub_u32_e64 v52, v50, v51 clamp
	v_min_i32_e32 v53, 0x180, v50
	s_movk_i32 s30, 0x300
	s_mov_b32 s31, 0
	v_cmp_lt_i32_e32 vcc, v28, v29
	v_add_u32_e32 v31, v6, v31
	v_cmp_lt_i32_e64 s[0:1], v32, v18
	v_mad_u32_u24 v34, v34, 3, v8
	v_cmp_lt_i32_e64 s[2:3], v35, v19
	v_mad_u32_u24 v37, v37, 3, v10
	;; [unrolled: 2-line block ×6, first 2 shown]
	v_mad_u32_u24 v49, v64, 3, v24
	v_cmp_lt_i32_e64 s[12:13], v52, v53
	s_mov_b32 s33, 0x7060405
	s_movk_i32 s34, 0xff
	s_movk_i32 s35, 0xff00
	s_mov_b32 s36, 0xffff0000
	s_mov_b32 s37, 0xc0c0001
	;; [unrolled: 1-line block ×3, first 2 shown]
	v_mad_u32_u24 v54, v0, 3, v51
	v_mov_b32_e32 v55, 8
	s_branch .LBB105_2
.LBB105_1:                              ;   in Loop: Header=BB105_2 Depth=1
	s_or_b64 exec, exec, s[18:19]
	v_cndmask_b32_e64 v61, v61, v62, s[14:15]
	v_cndmask_b32_e64 v62, v63, v64, s[16:17]
	v_cmp_ge_i32_e64 s[16:17], v66, v51
	s_waitcnt lgkmcnt(0)
	v_cmp_lt_u16_sdwa s[18:19], v70, v68 src0_sel:BYTE_0 src1_sel:BYTE_0
	v_cndmask_b32_e64 v59, v59, v60, s[14:15]
	v_cmp_gt_i32_e64 s[14:15], s30, v65
	s_or_b64 s[16:17], s[16:17], s[18:19]
	s_and_b64 s[14:15], s[14:15], s[16:17]
	v_cndmask_b32_e64 v65, v66, v65, s[14:15]
	s_barrier
	ds_write_b8 v50, v56
	ds_write_b8 v50, v58 offset:1
	ds_write_b8 v50, v57 offset:2
	s_waitcnt lgkmcnt(0)
	s_barrier
	ds_read_u8 v57, v59
	ds_read_u8 v58, v67
	;; [unrolled: 1-line block ×3, first 2 shown]
	v_cndmask_b32_e64 v60, v68, v70, s[14:15]
	v_lshlrev_b16_e32 v63, 8, v62
	v_and_b32_e32 v64, 0xff, v60
	v_or_b32_sdwa v63, v61, v63 dst_sel:DWORD dst_unused:UNUSED_PAD src0_sel:BYTE_0 src1_sel:DWORD
	v_lshlrev_b32_e32 v59, 16, v64
	s_add_i32 s31, s31, 1
	s_cmp_eq_u32 s31, 10
	v_or_b32_sdwa v59, v63, v59 dst_sel:DWORD dst_unused:UNUSED_PAD src0_sel:WORD_0 src1_sel:DWORD
	s_cbranch_scc1 .LBB105_98
.LBB105_2:                              ; =>This Loop Header: Depth=1
                                        ;     Child Loop BB105_4 Depth 2
                                        ;     Child Loop BB105_16 Depth 2
	;; [unrolled: 1-line block ×8, first 2 shown]
	v_lshrrev_b32_e32 v61, 8, v59
	v_perm_b32 v60, v59, v59, s33
	v_cmp_lt_u16_sdwa s[14:15], v61, v59 src0_sel:BYTE_0 src1_sel:BYTE_0
	v_cndmask_b32_e64 v60, v59, v60, s[14:15]
	v_and_b32_sdwa v62, v60, s35 dst_sel:DWORD dst_unused:UNUSED_PAD src0_sel:WORD_1 src1_sel:DWORD
	v_max_u16_sdwa v59, v61, v59 dst_sel:DWORD dst_unused:UNUSED_PAD src0_sel:BYTE_0 src1_sel:BYTE_0
	v_lshlrev_b16_sdwa v63, v55, v60 dst_sel:DWORD dst_unused:UNUSED_PAD src0_sel:DWORD src1_sel:WORD_1
	v_or_b32_sdwa v61, v59, v62 dst_sel:WORD_1 dst_unused:UNUSED_PAD src0_sel:DWORD src1_sel:DWORD
	v_and_b32_sdwa v62, v60, s34 dst_sel:DWORD dst_unused:UNUSED_PAD src0_sel:WORD_1 src1_sel:DWORD
	v_or_b32_sdwa v63, v60, v63 dst_sel:DWORD dst_unused:UNUSED_PAD src0_sel:BYTE_0 src1_sel:DWORD
	v_or_b32_sdwa v61, v63, v61 dst_sel:DWORD dst_unused:UNUSED_PAD src0_sel:WORD_0 src1_sel:DWORD
	v_cmp_lt_u16_e64 s[16:17], v62, v59
	v_cndmask_b32_e64 v60, v60, v61, s[16:17]
	v_lshlrev_b16_e32 v61, 8, v60
	v_min_u16_e32 v59, v62, v59
	v_or_b32_e32 v61, v59, v61
	v_and_b32_e32 v61, 0xffff, v61
	v_and_or_b32 v61, v60, s36, v61
	v_cmp_lt_u16_sdwa s[18:19], v59, v60 src0_sel:DWORD src1_sel:BYTE_0
	v_cndmask_b32_e64 v59, v60, v61, s[18:19]
	v_lshrrev_b32_e32 v60, 8, v59
	v_mov_b32_e32 v61, v28
	s_waitcnt lgkmcnt(0)
	s_barrier
	ds_write_b8 v50, v59
	ds_write_b8 v50, v60 offset:1
	ds_write_b8_d16_hi v50, v59 offset:2
	s_waitcnt lgkmcnt(0)
	s_barrier
	s_and_saveexec_b64 s[22:23], vcc
	s_cbranch_execz .LBB105_6
; %bb.3:                                ;   in Loop: Header=BB105_2 Depth=1
	s_mov_b64 s[24:25], 0
	v_mov_b32_e32 v61, v28
	v_mov_b32_e32 v59, v29
.LBB105_4:                              ;   Parent Loop BB105_2 Depth=1
                                        ; =>  This Inner Loop Header: Depth=2
	v_sub_u32_e32 v60, v59, v61
	v_lshrrev_b32_e32 v60, 1, v60
	v_add_u32_e32 v60, v60, v61
	v_add_u32_e32 v62, v27, v60
	v_xad_u32 v63, v60, -1, v30
	ds_read_u8 v62, v62
	ds_read_u8 v63, v63 offset:3
	v_add_u32_e32 v64, 1, v60
	s_waitcnt lgkmcnt(0)
	v_cmp_lt_u16_e64 s[20:21], v63, v62
	v_cndmask_b32_e64 v59, v59, v60, s[20:21]
	v_cndmask_b32_e64 v61, v64, v61, s[20:21]
	v_cmp_ge_i32_e64 s[20:21], v61, v59
	s_or_b64 s[24:25], s[20:21], s[24:25]
	s_andn2_b64 exec, exec, s[24:25]
	s_cbranch_execnz .LBB105_4
; %bb.5:                                ;   in Loop: Header=BB105_2 Depth=1
	s_or_b64 exec, exec, s[24:25]
.LBB105_6:                              ;   in Loop: Header=BB105_2 Depth=1
	s_or_b64 exec, exec, s[22:23]
	v_add_u32_e32 v59, v61, v27
	v_sub_u32_e32 v64, v30, v61
	ds_read_u8 v60, v59
	ds_read_u8 v62, v64 offset:3
	v_sub_u32_e32 v61, v31, v61
	v_cmp_le_i32_e64 s[22:23], v6, v59
	v_cmp_gt_i32_e64 s[20:21], v7, v61
                                        ; implicit-def: $vgpr63
	s_waitcnt lgkmcnt(0)
	v_cmp_lt_u16_sdwa s[24:25], v62, v60 src0_sel:BYTE_0 src1_sel:BYTE_0
	s_or_b64 s[22:23], s[22:23], s[24:25]
	s_and_b64 s[20:21], s[20:21], s[22:23]
	s_xor_b64 s[22:23], s[20:21], -1
	s_and_saveexec_b64 s[24:25], s[22:23]
	s_xor_b64 s[22:23], exec, s[24:25]
; %bb.7:                                ;   in Loop: Header=BB105_2 Depth=1
	ds_read_u8 v63, v59 offset:1
                                        ; implicit-def: $vgpr64
; %bb.8:                                ;   in Loop: Header=BB105_2 Depth=1
	s_or_saveexec_b64 s[22:23], s[22:23]
	v_mov_b32_e32 v65, v62
	s_xor_b64 exec, exec, s[22:23]
	s_cbranch_execz .LBB105_10
; %bb.9:                                ;   in Loop: Header=BB105_2 Depth=1
	ds_read_u8 v65, v64 offset:4
	s_waitcnt lgkmcnt(1)
	v_mov_b32_e32 v63, v60
.LBB105_10:                             ;   in Loop: Header=BB105_2 Depth=1
	s_or_b64 exec, exec, s[22:23]
	v_add_u32_e32 v67, 1, v59
	v_add_u32_e32 v64, 1, v61
	v_cndmask_b32_e64 v67, v67, v59, s[20:21]
	v_cndmask_b32_e64 v66, v61, v64, s[20:21]
	v_cmp_ge_i32_e64 s[24:25], v67, v6
	s_waitcnt lgkmcnt(0)
	v_cmp_lt_u16_sdwa s[40:41], v65, v63 src0_sel:BYTE_0 src1_sel:BYTE_0
	v_cmp_lt_i32_e64 s[22:23], v66, v7
	s_or_b64 s[24:25], s[24:25], s[40:41]
	s_and_b64 s[22:23], s[22:23], s[24:25]
	s_xor_b64 s[24:25], s[22:23], -1
                                        ; implicit-def: $vgpr64
	s_and_saveexec_b64 s[40:41], s[24:25]
	s_xor_b64 s[24:25], exec, s[40:41]
; %bb.11:                               ;   in Loop: Header=BB105_2 Depth=1
	ds_read_u8 v64, v67 offset:1
; %bb.12:                               ;   in Loop: Header=BB105_2 Depth=1
	s_or_saveexec_b64 s[24:25], s[24:25]
	v_mov_b32_e32 v68, v65
	s_xor_b64 exec, exec, s[24:25]
	s_cbranch_execz .LBB105_14
; %bb.13:                               ;   in Loop: Header=BB105_2 Depth=1
	ds_read_u8 v68, v66 offset:1
	s_waitcnt lgkmcnt(1)
	v_mov_b32_e32 v64, v63
.LBB105_14:                             ;   in Loop: Header=BB105_2 Depth=1
	s_or_b64 exec, exec, s[24:25]
	v_cndmask_b32_e64 v59, v59, v61, s[20:21]
	v_perm_b32 v61, v58, v57, s29
	v_perm_b32 v57, v57, v58, s29
	v_and_b32_e32 v58, 0xff, v56
	v_cndmask_b32_e64 v57, v57, v61, s[14:15]
	v_lshlrev_b32_e32 v58, 16, v58
	v_lshrrev_b16_e32 v61, 8, v57
	v_or_b32_e32 v58, v57, v58
	v_perm_b32 v56, v57, v56, s29
	v_lshlrev_b32_e32 v57, 16, v61
	v_or_b32_e32 v56, v56, v57
	v_cndmask_b32_e64 v56, v58, v56, s[16:17]
	v_add_u32_e32 v69, 1, v67
	v_perm_b32 v57, 0, v56, s37
	v_cndmask_b32_e64 v63, v63, v65, s[22:23]
	v_add_u32_e32 v65, 1, v66
	v_cndmask_b32_e64 v69, v69, v67, s[22:23]
	v_and_or_b32 v57, v56, s38, v57
	v_cndmask_b32_e64 v65, v66, v65, s[22:23]
	v_cndmask_b32_e64 v56, v56, v57, s[18:19]
	v_cmp_ge_i32_e64 s[16:17], v69, v6
	s_waitcnt lgkmcnt(0)
	v_cmp_lt_u16_sdwa s[18:19], v68, v64 src0_sel:BYTE_0 src1_sel:BYTE_0
	v_cmp_lt_i32_e64 s[14:15], v65, v7
	s_or_b64 s[16:17], s[16:17], s[18:19]
	s_and_b64 s[14:15], s[14:15], s[16:17]
	v_cndmask_b32_e64 v57, v69, v65, s[14:15]
	v_lshrrev_b32_e32 v58, 8, v56
	v_cndmask_b32_e64 v66, v67, v66, s[22:23]
	s_barrier
	ds_write_b8 v50, v56
	ds_write_b8 v50, v58 offset:1
	ds_write_b8_d16_hi v50, v56 offset:2
	s_waitcnt lgkmcnt(0)
	s_barrier
	ds_read_u8 v56, v59
	ds_read_u8 v57, v57
	;; [unrolled: 1-line block ×3, first 2 shown]
	v_cndmask_b32_e64 v60, v60, v62, s[20:21]
	v_cndmask_b32_e64 v61, v64, v68, s[14:15]
	s_waitcnt lgkmcnt(0)
	s_barrier
	ds_write_b8 v50, v60
	ds_write_b8 v50, v63 offset:1
	ds_write_b8 v50, v61 offset:2
	v_mov_b32_e32 v61, v32
	s_waitcnt lgkmcnt(0)
	s_barrier
	s_and_saveexec_b64 s[16:17], s[0:1]
	s_cbranch_execz .LBB105_18
; %bb.15:                               ;   in Loop: Header=BB105_2 Depth=1
	s_mov_b64 s[18:19], 0
	v_mov_b32_e32 v61, v32
	v_mov_b32_e32 v59, v18
.LBB105_16:                             ;   Parent Loop BB105_2 Depth=1
                                        ; =>  This Inner Loop Header: Depth=2
	v_sub_u32_e32 v60, v59, v61
	v_lshrrev_b32_e32 v60, 1, v60
	v_add_u32_e32 v60, v60, v61
	v_add_u32_e32 v62, v1, v60
	v_xad_u32 v63, v60, -1, v33
	ds_read_u8 v62, v62
	ds_read_u8 v63, v63 offset:6
	v_add_u32_e32 v64, 1, v60
	s_waitcnt lgkmcnt(0)
	v_cmp_lt_u16_e64 s[14:15], v63, v62
	v_cndmask_b32_e64 v59, v59, v60, s[14:15]
	v_cndmask_b32_e64 v61, v64, v61, s[14:15]
	v_cmp_ge_i32_e64 s[14:15], v61, v59
	s_or_b64 s[18:19], s[14:15], s[18:19]
	s_andn2_b64 exec, exec, s[18:19]
	s_cbranch_execnz .LBB105_16
; %bb.17:                               ;   in Loop: Header=BB105_2 Depth=1
	s_or_b64 exec, exec, s[18:19]
.LBB105_18:                             ;   in Loop: Header=BB105_2 Depth=1
	s_or_b64 exec, exec, s[16:17]
	v_add_u32_e32 v59, v61, v1
	v_sub_u32_e32 v65, v33, v61
	ds_read_u8 v60, v59
	ds_read_u8 v62, v65 offset:6
	v_sub_u32_e32 v61, v34, v61
	v_cmp_le_i32_e64 s[16:17], v8, v59
	v_cmp_gt_i32_e64 s[14:15], v9, v61
                                        ; implicit-def: $vgpr63
	s_waitcnt lgkmcnt(0)
	v_cmp_lt_u16_sdwa s[18:19], v62, v60 src0_sel:BYTE_0 src1_sel:BYTE_0
	s_or_b64 s[16:17], s[16:17], s[18:19]
	s_and_b64 s[14:15], s[14:15], s[16:17]
	s_xor_b64 s[16:17], s[14:15], -1
	s_and_saveexec_b64 s[18:19], s[16:17]
	s_xor_b64 s[16:17], exec, s[18:19]
; %bb.19:                               ;   in Loop: Header=BB105_2 Depth=1
	ds_read_u8 v63, v59 offset:1
                                        ; implicit-def: $vgpr65
; %bb.20:                               ;   in Loop: Header=BB105_2 Depth=1
	s_or_saveexec_b64 s[16:17], s[16:17]
	v_mov_b32_e32 v64, v62
	s_xor_b64 exec, exec, s[16:17]
	s_cbranch_execz .LBB105_22
; %bb.21:                               ;   in Loop: Header=BB105_2 Depth=1
	ds_read_u8 v64, v65 offset:7
	s_waitcnt lgkmcnt(1)
	v_mov_b32_e32 v63, v60
.LBB105_22:                             ;   in Loop: Header=BB105_2 Depth=1
	s_or_b64 exec, exec, s[16:17]
	v_add_u32_e32 v66, 1, v59
	v_add_u32_e32 v65, 1, v61
	v_cndmask_b32_e64 v66, v66, v59, s[14:15]
	v_cndmask_b32_e64 v65, v61, v65, s[14:15]
	v_cmp_ge_i32_e64 s[18:19], v66, v8
	s_waitcnt lgkmcnt(0)
	v_cmp_lt_u16_sdwa s[20:21], v64, v63 src0_sel:BYTE_0 src1_sel:BYTE_0
	v_cmp_lt_i32_e64 s[16:17], v65, v9
	s_or_b64 s[18:19], s[18:19], s[20:21]
	s_and_b64 s[16:17], s[16:17], s[18:19]
	s_xor_b64 s[18:19], s[16:17], -1
                                        ; implicit-def: $vgpr67
	s_and_saveexec_b64 s[20:21], s[18:19]
	s_xor_b64 s[18:19], exec, s[20:21]
; %bb.23:                               ;   in Loop: Header=BB105_2 Depth=1
	ds_read_u8 v67, v66 offset:1
; %bb.24:                               ;   in Loop: Header=BB105_2 Depth=1
	s_or_saveexec_b64 s[18:19], s[18:19]
	v_mov_b32_e32 v68, v64
	s_xor_b64 exec, exec, s[18:19]
	s_cbranch_execz .LBB105_26
; %bb.25:                               ;   in Loop: Header=BB105_2 Depth=1
	ds_read_u8 v68, v65 offset:1
	s_waitcnt lgkmcnt(1)
	v_mov_b32_e32 v67, v63
.LBB105_26:                             ;   in Loop: Header=BB105_2 Depth=1
	s_or_b64 exec, exec, s[18:19]
	v_add_u32_e32 v69, 1, v66
	v_cndmask_b32_e64 v63, v63, v64, s[16:17]
	v_add_u32_e32 v64, 1, v65
	v_cndmask_b32_e64 v69, v69, v66, s[16:17]
	v_cndmask_b32_e64 v64, v65, v64, s[16:17]
	;; [unrolled: 1-line block ×3, first 2 shown]
	v_cmp_ge_i32_e64 s[16:17], v69, v8
	s_waitcnt lgkmcnt(0)
	v_cmp_lt_u16_sdwa s[18:19], v68, v67 src0_sel:BYTE_0 src1_sel:BYTE_0
	v_cndmask_b32_e64 v60, v60, v62, s[14:15]
	v_cndmask_b32_e64 v59, v59, v61, s[14:15]
	v_cmp_lt_i32_e64 s[14:15], v64, v9
	s_or_b64 s[16:17], s[16:17], s[18:19]
	s_and_b64 s[14:15], s[14:15], s[16:17]
	v_cndmask_b32_e64 v62, v69, v64, s[14:15]
	s_barrier
	ds_write_b8 v50, v56
	ds_write_b8 v50, v58 offset:1
	ds_write_b8 v50, v57 offset:2
	s_waitcnt lgkmcnt(0)
	s_barrier
	ds_read_u8 v56, v59
	ds_read_u8 v57, v62
	;; [unrolled: 1-line block ×3, first 2 shown]
	v_cndmask_b32_e64 v61, v67, v68, s[14:15]
	s_waitcnt lgkmcnt(0)
	s_barrier
	ds_write_b8 v50, v60
	ds_write_b8 v50, v63 offset:1
	ds_write_b8 v50, v61 offset:2
	v_mov_b32_e32 v61, v35
	s_waitcnt lgkmcnt(0)
	s_barrier
	s_and_saveexec_b64 s[16:17], s[2:3]
	s_cbranch_execz .LBB105_30
; %bb.27:                               ;   in Loop: Header=BB105_2 Depth=1
	s_mov_b64 s[18:19], 0
	v_mov_b32_e32 v61, v35
	v_mov_b32_e32 v59, v19
.LBB105_28:                             ;   Parent Loop BB105_2 Depth=1
                                        ; =>  This Inner Loop Header: Depth=2
	v_sub_u32_e32 v60, v59, v61
	v_lshrrev_b32_e32 v60, 1, v60
	v_add_u32_e32 v60, v60, v61
	v_add_u32_e32 v62, v2, v60
	v_xad_u32 v63, v60, -1, v36
	ds_read_u8 v62, v62
	ds_read_u8 v63, v63 offset:12
	v_add_u32_e32 v64, 1, v60
	s_waitcnt lgkmcnt(0)
	v_cmp_lt_u16_e64 s[14:15], v63, v62
	v_cndmask_b32_e64 v59, v59, v60, s[14:15]
	v_cndmask_b32_e64 v61, v64, v61, s[14:15]
	v_cmp_ge_i32_e64 s[14:15], v61, v59
	s_or_b64 s[18:19], s[14:15], s[18:19]
	s_andn2_b64 exec, exec, s[18:19]
	s_cbranch_execnz .LBB105_28
; %bb.29:                               ;   in Loop: Header=BB105_2 Depth=1
	s_or_b64 exec, exec, s[18:19]
.LBB105_30:                             ;   in Loop: Header=BB105_2 Depth=1
	s_or_b64 exec, exec, s[16:17]
	v_add_u32_e32 v59, v61, v2
	v_sub_u32_e32 v65, v36, v61
	ds_read_u8 v60, v59
	ds_read_u8 v62, v65 offset:12
	v_sub_u32_e32 v61, v37, v61
	v_cmp_le_i32_e64 s[16:17], v10, v59
	v_cmp_gt_i32_e64 s[14:15], v11, v61
                                        ; implicit-def: $vgpr63
	s_waitcnt lgkmcnt(0)
	v_cmp_lt_u16_sdwa s[18:19], v62, v60 src0_sel:BYTE_0 src1_sel:BYTE_0
	s_or_b64 s[16:17], s[16:17], s[18:19]
	s_and_b64 s[14:15], s[14:15], s[16:17]
	s_xor_b64 s[16:17], s[14:15], -1
	s_and_saveexec_b64 s[18:19], s[16:17]
	s_xor_b64 s[16:17], exec, s[18:19]
; %bb.31:                               ;   in Loop: Header=BB105_2 Depth=1
	ds_read_u8 v63, v59 offset:1
                                        ; implicit-def: $vgpr65
; %bb.32:                               ;   in Loop: Header=BB105_2 Depth=1
	s_or_saveexec_b64 s[16:17], s[16:17]
	v_mov_b32_e32 v64, v62
	s_xor_b64 exec, exec, s[16:17]
	s_cbranch_execz .LBB105_34
; %bb.33:                               ;   in Loop: Header=BB105_2 Depth=1
	ds_read_u8 v64, v65 offset:13
	s_waitcnt lgkmcnt(1)
	v_mov_b32_e32 v63, v60
.LBB105_34:                             ;   in Loop: Header=BB105_2 Depth=1
	s_or_b64 exec, exec, s[16:17]
	v_add_u32_e32 v66, 1, v59
	v_add_u32_e32 v65, 1, v61
	v_cndmask_b32_e64 v66, v66, v59, s[14:15]
	v_cndmask_b32_e64 v65, v61, v65, s[14:15]
	v_cmp_ge_i32_e64 s[18:19], v66, v10
	s_waitcnt lgkmcnt(0)
	v_cmp_lt_u16_sdwa s[20:21], v64, v63 src0_sel:BYTE_0 src1_sel:BYTE_0
	v_cmp_lt_i32_e64 s[16:17], v65, v11
	s_or_b64 s[18:19], s[18:19], s[20:21]
	s_and_b64 s[16:17], s[16:17], s[18:19]
	s_xor_b64 s[18:19], s[16:17], -1
                                        ; implicit-def: $vgpr67
	s_and_saveexec_b64 s[20:21], s[18:19]
	s_xor_b64 s[18:19], exec, s[20:21]
; %bb.35:                               ;   in Loop: Header=BB105_2 Depth=1
	ds_read_u8 v67, v66 offset:1
; %bb.36:                               ;   in Loop: Header=BB105_2 Depth=1
	s_or_saveexec_b64 s[18:19], s[18:19]
	v_mov_b32_e32 v68, v64
	s_xor_b64 exec, exec, s[18:19]
	s_cbranch_execz .LBB105_38
; %bb.37:                               ;   in Loop: Header=BB105_2 Depth=1
	ds_read_u8 v68, v65 offset:1
	s_waitcnt lgkmcnt(1)
	v_mov_b32_e32 v67, v63
.LBB105_38:                             ;   in Loop: Header=BB105_2 Depth=1
	s_or_b64 exec, exec, s[18:19]
	v_add_u32_e32 v69, 1, v66
	v_cndmask_b32_e64 v63, v63, v64, s[16:17]
	v_add_u32_e32 v64, 1, v65
	v_cndmask_b32_e64 v69, v69, v66, s[16:17]
	v_cndmask_b32_e64 v64, v65, v64, s[16:17]
	v_cndmask_b32_e64 v65, v66, v65, s[16:17]
	v_cmp_ge_i32_e64 s[16:17], v69, v10
	s_waitcnt lgkmcnt(0)
	v_cmp_lt_u16_sdwa s[18:19], v68, v67 src0_sel:BYTE_0 src1_sel:BYTE_0
	v_cndmask_b32_e64 v60, v60, v62, s[14:15]
	v_cndmask_b32_e64 v59, v59, v61, s[14:15]
	v_cmp_lt_i32_e64 s[14:15], v64, v11
	s_or_b64 s[16:17], s[16:17], s[18:19]
	s_and_b64 s[14:15], s[14:15], s[16:17]
	v_cndmask_b32_e64 v62, v69, v64, s[14:15]
	s_barrier
	ds_write_b8 v50, v56
	ds_write_b8 v50, v58 offset:1
	ds_write_b8 v50, v57 offset:2
	s_waitcnt lgkmcnt(0)
	s_barrier
	ds_read_u8 v56, v59
	ds_read_u8 v57, v62
	;; [unrolled: 1-line block ×3, first 2 shown]
	v_cndmask_b32_e64 v61, v67, v68, s[14:15]
	s_waitcnt lgkmcnt(0)
	s_barrier
	ds_write_b8 v50, v60
	ds_write_b8 v50, v63 offset:1
	ds_write_b8 v50, v61 offset:2
	v_mov_b32_e32 v61, v38
	s_waitcnt lgkmcnt(0)
	s_barrier
	s_and_saveexec_b64 s[16:17], s[4:5]
	s_cbranch_execz .LBB105_42
; %bb.39:                               ;   in Loop: Header=BB105_2 Depth=1
	s_mov_b64 s[18:19], 0
	v_mov_b32_e32 v61, v38
	v_mov_b32_e32 v59, v20
.LBB105_40:                             ;   Parent Loop BB105_2 Depth=1
                                        ; =>  This Inner Loop Header: Depth=2
	v_sub_u32_e32 v60, v59, v61
	v_lshrrev_b32_e32 v60, 1, v60
	v_add_u32_e32 v60, v60, v61
	v_add_u32_e32 v62, v3, v60
	v_xad_u32 v63, v60, -1, v39
	ds_read_u8 v62, v62
	ds_read_u8 v63, v63 offset:24
	v_add_u32_e32 v64, 1, v60
	s_waitcnt lgkmcnt(0)
	v_cmp_lt_u16_e64 s[14:15], v63, v62
	v_cndmask_b32_e64 v59, v59, v60, s[14:15]
	v_cndmask_b32_e64 v61, v64, v61, s[14:15]
	v_cmp_ge_i32_e64 s[14:15], v61, v59
	s_or_b64 s[18:19], s[14:15], s[18:19]
	s_andn2_b64 exec, exec, s[18:19]
	s_cbranch_execnz .LBB105_40
; %bb.41:                               ;   in Loop: Header=BB105_2 Depth=1
	s_or_b64 exec, exec, s[18:19]
.LBB105_42:                             ;   in Loop: Header=BB105_2 Depth=1
	s_or_b64 exec, exec, s[16:17]
	v_add_u32_e32 v59, v61, v3
	v_sub_u32_e32 v65, v39, v61
	ds_read_u8 v60, v59
	ds_read_u8 v62, v65 offset:24
	v_sub_u32_e32 v61, v40, v61
	v_cmp_le_i32_e64 s[16:17], v13, v59
	v_cmp_gt_i32_e64 s[14:15], v12, v61
                                        ; implicit-def: $vgpr63
	s_waitcnt lgkmcnt(0)
	v_cmp_lt_u16_sdwa s[18:19], v62, v60 src0_sel:BYTE_0 src1_sel:BYTE_0
	s_or_b64 s[16:17], s[16:17], s[18:19]
	s_and_b64 s[14:15], s[14:15], s[16:17]
	s_xor_b64 s[16:17], s[14:15], -1
	s_and_saveexec_b64 s[18:19], s[16:17]
	s_xor_b64 s[16:17], exec, s[18:19]
; %bb.43:                               ;   in Loop: Header=BB105_2 Depth=1
	ds_read_u8 v63, v59 offset:1
                                        ; implicit-def: $vgpr65
; %bb.44:                               ;   in Loop: Header=BB105_2 Depth=1
	s_or_saveexec_b64 s[16:17], s[16:17]
	v_mov_b32_e32 v64, v62
	s_xor_b64 exec, exec, s[16:17]
	s_cbranch_execz .LBB105_46
; %bb.45:                               ;   in Loop: Header=BB105_2 Depth=1
	ds_read_u8 v64, v65 offset:25
	s_waitcnt lgkmcnt(1)
	v_mov_b32_e32 v63, v60
.LBB105_46:                             ;   in Loop: Header=BB105_2 Depth=1
	s_or_b64 exec, exec, s[16:17]
	v_add_u32_e32 v66, 1, v59
	v_add_u32_e32 v65, 1, v61
	v_cndmask_b32_e64 v66, v66, v59, s[14:15]
	v_cndmask_b32_e64 v65, v61, v65, s[14:15]
	v_cmp_ge_i32_e64 s[18:19], v66, v13
	s_waitcnt lgkmcnt(0)
	v_cmp_lt_u16_sdwa s[20:21], v64, v63 src0_sel:BYTE_0 src1_sel:BYTE_0
	v_cmp_lt_i32_e64 s[16:17], v65, v12
	s_or_b64 s[18:19], s[18:19], s[20:21]
	s_and_b64 s[16:17], s[16:17], s[18:19]
	s_xor_b64 s[18:19], s[16:17], -1
                                        ; implicit-def: $vgpr67
	s_and_saveexec_b64 s[20:21], s[18:19]
	s_xor_b64 s[18:19], exec, s[20:21]
; %bb.47:                               ;   in Loop: Header=BB105_2 Depth=1
	ds_read_u8 v67, v66 offset:1
; %bb.48:                               ;   in Loop: Header=BB105_2 Depth=1
	s_or_saveexec_b64 s[18:19], s[18:19]
	v_mov_b32_e32 v68, v64
	s_xor_b64 exec, exec, s[18:19]
	s_cbranch_execz .LBB105_50
; %bb.49:                               ;   in Loop: Header=BB105_2 Depth=1
	ds_read_u8 v68, v65 offset:1
	s_waitcnt lgkmcnt(1)
	v_mov_b32_e32 v67, v63
.LBB105_50:                             ;   in Loop: Header=BB105_2 Depth=1
	s_or_b64 exec, exec, s[18:19]
	v_add_u32_e32 v69, 1, v66
	v_cndmask_b32_e64 v63, v63, v64, s[16:17]
	v_add_u32_e32 v64, 1, v65
	v_cndmask_b32_e64 v69, v69, v66, s[16:17]
	v_cndmask_b32_e64 v64, v65, v64, s[16:17]
	;; [unrolled: 1-line block ×3, first 2 shown]
	v_cmp_ge_i32_e64 s[16:17], v69, v13
	s_waitcnt lgkmcnt(0)
	v_cmp_lt_u16_sdwa s[18:19], v68, v67 src0_sel:BYTE_0 src1_sel:BYTE_0
	v_cndmask_b32_e64 v60, v60, v62, s[14:15]
	v_cndmask_b32_e64 v59, v59, v61, s[14:15]
	v_cmp_lt_i32_e64 s[14:15], v64, v12
	s_or_b64 s[16:17], s[16:17], s[18:19]
	s_and_b64 s[14:15], s[14:15], s[16:17]
	v_cndmask_b32_e64 v62, v69, v64, s[14:15]
	s_barrier
	ds_write_b8 v50, v56
	ds_write_b8 v50, v58 offset:1
	ds_write_b8 v50, v57 offset:2
	s_waitcnt lgkmcnt(0)
	s_barrier
	ds_read_u8 v56, v59
	ds_read_u8 v57, v62
	;; [unrolled: 1-line block ×3, first 2 shown]
	v_cndmask_b32_e64 v61, v67, v68, s[14:15]
	s_waitcnt lgkmcnt(0)
	s_barrier
	ds_write_b8 v50, v60
	ds_write_b8 v50, v63 offset:1
	ds_write_b8 v50, v61 offset:2
	v_mov_b32_e32 v61, v41
	s_waitcnt lgkmcnt(0)
	s_barrier
	s_and_saveexec_b64 s[16:17], s[6:7]
	s_cbranch_execz .LBB105_54
; %bb.51:                               ;   in Loop: Header=BB105_2 Depth=1
	s_mov_b64 s[18:19], 0
	v_mov_b32_e32 v61, v41
	v_mov_b32_e32 v59, v21
.LBB105_52:                             ;   Parent Loop BB105_2 Depth=1
                                        ; =>  This Inner Loop Header: Depth=2
	v_sub_u32_e32 v60, v59, v61
	v_lshrrev_b32_e32 v60, 1, v60
	v_add_u32_e32 v60, v60, v61
	v_add_u32_e32 v62, v4, v60
	v_xad_u32 v63, v60, -1, v42
	ds_read_u8 v62, v62
	ds_read_u8 v63, v63 offset:48
	v_add_u32_e32 v64, 1, v60
	s_waitcnt lgkmcnt(0)
	v_cmp_lt_u16_e64 s[14:15], v63, v62
	v_cndmask_b32_e64 v59, v59, v60, s[14:15]
	v_cndmask_b32_e64 v61, v64, v61, s[14:15]
	v_cmp_ge_i32_e64 s[14:15], v61, v59
	s_or_b64 s[18:19], s[14:15], s[18:19]
	s_andn2_b64 exec, exec, s[18:19]
	s_cbranch_execnz .LBB105_52
; %bb.53:                               ;   in Loop: Header=BB105_2 Depth=1
	s_or_b64 exec, exec, s[18:19]
.LBB105_54:                             ;   in Loop: Header=BB105_2 Depth=1
	s_or_b64 exec, exec, s[16:17]
	v_add_u32_e32 v59, v61, v4
	v_sub_u32_e32 v65, v42, v61
	ds_read_u8 v60, v59
	ds_read_u8 v62, v65 offset:48
	v_sub_u32_e32 v61, v43, v61
	v_cmp_le_i32_e64 s[16:17], v15, v59
	v_cmp_gt_i32_e64 s[14:15], v14, v61
                                        ; implicit-def: $vgpr63
	s_waitcnt lgkmcnt(0)
	v_cmp_lt_u16_sdwa s[18:19], v62, v60 src0_sel:BYTE_0 src1_sel:BYTE_0
	s_or_b64 s[16:17], s[16:17], s[18:19]
	s_and_b64 s[14:15], s[14:15], s[16:17]
	s_xor_b64 s[16:17], s[14:15], -1
	s_and_saveexec_b64 s[18:19], s[16:17]
	s_xor_b64 s[16:17], exec, s[18:19]
; %bb.55:                               ;   in Loop: Header=BB105_2 Depth=1
	ds_read_u8 v63, v59 offset:1
                                        ; implicit-def: $vgpr65
; %bb.56:                               ;   in Loop: Header=BB105_2 Depth=1
	s_or_saveexec_b64 s[16:17], s[16:17]
	v_mov_b32_e32 v64, v62
	s_xor_b64 exec, exec, s[16:17]
	s_cbranch_execz .LBB105_58
; %bb.57:                               ;   in Loop: Header=BB105_2 Depth=1
	ds_read_u8 v64, v65 offset:49
	s_waitcnt lgkmcnt(1)
	v_mov_b32_e32 v63, v60
.LBB105_58:                             ;   in Loop: Header=BB105_2 Depth=1
	s_or_b64 exec, exec, s[16:17]
	v_add_u32_e32 v66, 1, v59
	v_add_u32_e32 v65, 1, v61
	v_cndmask_b32_e64 v66, v66, v59, s[14:15]
	v_cndmask_b32_e64 v65, v61, v65, s[14:15]
	v_cmp_ge_i32_e64 s[18:19], v66, v15
	s_waitcnt lgkmcnt(0)
	v_cmp_lt_u16_sdwa s[20:21], v64, v63 src0_sel:BYTE_0 src1_sel:BYTE_0
	v_cmp_lt_i32_e64 s[16:17], v65, v14
	s_or_b64 s[18:19], s[18:19], s[20:21]
	s_and_b64 s[16:17], s[16:17], s[18:19]
	s_xor_b64 s[18:19], s[16:17], -1
                                        ; implicit-def: $vgpr67
	s_and_saveexec_b64 s[20:21], s[18:19]
	s_xor_b64 s[18:19], exec, s[20:21]
; %bb.59:                               ;   in Loop: Header=BB105_2 Depth=1
	ds_read_u8 v67, v66 offset:1
; %bb.60:                               ;   in Loop: Header=BB105_2 Depth=1
	s_or_saveexec_b64 s[18:19], s[18:19]
	v_mov_b32_e32 v68, v64
	s_xor_b64 exec, exec, s[18:19]
	s_cbranch_execz .LBB105_62
; %bb.61:                               ;   in Loop: Header=BB105_2 Depth=1
	ds_read_u8 v68, v65 offset:1
	s_waitcnt lgkmcnt(1)
	v_mov_b32_e32 v67, v63
.LBB105_62:                             ;   in Loop: Header=BB105_2 Depth=1
	s_or_b64 exec, exec, s[18:19]
	v_add_u32_e32 v69, 1, v66
	v_cndmask_b32_e64 v63, v63, v64, s[16:17]
	v_add_u32_e32 v64, 1, v65
	v_cndmask_b32_e64 v69, v69, v66, s[16:17]
	v_cndmask_b32_e64 v64, v65, v64, s[16:17]
	;; [unrolled: 1-line block ×3, first 2 shown]
	v_cmp_ge_i32_e64 s[16:17], v69, v15
	s_waitcnt lgkmcnt(0)
	v_cmp_lt_u16_sdwa s[18:19], v68, v67 src0_sel:BYTE_0 src1_sel:BYTE_0
	v_cndmask_b32_e64 v60, v60, v62, s[14:15]
	v_cndmask_b32_e64 v59, v59, v61, s[14:15]
	v_cmp_lt_i32_e64 s[14:15], v64, v14
	s_or_b64 s[16:17], s[16:17], s[18:19]
	s_and_b64 s[14:15], s[14:15], s[16:17]
	v_cndmask_b32_e64 v62, v69, v64, s[14:15]
	s_barrier
	ds_write_b8 v50, v56
	ds_write_b8 v50, v58 offset:1
	ds_write_b8 v50, v57 offset:2
	s_waitcnt lgkmcnt(0)
	s_barrier
	ds_read_u8 v56, v59
	ds_read_u8 v57, v62
	;; [unrolled: 1-line block ×3, first 2 shown]
	v_cndmask_b32_e64 v61, v67, v68, s[14:15]
	s_waitcnt lgkmcnt(0)
	s_barrier
	ds_write_b8 v50, v60
	ds_write_b8 v50, v63 offset:1
	ds_write_b8 v50, v61 offset:2
	v_mov_b32_e32 v61, v44
	s_waitcnt lgkmcnt(0)
	s_barrier
	s_and_saveexec_b64 s[16:17], s[8:9]
	s_cbranch_execz .LBB105_66
; %bb.63:                               ;   in Loop: Header=BB105_2 Depth=1
	s_mov_b64 s[18:19], 0
	v_mov_b32_e32 v61, v44
	v_mov_b32_e32 v59, v22
.LBB105_64:                             ;   Parent Loop BB105_2 Depth=1
                                        ; =>  This Inner Loop Header: Depth=2
	v_sub_u32_e32 v60, v59, v61
	v_lshrrev_b32_e32 v60, 1, v60
	v_add_u32_e32 v60, v60, v61
	v_add_u32_e32 v62, v5, v60
	v_xad_u32 v63, v60, -1, v45
	ds_read_u8 v62, v62
	ds_read_u8 v63, v63 offset:96
	v_add_u32_e32 v64, 1, v60
	s_waitcnt lgkmcnt(0)
	v_cmp_lt_u16_e64 s[14:15], v63, v62
	v_cndmask_b32_e64 v59, v59, v60, s[14:15]
	v_cndmask_b32_e64 v61, v64, v61, s[14:15]
	v_cmp_ge_i32_e64 s[14:15], v61, v59
	s_or_b64 s[18:19], s[14:15], s[18:19]
	s_andn2_b64 exec, exec, s[18:19]
	s_cbranch_execnz .LBB105_64
; %bb.65:                               ;   in Loop: Header=BB105_2 Depth=1
	s_or_b64 exec, exec, s[18:19]
.LBB105_66:                             ;   in Loop: Header=BB105_2 Depth=1
	s_or_b64 exec, exec, s[16:17]
	v_add_u32_e32 v59, v61, v5
	v_sub_u32_e32 v65, v45, v61
	ds_read_u8 v60, v59
	ds_read_u8 v62, v65 offset:96
	v_sub_u32_e32 v61, v46, v61
	v_cmp_le_i32_e64 s[16:17], v17, v59
	v_cmp_gt_i32_e64 s[14:15], v16, v61
                                        ; implicit-def: $vgpr63
	s_waitcnt lgkmcnt(0)
	v_cmp_lt_u16_sdwa s[18:19], v62, v60 src0_sel:BYTE_0 src1_sel:BYTE_0
	s_or_b64 s[16:17], s[16:17], s[18:19]
	s_and_b64 s[14:15], s[14:15], s[16:17]
	s_xor_b64 s[16:17], s[14:15], -1
	s_and_saveexec_b64 s[18:19], s[16:17]
	s_xor_b64 s[16:17], exec, s[18:19]
; %bb.67:                               ;   in Loop: Header=BB105_2 Depth=1
	ds_read_u8 v63, v59 offset:1
                                        ; implicit-def: $vgpr65
; %bb.68:                               ;   in Loop: Header=BB105_2 Depth=1
	s_or_saveexec_b64 s[16:17], s[16:17]
	v_mov_b32_e32 v64, v62
	s_xor_b64 exec, exec, s[16:17]
	s_cbranch_execz .LBB105_70
; %bb.69:                               ;   in Loop: Header=BB105_2 Depth=1
	ds_read_u8 v64, v65 offset:97
	s_waitcnt lgkmcnt(1)
	v_mov_b32_e32 v63, v60
.LBB105_70:                             ;   in Loop: Header=BB105_2 Depth=1
	s_or_b64 exec, exec, s[16:17]
	v_add_u32_e32 v66, 1, v59
	v_add_u32_e32 v65, 1, v61
	v_cndmask_b32_e64 v66, v66, v59, s[14:15]
	v_cndmask_b32_e64 v65, v61, v65, s[14:15]
	v_cmp_ge_i32_e64 s[18:19], v66, v17
	s_waitcnt lgkmcnt(0)
	v_cmp_lt_u16_sdwa s[20:21], v64, v63 src0_sel:BYTE_0 src1_sel:BYTE_0
	v_cmp_lt_i32_e64 s[16:17], v65, v16
	s_or_b64 s[18:19], s[18:19], s[20:21]
	s_and_b64 s[16:17], s[16:17], s[18:19]
	s_xor_b64 s[18:19], s[16:17], -1
                                        ; implicit-def: $vgpr67
	s_and_saveexec_b64 s[20:21], s[18:19]
	s_xor_b64 s[18:19], exec, s[20:21]
; %bb.71:                               ;   in Loop: Header=BB105_2 Depth=1
	ds_read_u8 v67, v66 offset:1
; %bb.72:                               ;   in Loop: Header=BB105_2 Depth=1
	s_or_saveexec_b64 s[18:19], s[18:19]
	v_mov_b32_e32 v68, v64
	s_xor_b64 exec, exec, s[18:19]
	s_cbranch_execz .LBB105_74
; %bb.73:                               ;   in Loop: Header=BB105_2 Depth=1
	ds_read_u8 v68, v65 offset:1
	s_waitcnt lgkmcnt(1)
	v_mov_b32_e32 v67, v63
.LBB105_74:                             ;   in Loop: Header=BB105_2 Depth=1
	s_or_b64 exec, exec, s[18:19]
	v_add_u32_e32 v69, 1, v66
	v_cndmask_b32_e64 v63, v63, v64, s[16:17]
	v_add_u32_e32 v64, 1, v65
	v_cndmask_b32_e64 v69, v69, v66, s[16:17]
	v_cndmask_b32_e64 v64, v65, v64, s[16:17]
	;; [unrolled: 1-line block ×3, first 2 shown]
	v_cmp_ge_i32_e64 s[16:17], v69, v17
	s_waitcnt lgkmcnt(0)
	v_cmp_lt_u16_sdwa s[18:19], v68, v67 src0_sel:BYTE_0 src1_sel:BYTE_0
	v_cndmask_b32_e64 v60, v60, v62, s[14:15]
	v_cndmask_b32_e64 v59, v59, v61, s[14:15]
	v_cmp_lt_i32_e64 s[14:15], v64, v16
	s_or_b64 s[16:17], s[16:17], s[18:19]
	s_and_b64 s[14:15], s[14:15], s[16:17]
	v_cndmask_b32_e64 v62, v69, v64, s[14:15]
	s_barrier
	ds_write_b8 v50, v56
	ds_write_b8 v50, v58 offset:1
	ds_write_b8 v50, v57 offset:2
	s_waitcnt lgkmcnt(0)
	s_barrier
	ds_read_u8 v56, v59
	ds_read_u8 v57, v62
	ds_read_u8 v58, v65
	v_cndmask_b32_e64 v61, v67, v68, s[14:15]
	s_waitcnt lgkmcnt(0)
	s_barrier
	ds_write_b8 v50, v60
	ds_write_b8 v50, v63 offset:1
	ds_write_b8 v50, v61 offset:2
	v_mov_b32_e32 v61, v47
	s_waitcnt lgkmcnt(0)
	s_barrier
	s_and_saveexec_b64 s[16:17], s[10:11]
	s_cbranch_execz .LBB105_78
; %bb.75:                               ;   in Loop: Header=BB105_2 Depth=1
	s_mov_b64 s[18:19], 0
	v_mov_b32_e32 v61, v47
	v_mov_b32_e32 v59, v26
.LBB105_76:                             ;   Parent Loop BB105_2 Depth=1
                                        ; =>  This Inner Loop Header: Depth=2
	v_sub_u32_e32 v60, v59, v61
	v_lshrrev_b32_e32 v60, 1, v60
	v_add_u32_e32 v60, v60, v61
	v_add_u32_e32 v62, v25, v60
	v_xad_u32 v63, v60, -1, v48
	ds_read_u8 v62, v62
	ds_read_u8 v63, v63 offset:192
	v_add_u32_e32 v64, 1, v60
	s_waitcnt lgkmcnt(0)
	v_cmp_lt_u16_e64 s[14:15], v63, v62
	v_cndmask_b32_e64 v59, v59, v60, s[14:15]
	v_cndmask_b32_e64 v61, v64, v61, s[14:15]
	v_cmp_ge_i32_e64 s[14:15], v61, v59
	s_or_b64 s[18:19], s[14:15], s[18:19]
	s_andn2_b64 exec, exec, s[18:19]
	s_cbranch_execnz .LBB105_76
; %bb.77:                               ;   in Loop: Header=BB105_2 Depth=1
	s_or_b64 exec, exec, s[18:19]
.LBB105_78:                             ;   in Loop: Header=BB105_2 Depth=1
	s_or_b64 exec, exec, s[16:17]
	v_add_u32_e32 v59, v61, v25
	v_sub_u32_e32 v65, v48, v61
	ds_read_u8 v60, v59
	ds_read_u8 v62, v65 offset:192
	v_sub_u32_e32 v61, v49, v61
	v_cmp_le_i32_e64 s[16:17], v24, v59
	v_cmp_gt_i32_e64 s[14:15], v23, v61
                                        ; implicit-def: $vgpr63
	s_waitcnt lgkmcnt(0)
	v_cmp_lt_u16_sdwa s[18:19], v62, v60 src0_sel:BYTE_0 src1_sel:BYTE_0
	s_or_b64 s[16:17], s[16:17], s[18:19]
	s_and_b64 s[14:15], s[14:15], s[16:17]
	s_xor_b64 s[16:17], s[14:15], -1
	s_and_saveexec_b64 s[18:19], s[16:17]
	s_xor_b64 s[16:17], exec, s[18:19]
; %bb.79:                               ;   in Loop: Header=BB105_2 Depth=1
	ds_read_u8 v63, v59 offset:1
                                        ; implicit-def: $vgpr65
; %bb.80:                               ;   in Loop: Header=BB105_2 Depth=1
	s_or_saveexec_b64 s[16:17], s[16:17]
	v_mov_b32_e32 v64, v62
	s_xor_b64 exec, exec, s[16:17]
	s_cbranch_execz .LBB105_82
; %bb.81:                               ;   in Loop: Header=BB105_2 Depth=1
	ds_read_u8 v64, v65 offset:193
	s_waitcnt lgkmcnt(1)
	v_mov_b32_e32 v63, v60
.LBB105_82:                             ;   in Loop: Header=BB105_2 Depth=1
	s_or_b64 exec, exec, s[16:17]
	v_add_u32_e32 v66, 1, v59
	v_add_u32_e32 v65, 1, v61
	v_cndmask_b32_e64 v66, v66, v59, s[14:15]
	v_cndmask_b32_e64 v65, v61, v65, s[14:15]
	v_cmp_ge_i32_e64 s[18:19], v66, v24
	s_waitcnt lgkmcnt(0)
	v_cmp_lt_u16_sdwa s[20:21], v64, v63 src0_sel:BYTE_0 src1_sel:BYTE_0
	v_cmp_lt_i32_e64 s[16:17], v65, v23
	s_or_b64 s[18:19], s[18:19], s[20:21]
	s_and_b64 s[16:17], s[16:17], s[18:19]
	s_xor_b64 s[18:19], s[16:17], -1
                                        ; implicit-def: $vgpr67
	s_and_saveexec_b64 s[20:21], s[18:19]
	s_xor_b64 s[18:19], exec, s[20:21]
; %bb.83:                               ;   in Loop: Header=BB105_2 Depth=1
	ds_read_u8 v67, v66 offset:1
; %bb.84:                               ;   in Loop: Header=BB105_2 Depth=1
	s_or_saveexec_b64 s[18:19], s[18:19]
	v_mov_b32_e32 v68, v64
	s_xor_b64 exec, exec, s[18:19]
	s_cbranch_execz .LBB105_86
; %bb.85:                               ;   in Loop: Header=BB105_2 Depth=1
	ds_read_u8 v68, v65 offset:1
	s_waitcnt lgkmcnt(1)
	v_mov_b32_e32 v67, v63
.LBB105_86:                             ;   in Loop: Header=BB105_2 Depth=1
	s_or_b64 exec, exec, s[18:19]
	v_add_u32_e32 v69, 1, v66
	v_cndmask_b32_e64 v63, v63, v64, s[16:17]
	v_add_u32_e32 v64, 1, v65
	v_cndmask_b32_e64 v69, v69, v66, s[16:17]
	v_cndmask_b32_e64 v64, v65, v64, s[16:17]
	v_cndmask_b32_e64 v65, v66, v65, s[16:17]
	v_cmp_ge_i32_e64 s[16:17], v69, v24
	s_waitcnt lgkmcnt(0)
	v_cmp_lt_u16_sdwa s[18:19], v68, v67 src0_sel:BYTE_0 src1_sel:BYTE_0
	v_cndmask_b32_e64 v60, v60, v62, s[14:15]
	v_cndmask_b32_e64 v59, v59, v61, s[14:15]
	v_cmp_lt_i32_e64 s[14:15], v64, v23
	s_or_b64 s[16:17], s[16:17], s[18:19]
	s_and_b64 s[14:15], s[14:15], s[16:17]
	v_cndmask_b32_e64 v62, v69, v64, s[14:15]
	s_barrier
	ds_write_b8 v50, v56
	ds_write_b8 v50, v58 offset:1
	ds_write_b8 v50, v57 offset:2
	s_waitcnt lgkmcnt(0)
	s_barrier
	ds_read_u8 v56, v59
	ds_read_u8 v57, v62
	;; [unrolled: 1-line block ×3, first 2 shown]
	v_mov_b32_e32 v59, v52
	v_cndmask_b32_e64 v61, v67, v68, s[14:15]
	s_waitcnt lgkmcnt(0)
	s_barrier
	ds_write_b8 v50, v60
	ds_write_b8 v50, v63 offset:1
	ds_write_b8 v50, v61 offset:2
	s_waitcnt lgkmcnt(0)
	s_barrier
	s_and_saveexec_b64 s[16:17], s[12:13]
	s_cbranch_execz .LBB105_90
; %bb.87:                               ;   in Loop: Header=BB105_2 Depth=1
	s_mov_b64 s[18:19], 0
	v_mov_b32_e32 v59, v52
	v_mov_b32_e32 v60, v53
.LBB105_88:                             ;   Parent Loop BB105_2 Depth=1
                                        ; =>  This Inner Loop Header: Depth=2
	v_sub_u32_e32 v61, v60, v59
	v_lshrrev_b32_e32 v61, 1, v61
	v_add_u32_e32 v61, v61, v59
	v_xad_u32 v62, v61, -1, v50
	ds_read_u8 v63, v61
	ds_read_u8 v62, v62 offset:384
	v_add_u32_e32 v64, 1, v61
	s_waitcnt lgkmcnt(0)
	v_cmp_lt_u16_e64 s[14:15], v62, v63
	v_cndmask_b32_e64 v60, v60, v61, s[14:15]
	v_cndmask_b32_e64 v59, v64, v59, s[14:15]
	v_cmp_ge_i32_e64 s[14:15], v59, v60
	s_or_b64 s[18:19], s[14:15], s[18:19]
	s_andn2_b64 exec, exec, s[18:19]
	s_cbranch_execnz .LBB105_88
; %bb.89:                               ;   in Loop: Header=BB105_2 Depth=1
	s_or_b64 exec, exec, s[18:19]
.LBB105_90:                             ;   in Loop: Header=BB105_2 Depth=1
	s_or_b64 exec, exec, s[16:17]
	v_sub_u32_e32 v65, v50, v59
	ds_read_u8 v61, v59
	ds_read_u8 v62, v65 offset:384
	v_sub_u32_e32 v60, v54, v59
	v_cmp_le_i32_e64 s[16:17], v51, v59
	v_cmp_gt_i32_e64 s[14:15], s30, v60
                                        ; implicit-def: $vgpr63
	s_waitcnt lgkmcnt(0)
	v_cmp_lt_u16_sdwa s[18:19], v62, v61 src0_sel:BYTE_0 src1_sel:BYTE_0
	s_or_b64 s[16:17], s[16:17], s[18:19]
	s_and_b64 s[14:15], s[14:15], s[16:17]
	s_xor_b64 s[16:17], s[14:15], -1
	s_and_saveexec_b64 s[18:19], s[16:17]
	s_xor_b64 s[16:17], exec, s[18:19]
; %bb.91:                               ;   in Loop: Header=BB105_2 Depth=1
	ds_read_u8 v63, v59 offset:1
                                        ; implicit-def: $vgpr65
; %bb.92:                               ;   in Loop: Header=BB105_2 Depth=1
	s_or_saveexec_b64 s[16:17], s[16:17]
	v_mov_b32_e32 v64, v62
	s_xor_b64 exec, exec, s[16:17]
	s_cbranch_execz .LBB105_94
; %bb.93:                               ;   in Loop: Header=BB105_2 Depth=1
	ds_read_u8 v64, v65 offset:385
	s_waitcnt lgkmcnt(1)
	v_mov_b32_e32 v63, v61
.LBB105_94:                             ;   in Loop: Header=BB105_2 Depth=1
	s_or_b64 exec, exec, s[16:17]
	v_add_u32_e32 v66, 1, v59
	v_add_u32_e32 v65, 1, v60
	v_cndmask_b32_e64 v69, v66, v59, s[14:15]
	v_cndmask_b32_e64 v65, v60, v65, s[14:15]
	v_cmp_ge_i32_e64 s[18:19], v69, v51
	s_waitcnt lgkmcnt(0)
	v_cmp_lt_u16_sdwa s[20:21], v64, v63 src0_sel:BYTE_0 src1_sel:BYTE_0
	v_cmp_gt_i32_e64 s[16:17], s30, v65
	s_or_b64 s[18:19], s[18:19], s[20:21]
	s_and_b64 s[16:17], s[16:17], s[18:19]
	s_xor_b64 s[18:19], s[16:17], -1
                                        ; implicit-def: $vgpr68
                                        ; implicit-def: $vgpr66
	s_and_saveexec_b64 s[20:21], s[18:19]
	s_xor_b64 s[18:19], exec, s[20:21]
; %bb.95:                               ;   in Loop: Header=BB105_2 Depth=1
	ds_read_u8 v68, v69 offset:1
	v_add_u32_e32 v66, 1, v69
; %bb.96:                               ;   in Loop: Header=BB105_2 Depth=1
	s_or_saveexec_b64 s[18:19], s[18:19]
	v_mov_b32_e32 v67, v69
	v_mov_b32_e32 v70, v64
	s_xor_b64 exec, exec, s[18:19]
	s_cbranch_execz .LBB105_1
; %bb.97:                               ;   in Loop: Header=BB105_2 Depth=1
	ds_read_u8 v70, v65 offset:1
	s_waitcnt lgkmcnt(1)
	v_add_u32_e32 v68, 1, v65
	v_mov_b32_e32 v67, v65
	v_mov_b32_e32 v66, v69
	;; [unrolled: 1-line block ×4, first 2 shown]
	s_branch .LBB105_1
.LBB105_98:
	s_add_u32 s0, s26, s28
	s_addc_u32 s1, s27, 0
	v_mov_b32_e32 v1, s1
	v_add_co_u32_e32 v0, vcc, s0, v0
	s_waitcnt lgkmcnt(2)
	v_add_u16_e32 v2, v61, v57
	v_addc_co_u32_e32 v1, vcc, 0, v1, vcc
	s_waitcnt lgkmcnt(1)
	v_add_u16_e32 v3, v62, v58
	s_waitcnt lgkmcnt(0)
	v_add_u16_e32 v4, v60, v56
	global_store_byte v[0:1], v2, off
	global_store_byte v[0:1], v3, off offset:256
	global_store_byte v[0:1], v4, off offset:512
	s_endpgm
	.section	.rodata,"a",@progbits
	.p2align	6, 0x0
	.amdhsa_kernel _Z17sort_pairs_kernelIhLj256ELj3EN10test_utils4lessELj10EEvPKT_PS2_T2_
		.amdhsa_group_segment_fixed_size 769
		.amdhsa_private_segment_fixed_size 0
		.amdhsa_kernarg_size 20
		.amdhsa_user_sgpr_count 6
		.amdhsa_user_sgpr_private_segment_buffer 1
		.amdhsa_user_sgpr_dispatch_ptr 0
		.amdhsa_user_sgpr_queue_ptr 0
		.amdhsa_user_sgpr_kernarg_segment_ptr 1
		.amdhsa_user_sgpr_dispatch_id 0
		.amdhsa_user_sgpr_flat_scratch_init 0
		.amdhsa_user_sgpr_private_segment_size 0
		.amdhsa_uses_dynamic_stack 0
		.amdhsa_system_sgpr_private_segment_wavefront_offset 0
		.amdhsa_system_sgpr_workgroup_id_x 1
		.amdhsa_system_sgpr_workgroup_id_y 0
		.amdhsa_system_sgpr_workgroup_id_z 0
		.amdhsa_system_sgpr_workgroup_info 0
		.amdhsa_system_vgpr_workitem_id 0
		.amdhsa_next_free_vgpr 71
		.amdhsa_next_free_sgpr 42
		.amdhsa_reserve_vcc 1
		.amdhsa_reserve_flat_scratch 0
		.amdhsa_float_round_mode_32 0
		.amdhsa_float_round_mode_16_64 0
		.amdhsa_float_denorm_mode_32 3
		.amdhsa_float_denorm_mode_16_64 3
		.amdhsa_dx10_clamp 1
		.amdhsa_ieee_mode 1
		.amdhsa_fp16_overflow 0
		.amdhsa_exception_fp_ieee_invalid_op 0
		.amdhsa_exception_fp_denorm_src 0
		.amdhsa_exception_fp_ieee_div_zero 0
		.amdhsa_exception_fp_ieee_overflow 0
		.amdhsa_exception_fp_ieee_underflow 0
		.amdhsa_exception_fp_ieee_inexact 0
		.amdhsa_exception_int_div_zero 0
	.end_amdhsa_kernel
	.section	.text._Z17sort_pairs_kernelIhLj256ELj3EN10test_utils4lessELj10EEvPKT_PS2_T2_,"axG",@progbits,_Z17sort_pairs_kernelIhLj256ELj3EN10test_utils4lessELj10EEvPKT_PS2_T2_,comdat
.Lfunc_end105:
	.size	_Z17sort_pairs_kernelIhLj256ELj3EN10test_utils4lessELj10EEvPKT_PS2_T2_, .Lfunc_end105-_Z17sort_pairs_kernelIhLj256ELj3EN10test_utils4lessELj10EEvPKT_PS2_T2_
                                        ; -- End function
	.set _Z17sort_pairs_kernelIhLj256ELj3EN10test_utils4lessELj10EEvPKT_PS2_T2_.num_vgpr, 71
	.set _Z17sort_pairs_kernelIhLj256ELj3EN10test_utils4lessELj10EEvPKT_PS2_T2_.num_agpr, 0
	.set _Z17sort_pairs_kernelIhLj256ELj3EN10test_utils4lessELj10EEvPKT_PS2_T2_.numbered_sgpr, 42
	.set _Z17sort_pairs_kernelIhLj256ELj3EN10test_utils4lessELj10EEvPKT_PS2_T2_.num_named_barrier, 0
	.set _Z17sort_pairs_kernelIhLj256ELj3EN10test_utils4lessELj10EEvPKT_PS2_T2_.private_seg_size, 0
	.set _Z17sort_pairs_kernelIhLj256ELj3EN10test_utils4lessELj10EEvPKT_PS2_T2_.uses_vcc, 1
	.set _Z17sort_pairs_kernelIhLj256ELj3EN10test_utils4lessELj10EEvPKT_PS2_T2_.uses_flat_scratch, 0
	.set _Z17sort_pairs_kernelIhLj256ELj3EN10test_utils4lessELj10EEvPKT_PS2_T2_.has_dyn_sized_stack, 0
	.set _Z17sort_pairs_kernelIhLj256ELj3EN10test_utils4lessELj10EEvPKT_PS2_T2_.has_recursion, 0
	.set _Z17sort_pairs_kernelIhLj256ELj3EN10test_utils4lessELj10EEvPKT_PS2_T2_.has_indirect_call, 0
	.section	.AMDGPU.csdata,"",@progbits
; Kernel info:
; codeLenInByte = 5860
; TotalNumSgprs: 46
; NumVgprs: 71
; ScratchSize: 0
; MemoryBound: 0
; FloatMode: 240
; IeeeMode: 1
; LDSByteSize: 769 bytes/workgroup (compile time only)
; SGPRBlocks: 5
; VGPRBlocks: 17
; NumSGPRsForWavesPerEU: 46
; NumVGPRsForWavesPerEU: 71
; Occupancy: 3
; WaveLimiterHint : 1
; COMPUTE_PGM_RSRC2:SCRATCH_EN: 0
; COMPUTE_PGM_RSRC2:USER_SGPR: 6
; COMPUTE_PGM_RSRC2:TRAP_HANDLER: 0
; COMPUTE_PGM_RSRC2:TGID_X_EN: 1
; COMPUTE_PGM_RSRC2:TGID_Y_EN: 0
; COMPUTE_PGM_RSRC2:TGID_Z_EN: 0
; COMPUTE_PGM_RSRC2:TIDIG_COMP_CNT: 0
	.section	.text._Z16sort_keys_kernelIhLj256ELj4EN10test_utils4lessELj10EEvPKT_PS2_T2_,"axG",@progbits,_Z16sort_keys_kernelIhLj256ELj4EN10test_utils4lessELj10EEvPKT_PS2_T2_,comdat
	.protected	_Z16sort_keys_kernelIhLj256ELj4EN10test_utils4lessELj10EEvPKT_PS2_T2_ ; -- Begin function _Z16sort_keys_kernelIhLj256ELj4EN10test_utils4lessELj10EEvPKT_PS2_T2_
	.globl	_Z16sort_keys_kernelIhLj256ELj4EN10test_utils4lessELj10EEvPKT_PS2_T2_
	.p2align	8
	.type	_Z16sort_keys_kernelIhLj256ELj4EN10test_utils4lessELj10EEvPKT_PS2_T2_,@function
_Z16sort_keys_kernelIhLj256ELj4EN10test_utils4lessELj10EEvPKT_PS2_T2_: ; @_Z16sort_keys_kernelIhLj256ELj4EN10test_utils4lessELj10EEvPKT_PS2_T2_
; %bb.0:
	s_load_dwordx4 s[20:23], s[4:5], 0x0
	s_lshl_b32 s24, s6, 10
	v_lshlrev_b32_e32 v1, 2, v0
	v_and_b32_e32 v2, 0x3f8, v1
	v_and_b32_e32 v3, 0x3f0, v1
	s_waitcnt lgkmcnt(0)
	s_add_u32 s0, s20, s24
	s_addc_u32 s1, s21, 0
	global_load_ubyte v38, v0, s[0:1] offset:256
	global_load_ubyte v39, v0, s[0:1] offset:512
	;; [unrolled: 1-line block ×3, first 2 shown]
	global_load_ubyte v41, v0, s[0:1]
	v_or_b32_e32 v9, 4, v2
	v_add_u32_e32 v10, 8, v2
	v_and_b32_e32 v33, 4, v1
	v_and_b32_e32 v4, 0x3e0, v1
	v_or_b32_e32 v11, 8, v3
	v_add_u32_e32 v12, 16, v3
	v_sub_u32_e32 v44, v10, v9
	v_and_b32_e32 v34, 12, v1
	v_and_b32_e32 v5, 0x3c0, v1
	v_or_b32_e32 v13, 16, v4
	v_add_u32_e32 v14, 32, v4
	v_sub_u32_e32 v45, v12, v11
	v_sub_u32_e32 v28, v9, v2
	;; [unrolled: 1-line block ×3, first 2 shown]
	v_cmp_ge_i32_e32 vcc, v33, v44
	v_and_b32_e32 v35, 28, v1
	v_and_b32_e32 v6, 0x380, v1
	v_or_b32_e32 v15, 32, v5
	v_add_u32_e32 v16, 64, v5
	v_sub_u32_e32 v46, v14, v13
	v_add_u32_e32 v23, v9, v33
	v_sub_u32_e32 v29, v11, v3
	v_min_i32_e32 v28, v33, v28
	v_sub_u32_e32 v52, v34, v45
	v_cndmask_b32_e32 v33, 0, v51, vcc
	v_cmp_ge_i32_e32 vcc, v34, v45
	s_mov_b32 s8, 0xc0c0004
	v_and_b32_e32 v36, 60, v1
	v_and_b32_e32 v7, 0x300, v1
	v_and_b32_e32 v8, 0x200, v1
	v_or_b32_e32 v17, 64, v6
	v_add_u32_e32 v18, 0x80, v6
	v_sub_u32_e32 v47, v16, v15
	v_add_u32_e32 v24, v11, v34
	v_sub_u32_e32 v30, v13, v4
	v_min_i32_e32 v29, v34, v29
	v_sub_u32_e32 v53, v35, v46
	v_cndmask_b32_e32 v34, 0, v52, vcc
	v_cmp_ge_i32_e32 vcc, v35, v46
	v_and_b32_e32 v37, 0x7c, v1
	v_or_b32_e32 v19, 0x80, v7
	v_add_u32_e32 v20, 0x100, v7
	v_or_b32_e32 v21, 0x100, v8
	v_add_u32_e32 v22, 0x200, v8
	v_sub_u32_e32 v48, v18, v17
	v_add_u32_e32 v25, v13, v35
	v_sub_u32_e32 v31, v15, v5
	v_min_i32_e32 v30, v35, v30
	v_sub_u32_e32 v54, v36, v47
	v_cndmask_b32_e32 v35, 0, v53, vcc
	v_cmp_ge_i32_e32 vcc, v36, v47
	v_and_b32_e32 v42, 0xfc, v1
	v_and_b32_e32 v43, 0x1fc, v1
	v_sub_u32_e32 v49, v20, v19
	v_add_u32_e32 v26, v15, v36
	v_sub_u32_e32 v50, v22, v21
	v_min_i32_e32 v31, v36, v31
	v_sub_u32_e32 v55, v37, v48
	v_cndmask_b32_e32 v36, 0, v54, vcc
	v_cmp_ge_i32_e32 vcc, v37, v48
	v_sub_u32_e32 v32, v17, v6
	v_sub_u32_e32 v56, v42, v49
	;; [unrolled: 1-line block ×3, first 2 shown]
	v_cmp_ge_i32_e64 s[10:11], v43, v50
	v_mov_b32_e32 v44, 0x200
	v_add_u32_e32 v27, v17, v37
	v_min_i32_e32 v32, v37, v32
	v_cndmask_b32_e32 v37, 0, v55, vcc
	v_sub_u32_e64 v45, v1, v44 clamp
	v_min_i32_e32 v46, 0x200, v1
	s_mov_b32 s25, 0
	v_cmp_lt_i32_e32 vcc, v33, v28
	v_cmp_lt_i32_e64 s[0:1], v34, v29
	v_cmp_lt_i32_e64 s[2:3], v35, v30
	;; [unrolled: 1-line block ×5, first 2 shown]
	s_mov_b32 s26, 0x7060405
	s_waitcnt vmcnt(1)
	v_perm_b32 v39, v39, v40, s8
	s_waitcnt vmcnt(0)
	v_perm_b32 v38, v41, v38, s8
	v_lshl_or_b32 v48, v39, 16, v38
	v_sub_u32_e32 v39, v19, v7
	v_cmp_ge_i32_e64 s[8:9], v42, v49
	v_min_i32_e32 v39, v42, v39
	v_add_u32_e32 v40, v19, v42
	v_sub_u32_e32 v42, v21, v8
	v_cndmask_b32_e64 v38, 0, v56, s[8:9]
	v_cndmask_b32_e64 v41, 0, v57, s[10:11]
	v_min_i32_e32 v42, v43, v42
	v_cmp_lt_i32_e64 s[8:9], v38, v39
	v_cmp_lt_i32_e64 s[10:11], v41, v42
	v_add_u32_e32 v43, v21, v43
	s_mov_b32 s27, 0xc0c0001
	s_mov_b32 s28, 0xffff
	s_movk_i32 s29, 0xff00
	s_mov_b32 s30, 0xffff0000
	s_movk_i32 s31, 0x400
	v_add_u32_e32 v47, 0x200, v1
	s_branch .LBB106_2
.LBB106_1:                              ;   in Loop: Header=BB106_2 Depth=1
	s_or_b64 exec, exec, s[20:21]
	v_cndmask_b32_e64 v50, v50, v51, s[16:17]
	v_cndmask_b32_e64 v51, v52, v53, s[18:19]
	v_cmp_ge_i32_e64 s[16:17], v56, v44
	s_waitcnt lgkmcnt(0)
	v_cmp_lt_u16_sdwa s[18:19], v58, v55 src0_sel:BYTE_0 src1_sel:BYTE_0
	v_cndmask_b32_e64 v49, v48, v49, s[14:15]
	v_cmp_gt_i32_e64 s[14:15], s31, v54
	s_or_b64 s[16:17], s[16:17], s[18:19]
	s_and_b64 s[14:15], s[14:15], s[16:17]
	v_cndmask_b32_e64 v52, v55, v58, s[14:15]
	v_lshlrev_b16_e32 v48, 8, v50
	v_lshlrev_b16_e32 v53, 8, v52
	v_or_b32_sdwa v48, v49, v48 dst_sel:DWORD dst_unused:UNUSED_PAD src0_sel:BYTE_0 src1_sel:DWORD
	v_or_b32_sdwa v53, v51, v53 dst_sel:WORD_1 dst_unused:UNUSED_PAD src0_sel:BYTE_0 src1_sel:DWORD
	s_add_i32 s25, s25, 1
	s_cmp_eq_u32 s25, 10
	v_or_b32_sdwa v48, v48, v53 dst_sel:DWORD dst_unused:UNUSED_PAD src0_sel:WORD_0 src1_sel:DWORD
	s_cbranch_scc1 .LBB106_130
.LBB106_2:                              ; =>This Loop Header: Depth=1
                                        ;     Child Loop BB106_4 Depth 2
                                        ;     Child Loop BB106_20 Depth 2
	;; [unrolled: 1-line block ×8, first 2 shown]
	v_lshrrev_b32_e32 v50, 8, v48
	v_perm_b32 v49, v48, v48, s26
	v_cmp_lt_u16_sdwa s[14:15], v50, v48 src0_sel:BYTE_0 src1_sel:BYTE_0
	v_cndmask_b32_e64 v49, v48, v49, s[14:15]
	v_lshrrev_b32_e32 v51, 16, v49
	v_perm_b32 v52, 0, v51, s27
	v_min_u16_sdwa v53, v50, v48 dst_sel:DWORD dst_unused:UNUSED_PAD src0_sel:BYTE_0 src1_sel:BYTE_0
	v_max_u16_sdwa v48, v50, v48 dst_sel:DWORD dst_unused:UNUSED_PAD src0_sel:BYTE_0 src1_sel:BYTE_0
	v_lshlrev_b32_e32 v50, 16, v52
	v_and_or_b32 v50, v49, s28, v50
	v_cmp_lt_u16_sdwa s[14:15], v49, v51 src0_sel:BYTE_3 src1_sel:BYTE_0
	v_cndmask_b32_e64 v50, v49, v50, s[14:15]
	v_max_u16_sdwa v54, v49, v51 dst_sel:DWORD dst_unused:UNUSED_PAD src0_sel:BYTE_3 src1_sel:BYTE_0
	v_min_u16_sdwa v49, v49, v51 dst_sel:DWORD dst_unused:UNUSED_PAD src0_sel:BYTE_3 src1_sel:BYTE_0
	v_and_b32_sdwa v52, v50, s29 dst_sel:DWORD dst_unused:UNUSED_PAD src0_sel:WORD_1 src1_sel:DWORD
	v_lshlrev_b16_e32 v51, 8, v49
	v_or_b32_sdwa v52, v48, v52 dst_sel:WORD_1 dst_unused:UNUSED_PAD src0_sel:DWORD src1_sel:DWORD
	v_or_b32_sdwa v51, v50, v51 dst_sel:DWORD dst_unused:UNUSED_PAD src0_sel:BYTE_0 src1_sel:DWORD
	v_or_b32_sdwa v51, v51, v52 dst_sel:DWORD dst_unused:UNUSED_PAD src0_sel:WORD_0 src1_sel:DWORD
	v_cmp_lt_u16_e64 s[14:15], v49, v48
	v_cndmask_b32_e64 v50, v50, v51, s[14:15]
	v_min_u16_e32 v51, v49, v48
	v_lshlrev_b16_e32 v52, 8, v53
	v_or_b32_e32 v52, v51, v52
	v_and_b32_e32 v52, 0xffff, v52
	v_and_or_b32 v52, v50, s30, v52
	v_max_u16_e32 v55, v49, v48
	v_cmp_lt_u16_e64 s[14:15], v49, v53
	v_cndmask_b32_e64 v49, v50, v52, s[14:15]
	v_cndmask_b32_e64 v50, v51, v53, s[14:15]
	v_lshlrev_b16_e32 v51, 8, v55
	v_or_b32_sdwa v51, v54, v51 dst_sel:WORD_1 dst_unused:UNUSED_PAD src0_sel:DWORD src1_sel:DWORD
	v_and_or_b32 v51, v49, s28, v51
	v_cmp_gt_u16_e64 s[14:15], v48, v54
	v_cndmask_b32_e64 v48, v49, v51, s[14:15]
	v_cndmask_b32_e64 v51, v55, v54, s[14:15]
	v_and_b32_sdwa v49, v48, s29 dst_sel:DWORD dst_unused:UNUSED_PAD src0_sel:WORD_1 src1_sel:DWORD
	v_lshlrev_b16_e32 v52, 8, v51
	v_or_b32_sdwa v49, v50, v49 dst_sel:WORD_1 dst_unused:UNUSED_PAD src0_sel:DWORD src1_sel:DWORD
	v_or_b32_sdwa v52, v48, v52 dst_sel:DWORD dst_unused:UNUSED_PAD src0_sel:BYTE_0 src1_sel:DWORD
	v_or_b32_sdwa v49, v52, v49 dst_sel:DWORD dst_unused:UNUSED_PAD src0_sel:WORD_0 src1_sel:DWORD
	v_cmp_lt_u16_e64 s[14:15], v51, v50
	v_cndmask_b32_e64 v48, v48, v49, s[14:15]
	s_barrier
	ds_write_b32 v1, v48
	v_mov_b32_e32 v48, v33
	s_waitcnt lgkmcnt(0)
	s_barrier
	s_and_saveexec_b64 s[16:17], vcc
	s_cbranch_execz .LBB106_6
; %bb.3:                                ;   in Loop: Header=BB106_2 Depth=1
	s_mov_b64 s[18:19], 0
	v_mov_b32_e32 v48, v33
	v_mov_b32_e32 v49, v28
.LBB106_4:                              ;   Parent Loop BB106_2 Depth=1
                                        ; =>  This Inner Loop Header: Depth=2
	v_sub_u32_e32 v50, v49, v48
	v_lshrrev_b32_e32 v50, 1, v50
	v_add_u32_e32 v50, v50, v48
	v_add_u32_e32 v51, v2, v50
	v_xad_u32 v52, v50, -1, v23
	ds_read_u8 v51, v51
	ds_read_u8 v52, v52
	v_add_u32_e32 v53, 1, v50
	s_waitcnt lgkmcnt(0)
	v_cmp_lt_u16_e64 s[14:15], v52, v51
	v_cndmask_b32_e64 v49, v49, v50, s[14:15]
	v_cndmask_b32_e64 v48, v53, v48, s[14:15]
	v_cmp_ge_i32_e64 s[14:15], v48, v49
	s_or_b64 s[18:19], s[14:15], s[18:19]
	s_andn2_b64 exec, exec, s[18:19]
	s_cbranch_execnz .LBB106_4
; %bb.5:                                ;   in Loop: Header=BB106_2 Depth=1
	s_or_b64 exec, exec, s[18:19]
.LBB106_6:                              ;   in Loop: Header=BB106_2 Depth=1
	s_or_b64 exec, exec, s[16:17]
	v_add_u32_e32 v52, v48, v2
	v_sub_u32_e32 v53, v23, v48
	ds_read_u8 v48, v52
	ds_read_u8 v49, v53
	v_cmp_le_i32_e64 s[16:17], v9, v52
	v_cmp_gt_i32_e64 s[14:15], v10, v53
                                        ; implicit-def: $vgpr50
	s_waitcnt lgkmcnt(0)
	v_cmp_lt_u16_sdwa s[18:19], v49, v48 src0_sel:BYTE_0 src1_sel:BYTE_0
	s_or_b64 s[16:17], s[16:17], s[18:19]
	s_and_b64 s[14:15], s[14:15], s[16:17]
	s_xor_b64 s[16:17], s[14:15], -1
	s_and_saveexec_b64 s[18:19], s[16:17]
	s_xor_b64 s[16:17], exec, s[18:19]
; %bb.7:                                ;   in Loop: Header=BB106_2 Depth=1
	ds_read_u8 v50, v52 offset:1
; %bb.8:                                ;   in Loop: Header=BB106_2 Depth=1
	s_or_saveexec_b64 s[16:17], s[16:17]
	v_mov_b32_e32 v51, v49
	s_xor_b64 exec, exec, s[16:17]
	s_cbranch_execz .LBB106_10
; %bb.9:                                ;   in Loop: Header=BB106_2 Depth=1
	ds_read_u8 v51, v53 offset:1
	s_waitcnt lgkmcnt(1)
	v_mov_b32_e32 v50, v48
.LBB106_10:                             ;   in Loop: Header=BB106_2 Depth=1
	s_or_b64 exec, exec, s[16:17]
	v_add_u32_e32 v55, 1, v52
	v_add_u32_e32 v54, 1, v53
	v_cndmask_b32_e64 v55, v55, v52, s[14:15]
	v_cndmask_b32_e64 v54, v53, v54, s[14:15]
	v_cmp_ge_i32_e64 s[18:19], v55, v9
	s_waitcnt lgkmcnt(0)
	v_cmp_lt_u16_sdwa s[20:21], v51, v50 src0_sel:BYTE_0 src1_sel:BYTE_0
	v_cmp_lt_i32_e64 s[16:17], v54, v10
	s_or_b64 s[18:19], s[18:19], s[20:21]
	s_and_b64 s[16:17], s[16:17], s[18:19]
	s_xor_b64 s[18:19], s[16:17], -1
                                        ; implicit-def: $vgpr52
	s_and_saveexec_b64 s[20:21], s[18:19]
	s_xor_b64 s[18:19], exec, s[20:21]
; %bb.11:                               ;   in Loop: Header=BB106_2 Depth=1
	ds_read_u8 v52, v55 offset:1
; %bb.12:                               ;   in Loop: Header=BB106_2 Depth=1
	s_or_saveexec_b64 s[18:19], s[18:19]
	v_mov_b32_e32 v53, v51
	s_xor_b64 exec, exec, s[18:19]
	s_cbranch_execz .LBB106_14
; %bb.13:                               ;   in Loop: Header=BB106_2 Depth=1
	ds_read_u8 v53, v54 offset:1
	s_waitcnt lgkmcnt(1)
	v_mov_b32_e32 v52, v50
.LBB106_14:                             ;   in Loop: Header=BB106_2 Depth=1
	s_or_b64 exec, exec, s[18:19]
	v_add_u32_e32 v57, 1, v55
	v_add_u32_e32 v56, 1, v54
	v_cndmask_b32_e64 v55, v57, v55, s[16:17]
	v_cndmask_b32_e64 v54, v54, v56, s[16:17]
	v_cmp_ge_i32_e64 s[20:21], v55, v9
	s_waitcnt lgkmcnt(0)
	v_cmp_lt_u16_sdwa s[34:35], v53, v52 src0_sel:BYTE_0 src1_sel:BYTE_0
	v_cmp_lt_i32_e64 s[18:19], v54, v10
	s_or_b64 s[20:21], s[20:21], s[34:35]
	s_and_b64 s[18:19], s[18:19], s[20:21]
	s_xor_b64 s[20:21], s[18:19], -1
                                        ; implicit-def: $vgpr56
	s_and_saveexec_b64 s[34:35], s[20:21]
	s_xor_b64 s[20:21], exec, s[34:35]
; %bb.15:                               ;   in Loop: Header=BB106_2 Depth=1
	ds_read_u8 v56, v55 offset:1
; %bb.16:                               ;   in Loop: Header=BB106_2 Depth=1
	s_or_saveexec_b64 s[20:21], s[20:21]
	v_mov_b32_e32 v57, v53
	s_xor_b64 exec, exec, s[20:21]
	s_cbranch_execz .LBB106_18
; %bb.17:                               ;   in Loop: Header=BB106_2 Depth=1
	ds_read_u8 v57, v54 offset:1
	s_waitcnt lgkmcnt(1)
	v_mov_b32_e32 v56, v52
.LBB106_18:                             ;   in Loop: Header=BB106_2 Depth=1
	s_or_b64 exec, exec, s[20:21]
	v_cndmask_b32_e64 v52, v52, v53, s[18:19]
	v_add_u32_e32 v53, 1, v54
	v_add_u32_e32 v58, 1, v55
	v_cndmask_b32_e64 v53, v54, v53, s[18:19]
	v_cndmask_b32_e64 v54, v58, v55, s[18:19]
	;; [unrolled: 1-line block ×3, first 2 shown]
	v_cmp_ge_i32_e64 s[16:17], v54, v9
	s_waitcnt lgkmcnt(0)
	v_cmp_lt_u16_sdwa s[18:19], v57, v56 src0_sel:BYTE_0 src1_sel:BYTE_0
	v_cndmask_b32_e64 v48, v48, v49, s[14:15]
	v_cmp_lt_i32_e64 s[14:15], v53, v10
	s_or_b64 s[16:17], s[16:17], s[18:19]
	s_and_b64 s[14:15], s[14:15], s[16:17]
	v_cndmask_b32_e64 v49, v56, v57, s[14:15]
	s_barrier
	ds_write_b8 v1, v48
	ds_write_b8 v1, v50 offset:1
	ds_write_b8 v1, v52 offset:2
	;; [unrolled: 1-line block ×3, first 2 shown]
	v_mov_b32_e32 v48, v34
	s_waitcnt lgkmcnt(0)
	s_barrier
	s_and_saveexec_b64 s[16:17], s[0:1]
	s_cbranch_execz .LBB106_22
; %bb.19:                               ;   in Loop: Header=BB106_2 Depth=1
	s_mov_b64 s[18:19], 0
	v_mov_b32_e32 v48, v34
	v_mov_b32_e32 v49, v29
.LBB106_20:                             ;   Parent Loop BB106_2 Depth=1
                                        ; =>  This Inner Loop Header: Depth=2
	v_sub_u32_e32 v50, v49, v48
	v_lshrrev_b32_e32 v50, 1, v50
	v_add_u32_e32 v50, v50, v48
	v_add_u32_e32 v51, v3, v50
	v_xad_u32 v52, v50, -1, v24
	ds_read_u8 v51, v51
	ds_read_u8 v52, v52
	v_add_u32_e32 v53, 1, v50
	s_waitcnt lgkmcnt(0)
	v_cmp_lt_u16_e64 s[14:15], v52, v51
	v_cndmask_b32_e64 v49, v49, v50, s[14:15]
	v_cndmask_b32_e64 v48, v53, v48, s[14:15]
	v_cmp_ge_i32_e64 s[14:15], v48, v49
	s_or_b64 s[18:19], s[14:15], s[18:19]
	s_andn2_b64 exec, exec, s[18:19]
	s_cbranch_execnz .LBB106_20
; %bb.21:                               ;   in Loop: Header=BB106_2 Depth=1
	s_or_b64 exec, exec, s[18:19]
.LBB106_22:                             ;   in Loop: Header=BB106_2 Depth=1
	s_or_b64 exec, exec, s[16:17]
	v_add_u32_e32 v52, v48, v3
	v_sub_u32_e32 v53, v24, v48
	ds_read_u8 v48, v52
	ds_read_u8 v49, v53
	v_cmp_le_i32_e64 s[16:17], v11, v52
	v_cmp_gt_i32_e64 s[14:15], v12, v53
                                        ; implicit-def: $vgpr50
	s_waitcnt lgkmcnt(0)
	v_cmp_lt_u16_sdwa s[18:19], v49, v48 src0_sel:BYTE_0 src1_sel:BYTE_0
	s_or_b64 s[16:17], s[16:17], s[18:19]
	s_and_b64 s[14:15], s[14:15], s[16:17]
	s_xor_b64 s[16:17], s[14:15], -1
	s_and_saveexec_b64 s[18:19], s[16:17]
	s_xor_b64 s[16:17], exec, s[18:19]
; %bb.23:                               ;   in Loop: Header=BB106_2 Depth=1
	ds_read_u8 v50, v52 offset:1
; %bb.24:                               ;   in Loop: Header=BB106_2 Depth=1
	s_or_saveexec_b64 s[16:17], s[16:17]
	v_mov_b32_e32 v51, v49
	s_xor_b64 exec, exec, s[16:17]
	s_cbranch_execz .LBB106_26
; %bb.25:                               ;   in Loop: Header=BB106_2 Depth=1
	ds_read_u8 v51, v53 offset:1
	s_waitcnt lgkmcnt(1)
	v_mov_b32_e32 v50, v48
.LBB106_26:                             ;   in Loop: Header=BB106_2 Depth=1
	s_or_b64 exec, exec, s[16:17]
	v_add_u32_e32 v55, 1, v52
	v_add_u32_e32 v54, 1, v53
	v_cndmask_b32_e64 v55, v55, v52, s[14:15]
	v_cndmask_b32_e64 v54, v53, v54, s[14:15]
	v_cmp_ge_i32_e64 s[18:19], v55, v11
	s_waitcnt lgkmcnt(0)
	v_cmp_lt_u16_sdwa s[20:21], v51, v50 src0_sel:BYTE_0 src1_sel:BYTE_0
	v_cmp_lt_i32_e64 s[16:17], v54, v12
	s_or_b64 s[18:19], s[18:19], s[20:21]
	s_and_b64 s[16:17], s[16:17], s[18:19]
	s_xor_b64 s[18:19], s[16:17], -1
                                        ; implicit-def: $vgpr52
	s_and_saveexec_b64 s[20:21], s[18:19]
	s_xor_b64 s[18:19], exec, s[20:21]
; %bb.27:                               ;   in Loop: Header=BB106_2 Depth=1
	ds_read_u8 v52, v55 offset:1
; %bb.28:                               ;   in Loop: Header=BB106_2 Depth=1
	s_or_saveexec_b64 s[18:19], s[18:19]
	v_mov_b32_e32 v53, v51
	s_xor_b64 exec, exec, s[18:19]
	s_cbranch_execz .LBB106_30
; %bb.29:                               ;   in Loop: Header=BB106_2 Depth=1
	ds_read_u8 v53, v54 offset:1
	s_waitcnt lgkmcnt(1)
	v_mov_b32_e32 v52, v50
.LBB106_30:                             ;   in Loop: Header=BB106_2 Depth=1
	s_or_b64 exec, exec, s[18:19]
	v_add_u32_e32 v57, 1, v55
	v_add_u32_e32 v56, 1, v54
	v_cndmask_b32_e64 v55, v57, v55, s[16:17]
	v_cndmask_b32_e64 v54, v54, v56, s[16:17]
	v_cmp_ge_i32_e64 s[20:21], v55, v11
	s_waitcnt lgkmcnt(0)
	v_cmp_lt_u16_sdwa s[34:35], v53, v52 src0_sel:BYTE_0 src1_sel:BYTE_0
	v_cmp_lt_i32_e64 s[18:19], v54, v12
	s_or_b64 s[20:21], s[20:21], s[34:35]
	s_and_b64 s[18:19], s[18:19], s[20:21]
	s_xor_b64 s[20:21], s[18:19], -1
                                        ; implicit-def: $vgpr56
	s_and_saveexec_b64 s[34:35], s[20:21]
	s_xor_b64 s[20:21], exec, s[34:35]
; %bb.31:                               ;   in Loop: Header=BB106_2 Depth=1
	ds_read_u8 v56, v55 offset:1
; %bb.32:                               ;   in Loop: Header=BB106_2 Depth=1
	s_or_saveexec_b64 s[20:21], s[20:21]
	v_mov_b32_e32 v57, v53
	s_xor_b64 exec, exec, s[20:21]
	s_cbranch_execz .LBB106_34
; %bb.33:                               ;   in Loop: Header=BB106_2 Depth=1
	ds_read_u8 v57, v54 offset:1
	s_waitcnt lgkmcnt(1)
	v_mov_b32_e32 v56, v52
.LBB106_34:                             ;   in Loop: Header=BB106_2 Depth=1
	s_or_b64 exec, exec, s[20:21]
	v_cndmask_b32_e64 v52, v52, v53, s[18:19]
	v_add_u32_e32 v53, 1, v54
	v_add_u32_e32 v58, 1, v55
	v_cndmask_b32_e64 v53, v54, v53, s[18:19]
	v_cndmask_b32_e64 v54, v58, v55, s[18:19]
	;; [unrolled: 1-line block ×3, first 2 shown]
	v_cmp_ge_i32_e64 s[16:17], v54, v11
	s_waitcnt lgkmcnt(0)
	v_cmp_lt_u16_sdwa s[18:19], v57, v56 src0_sel:BYTE_0 src1_sel:BYTE_0
	v_cndmask_b32_e64 v48, v48, v49, s[14:15]
	v_cmp_lt_i32_e64 s[14:15], v53, v12
	s_or_b64 s[16:17], s[16:17], s[18:19]
	s_and_b64 s[14:15], s[14:15], s[16:17]
	v_cndmask_b32_e64 v49, v56, v57, s[14:15]
	s_barrier
	ds_write_b8 v1, v48
	ds_write_b8 v1, v50 offset:1
	ds_write_b8 v1, v52 offset:2
	;; [unrolled: 1-line block ×3, first 2 shown]
	v_mov_b32_e32 v48, v35
	s_waitcnt lgkmcnt(0)
	s_barrier
	s_and_saveexec_b64 s[16:17], s[2:3]
	s_cbranch_execz .LBB106_38
; %bb.35:                               ;   in Loop: Header=BB106_2 Depth=1
	s_mov_b64 s[18:19], 0
	v_mov_b32_e32 v48, v35
	v_mov_b32_e32 v49, v30
.LBB106_36:                             ;   Parent Loop BB106_2 Depth=1
                                        ; =>  This Inner Loop Header: Depth=2
	v_sub_u32_e32 v50, v49, v48
	v_lshrrev_b32_e32 v50, 1, v50
	v_add_u32_e32 v50, v50, v48
	v_add_u32_e32 v51, v4, v50
	v_xad_u32 v52, v50, -1, v25
	ds_read_u8 v51, v51
	ds_read_u8 v52, v52
	v_add_u32_e32 v53, 1, v50
	s_waitcnt lgkmcnt(0)
	v_cmp_lt_u16_e64 s[14:15], v52, v51
	v_cndmask_b32_e64 v49, v49, v50, s[14:15]
	v_cndmask_b32_e64 v48, v53, v48, s[14:15]
	v_cmp_ge_i32_e64 s[14:15], v48, v49
	s_or_b64 s[18:19], s[14:15], s[18:19]
	s_andn2_b64 exec, exec, s[18:19]
	s_cbranch_execnz .LBB106_36
; %bb.37:                               ;   in Loop: Header=BB106_2 Depth=1
	s_or_b64 exec, exec, s[18:19]
.LBB106_38:                             ;   in Loop: Header=BB106_2 Depth=1
	s_or_b64 exec, exec, s[16:17]
	v_add_u32_e32 v52, v48, v4
	v_sub_u32_e32 v53, v25, v48
	ds_read_u8 v48, v52
	ds_read_u8 v49, v53
	v_cmp_le_i32_e64 s[16:17], v13, v52
	v_cmp_gt_i32_e64 s[14:15], v14, v53
                                        ; implicit-def: $vgpr50
	s_waitcnt lgkmcnt(0)
	v_cmp_lt_u16_sdwa s[18:19], v49, v48 src0_sel:BYTE_0 src1_sel:BYTE_0
	s_or_b64 s[16:17], s[16:17], s[18:19]
	s_and_b64 s[14:15], s[14:15], s[16:17]
	s_xor_b64 s[16:17], s[14:15], -1
	s_and_saveexec_b64 s[18:19], s[16:17]
	s_xor_b64 s[16:17], exec, s[18:19]
; %bb.39:                               ;   in Loop: Header=BB106_2 Depth=1
	ds_read_u8 v50, v52 offset:1
; %bb.40:                               ;   in Loop: Header=BB106_2 Depth=1
	s_or_saveexec_b64 s[16:17], s[16:17]
	v_mov_b32_e32 v51, v49
	s_xor_b64 exec, exec, s[16:17]
	s_cbranch_execz .LBB106_42
; %bb.41:                               ;   in Loop: Header=BB106_2 Depth=1
	ds_read_u8 v51, v53 offset:1
	s_waitcnt lgkmcnt(1)
	v_mov_b32_e32 v50, v48
.LBB106_42:                             ;   in Loop: Header=BB106_2 Depth=1
	s_or_b64 exec, exec, s[16:17]
	v_add_u32_e32 v55, 1, v52
	v_add_u32_e32 v54, 1, v53
	v_cndmask_b32_e64 v55, v55, v52, s[14:15]
	v_cndmask_b32_e64 v54, v53, v54, s[14:15]
	v_cmp_ge_i32_e64 s[18:19], v55, v13
	s_waitcnt lgkmcnt(0)
	v_cmp_lt_u16_sdwa s[20:21], v51, v50 src0_sel:BYTE_0 src1_sel:BYTE_0
	v_cmp_lt_i32_e64 s[16:17], v54, v14
	s_or_b64 s[18:19], s[18:19], s[20:21]
	s_and_b64 s[16:17], s[16:17], s[18:19]
	s_xor_b64 s[18:19], s[16:17], -1
                                        ; implicit-def: $vgpr52
	s_and_saveexec_b64 s[20:21], s[18:19]
	s_xor_b64 s[18:19], exec, s[20:21]
; %bb.43:                               ;   in Loop: Header=BB106_2 Depth=1
	ds_read_u8 v52, v55 offset:1
; %bb.44:                               ;   in Loop: Header=BB106_2 Depth=1
	s_or_saveexec_b64 s[18:19], s[18:19]
	v_mov_b32_e32 v53, v51
	s_xor_b64 exec, exec, s[18:19]
	s_cbranch_execz .LBB106_46
; %bb.45:                               ;   in Loop: Header=BB106_2 Depth=1
	ds_read_u8 v53, v54 offset:1
	s_waitcnt lgkmcnt(1)
	v_mov_b32_e32 v52, v50
.LBB106_46:                             ;   in Loop: Header=BB106_2 Depth=1
	s_or_b64 exec, exec, s[18:19]
	v_add_u32_e32 v57, 1, v55
	v_add_u32_e32 v56, 1, v54
	v_cndmask_b32_e64 v55, v57, v55, s[16:17]
	v_cndmask_b32_e64 v54, v54, v56, s[16:17]
	v_cmp_ge_i32_e64 s[20:21], v55, v13
	s_waitcnt lgkmcnt(0)
	v_cmp_lt_u16_sdwa s[34:35], v53, v52 src0_sel:BYTE_0 src1_sel:BYTE_0
	v_cmp_lt_i32_e64 s[18:19], v54, v14
	s_or_b64 s[20:21], s[20:21], s[34:35]
	s_and_b64 s[18:19], s[18:19], s[20:21]
	s_xor_b64 s[20:21], s[18:19], -1
                                        ; implicit-def: $vgpr56
	s_and_saveexec_b64 s[34:35], s[20:21]
	s_xor_b64 s[20:21], exec, s[34:35]
; %bb.47:                               ;   in Loop: Header=BB106_2 Depth=1
	ds_read_u8 v56, v55 offset:1
; %bb.48:                               ;   in Loop: Header=BB106_2 Depth=1
	s_or_saveexec_b64 s[20:21], s[20:21]
	v_mov_b32_e32 v57, v53
	s_xor_b64 exec, exec, s[20:21]
	s_cbranch_execz .LBB106_50
; %bb.49:                               ;   in Loop: Header=BB106_2 Depth=1
	ds_read_u8 v57, v54 offset:1
	s_waitcnt lgkmcnt(1)
	v_mov_b32_e32 v56, v52
.LBB106_50:                             ;   in Loop: Header=BB106_2 Depth=1
	s_or_b64 exec, exec, s[20:21]
	v_cndmask_b32_e64 v52, v52, v53, s[18:19]
	v_add_u32_e32 v53, 1, v54
	v_add_u32_e32 v58, 1, v55
	v_cndmask_b32_e64 v53, v54, v53, s[18:19]
	v_cndmask_b32_e64 v54, v58, v55, s[18:19]
	;; [unrolled: 1-line block ×3, first 2 shown]
	v_cmp_ge_i32_e64 s[16:17], v54, v13
	s_waitcnt lgkmcnt(0)
	v_cmp_lt_u16_sdwa s[18:19], v57, v56 src0_sel:BYTE_0 src1_sel:BYTE_0
	v_cndmask_b32_e64 v48, v48, v49, s[14:15]
	v_cmp_lt_i32_e64 s[14:15], v53, v14
	s_or_b64 s[16:17], s[16:17], s[18:19]
	s_and_b64 s[14:15], s[14:15], s[16:17]
	v_cndmask_b32_e64 v49, v56, v57, s[14:15]
	s_barrier
	ds_write_b8 v1, v48
	ds_write_b8 v1, v50 offset:1
	ds_write_b8 v1, v52 offset:2
	;; [unrolled: 1-line block ×3, first 2 shown]
	v_mov_b32_e32 v48, v36
	s_waitcnt lgkmcnt(0)
	s_barrier
	s_and_saveexec_b64 s[16:17], s[4:5]
	s_cbranch_execz .LBB106_54
; %bb.51:                               ;   in Loop: Header=BB106_2 Depth=1
	s_mov_b64 s[18:19], 0
	v_mov_b32_e32 v48, v36
	v_mov_b32_e32 v49, v31
.LBB106_52:                             ;   Parent Loop BB106_2 Depth=1
                                        ; =>  This Inner Loop Header: Depth=2
	v_sub_u32_e32 v50, v49, v48
	v_lshrrev_b32_e32 v50, 1, v50
	v_add_u32_e32 v50, v50, v48
	v_add_u32_e32 v51, v5, v50
	v_xad_u32 v52, v50, -1, v26
	ds_read_u8 v51, v51
	ds_read_u8 v52, v52
	v_add_u32_e32 v53, 1, v50
	s_waitcnt lgkmcnt(0)
	v_cmp_lt_u16_e64 s[14:15], v52, v51
	v_cndmask_b32_e64 v49, v49, v50, s[14:15]
	v_cndmask_b32_e64 v48, v53, v48, s[14:15]
	v_cmp_ge_i32_e64 s[14:15], v48, v49
	s_or_b64 s[18:19], s[14:15], s[18:19]
	s_andn2_b64 exec, exec, s[18:19]
	s_cbranch_execnz .LBB106_52
; %bb.53:                               ;   in Loop: Header=BB106_2 Depth=1
	s_or_b64 exec, exec, s[18:19]
.LBB106_54:                             ;   in Loop: Header=BB106_2 Depth=1
	s_or_b64 exec, exec, s[16:17]
	v_add_u32_e32 v52, v48, v5
	v_sub_u32_e32 v53, v26, v48
	ds_read_u8 v48, v52
	ds_read_u8 v49, v53
	v_cmp_le_i32_e64 s[16:17], v15, v52
	v_cmp_gt_i32_e64 s[14:15], v16, v53
                                        ; implicit-def: $vgpr50
	s_waitcnt lgkmcnt(0)
	v_cmp_lt_u16_sdwa s[18:19], v49, v48 src0_sel:BYTE_0 src1_sel:BYTE_0
	s_or_b64 s[16:17], s[16:17], s[18:19]
	s_and_b64 s[14:15], s[14:15], s[16:17]
	s_xor_b64 s[16:17], s[14:15], -1
	s_and_saveexec_b64 s[18:19], s[16:17]
	s_xor_b64 s[16:17], exec, s[18:19]
; %bb.55:                               ;   in Loop: Header=BB106_2 Depth=1
	ds_read_u8 v50, v52 offset:1
; %bb.56:                               ;   in Loop: Header=BB106_2 Depth=1
	s_or_saveexec_b64 s[16:17], s[16:17]
	v_mov_b32_e32 v51, v49
	s_xor_b64 exec, exec, s[16:17]
	s_cbranch_execz .LBB106_58
; %bb.57:                               ;   in Loop: Header=BB106_2 Depth=1
	ds_read_u8 v51, v53 offset:1
	s_waitcnt lgkmcnt(1)
	v_mov_b32_e32 v50, v48
.LBB106_58:                             ;   in Loop: Header=BB106_2 Depth=1
	s_or_b64 exec, exec, s[16:17]
	v_add_u32_e32 v55, 1, v52
	v_add_u32_e32 v54, 1, v53
	v_cndmask_b32_e64 v55, v55, v52, s[14:15]
	v_cndmask_b32_e64 v54, v53, v54, s[14:15]
	v_cmp_ge_i32_e64 s[18:19], v55, v15
	s_waitcnt lgkmcnt(0)
	v_cmp_lt_u16_sdwa s[20:21], v51, v50 src0_sel:BYTE_0 src1_sel:BYTE_0
	v_cmp_lt_i32_e64 s[16:17], v54, v16
	s_or_b64 s[18:19], s[18:19], s[20:21]
	s_and_b64 s[16:17], s[16:17], s[18:19]
	s_xor_b64 s[18:19], s[16:17], -1
                                        ; implicit-def: $vgpr52
	s_and_saveexec_b64 s[20:21], s[18:19]
	s_xor_b64 s[18:19], exec, s[20:21]
; %bb.59:                               ;   in Loop: Header=BB106_2 Depth=1
	ds_read_u8 v52, v55 offset:1
; %bb.60:                               ;   in Loop: Header=BB106_2 Depth=1
	s_or_saveexec_b64 s[18:19], s[18:19]
	v_mov_b32_e32 v53, v51
	s_xor_b64 exec, exec, s[18:19]
	s_cbranch_execz .LBB106_62
; %bb.61:                               ;   in Loop: Header=BB106_2 Depth=1
	ds_read_u8 v53, v54 offset:1
	s_waitcnt lgkmcnt(1)
	v_mov_b32_e32 v52, v50
.LBB106_62:                             ;   in Loop: Header=BB106_2 Depth=1
	s_or_b64 exec, exec, s[18:19]
	v_add_u32_e32 v57, 1, v55
	v_add_u32_e32 v56, 1, v54
	v_cndmask_b32_e64 v55, v57, v55, s[16:17]
	v_cndmask_b32_e64 v54, v54, v56, s[16:17]
	v_cmp_ge_i32_e64 s[20:21], v55, v15
	s_waitcnt lgkmcnt(0)
	v_cmp_lt_u16_sdwa s[34:35], v53, v52 src0_sel:BYTE_0 src1_sel:BYTE_0
	v_cmp_lt_i32_e64 s[18:19], v54, v16
	s_or_b64 s[20:21], s[20:21], s[34:35]
	s_and_b64 s[18:19], s[18:19], s[20:21]
	s_xor_b64 s[20:21], s[18:19], -1
                                        ; implicit-def: $vgpr56
	s_and_saveexec_b64 s[34:35], s[20:21]
	s_xor_b64 s[20:21], exec, s[34:35]
; %bb.63:                               ;   in Loop: Header=BB106_2 Depth=1
	ds_read_u8 v56, v55 offset:1
; %bb.64:                               ;   in Loop: Header=BB106_2 Depth=1
	s_or_saveexec_b64 s[20:21], s[20:21]
	v_mov_b32_e32 v57, v53
	s_xor_b64 exec, exec, s[20:21]
	s_cbranch_execz .LBB106_66
; %bb.65:                               ;   in Loop: Header=BB106_2 Depth=1
	ds_read_u8 v57, v54 offset:1
	s_waitcnt lgkmcnt(1)
	v_mov_b32_e32 v56, v52
.LBB106_66:                             ;   in Loop: Header=BB106_2 Depth=1
	s_or_b64 exec, exec, s[20:21]
	v_cndmask_b32_e64 v52, v52, v53, s[18:19]
	v_add_u32_e32 v53, 1, v54
	v_add_u32_e32 v58, 1, v55
	v_cndmask_b32_e64 v53, v54, v53, s[18:19]
	v_cndmask_b32_e64 v54, v58, v55, s[18:19]
	;; [unrolled: 1-line block ×3, first 2 shown]
	v_cmp_ge_i32_e64 s[16:17], v54, v15
	s_waitcnt lgkmcnt(0)
	v_cmp_lt_u16_sdwa s[18:19], v57, v56 src0_sel:BYTE_0 src1_sel:BYTE_0
	v_cndmask_b32_e64 v48, v48, v49, s[14:15]
	v_cmp_lt_i32_e64 s[14:15], v53, v16
	s_or_b64 s[16:17], s[16:17], s[18:19]
	s_and_b64 s[14:15], s[14:15], s[16:17]
	v_cndmask_b32_e64 v49, v56, v57, s[14:15]
	s_barrier
	ds_write_b8 v1, v48
	ds_write_b8 v1, v50 offset:1
	ds_write_b8 v1, v52 offset:2
	;; [unrolled: 1-line block ×3, first 2 shown]
	v_mov_b32_e32 v48, v37
	s_waitcnt lgkmcnt(0)
	s_barrier
	s_and_saveexec_b64 s[16:17], s[6:7]
	s_cbranch_execz .LBB106_70
; %bb.67:                               ;   in Loop: Header=BB106_2 Depth=1
	s_mov_b64 s[18:19], 0
	v_mov_b32_e32 v48, v37
	v_mov_b32_e32 v49, v32
.LBB106_68:                             ;   Parent Loop BB106_2 Depth=1
                                        ; =>  This Inner Loop Header: Depth=2
	v_sub_u32_e32 v50, v49, v48
	v_lshrrev_b32_e32 v50, 1, v50
	v_add_u32_e32 v50, v50, v48
	v_add_u32_e32 v51, v6, v50
	v_xad_u32 v52, v50, -1, v27
	ds_read_u8 v51, v51
	ds_read_u8 v52, v52
	v_add_u32_e32 v53, 1, v50
	s_waitcnt lgkmcnt(0)
	v_cmp_lt_u16_e64 s[14:15], v52, v51
	v_cndmask_b32_e64 v49, v49, v50, s[14:15]
	v_cndmask_b32_e64 v48, v53, v48, s[14:15]
	v_cmp_ge_i32_e64 s[14:15], v48, v49
	s_or_b64 s[18:19], s[14:15], s[18:19]
	s_andn2_b64 exec, exec, s[18:19]
	s_cbranch_execnz .LBB106_68
; %bb.69:                               ;   in Loop: Header=BB106_2 Depth=1
	s_or_b64 exec, exec, s[18:19]
.LBB106_70:                             ;   in Loop: Header=BB106_2 Depth=1
	s_or_b64 exec, exec, s[16:17]
	v_add_u32_e32 v52, v48, v6
	v_sub_u32_e32 v53, v27, v48
	ds_read_u8 v48, v52
	ds_read_u8 v49, v53
	v_cmp_le_i32_e64 s[16:17], v17, v52
	v_cmp_gt_i32_e64 s[14:15], v18, v53
                                        ; implicit-def: $vgpr50
	s_waitcnt lgkmcnt(0)
	v_cmp_lt_u16_sdwa s[18:19], v49, v48 src0_sel:BYTE_0 src1_sel:BYTE_0
	s_or_b64 s[16:17], s[16:17], s[18:19]
	s_and_b64 s[14:15], s[14:15], s[16:17]
	s_xor_b64 s[16:17], s[14:15], -1
	s_and_saveexec_b64 s[18:19], s[16:17]
	s_xor_b64 s[16:17], exec, s[18:19]
; %bb.71:                               ;   in Loop: Header=BB106_2 Depth=1
	ds_read_u8 v50, v52 offset:1
; %bb.72:                               ;   in Loop: Header=BB106_2 Depth=1
	s_or_saveexec_b64 s[16:17], s[16:17]
	v_mov_b32_e32 v51, v49
	s_xor_b64 exec, exec, s[16:17]
	s_cbranch_execz .LBB106_74
; %bb.73:                               ;   in Loop: Header=BB106_2 Depth=1
	ds_read_u8 v51, v53 offset:1
	s_waitcnt lgkmcnt(1)
	v_mov_b32_e32 v50, v48
.LBB106_74:                             ;   in Loop: Header=BB106_2 Depth=1
	s_or_b64 exec, exec, s[16:17]
	v_add_u32_e32 v55, 1, v52
	v_add_u32_e32 v54, 1, v53
	v_cndmask_b32_e64 v55, v55, v52, s[14:15]
	v_cndmask_b32_e64 v54, v53, v54, s[14:15]
	v_cmp_ge_i32_e64 s[18:19], v55, v17
	s_waitcnt lgkmcnt(0)
	v_cmp_lt_u16_sdwa s[20:21], v51, v50 src0_sel:BYTE_0 src1_sel:BYTE_0
	v_cmp_lt_i32_e64 s[16:17], v54, v18
	s_or_b64 s[18:19], s[18:19], s[20:21]
	s_and_b64 s[16:17], s[16:17], s[18:19]
	s_xor_b64 s[18:19], s[16:17], -1
                                        ; implicit-def: $vgpr52
	s_and_saveexec_b64 s[20:21], s[18:19]
	s_xor_b64 s[18:19], exec, s[20:21]
; %bb.75:                               ;   in Loop: Header=BB106_2 Depth=1
	ds_read_u8 v52, v55 offset:1
; %bb.76:                               ;   in Loop: Header=BB106_2 Depth=1
	s_or_saveexec_b64 s[18:19], s[18:19]
	v_mov_b32_e32 v53, v51
	s_xor_b64 exec, exec, s[18:19]
	s_cbranch_execz .LBB106_78
; %bb.77:                               ;   in Loop: Header=BB106_2 Depth=1
	ds_read_u8 v53, v54 offset:1
	s_waitcnt lgkmcnt(1)
	v_mov_b32_e32 v52, v50
.LBB106_78:                             ;   in Loop: Header=BB106_2 Depth=1
	s_or_b64 exec, exec, s[18:19]
	v_add_u32_e32 v57, 1, v55
	v_add_u32_e32 v56, 1, v54
	v_cndmask_b32_e64 v55, v57, v55, s[16:17]
	v_cndmask_b32_e64 v54, v54, v56, s[16:17]
	v_cmp_ge_i32_e64 s[20:21], v55, v17
	s_waitcnt lgkmcnt(0)
	v_cmp_lt_u16_sdwa s[34:35], v53, v52 src0_sel:BYTE_0 src1_sel:BYTE_0
	v_cmp_lt_i32_e64 s[18:19], v54, v18
	s_or_b64 s[20:21], s[20:21], s[34:35]
	s_and_b64 s[18:19], s[18:19], s[20:21]
	s_xor_b64 s[20:21], s[18:19], -1
                                        ; implicit-def: $vgpr56
	s_and_saveexec_b64 s[34:35], s[20:21]
	s_xor_b64 s[20:21], exec, s[34:35]
; %bb.79:                               ;   in Loop: Header=BB106_2 Depth=1
	ds_read_u8 v56, v55 offset:1
; %bb.80:                               ;   in Loop: Header=BB106_2 Depth=1
	s_or_saveexec_b64 s[20:21], s[20:21]
	v_mov_b32_e32 v57, v53
	s_xor_b64 exec, exec, s[20:21]
	s_cbranch_execz .LBB106_82
; %bb.81:                               ;   in Loop: Header=BB106_2 Depth=1
	ds_read_u8 v57, v54 offset:1
	s_waitcnt lgkmcnt(1)
	v_mov_b32_e32 v56, v52
.LBB106_82:                             ;   in Loop: Header=BB106_2 Depth=1
	s_or_b64 exec, exec, s[20:21]
	v_cndmask_b32_e64 v52, v52, v53, s[18:19]
	v_add_u32_e32 v53, 1, v54
	v_add_u32_e32 v58, 1, v55
	v_cndmask_b32_e64 v53, v54, v53, s[18:19]
	v_cndmask_b32_e64 v54, v58, v55, s[18:19]
	;; [unrolled: 1-line block ×3, first 2 shown]
	v_cmp_ge_i32_e64 s[16:17], v54, v17
	s_waitcnt lgkmcnt(0)
	v_cmp_lt_u16_sdwa s[18:19], v57, v56 src0_sel:BYTE_0 src1_sel:BYTE_0
	v_cndmask_b32_e64 v48, v48, v49, s[14:15]
	v_cmp_lt_i32_e64 s[14:15], v53, v18
	s_or_b64 s[16:17], s[16:17], s[18:19]
	s_and_b64 s[14:15], s[14:15], s[16:17]
	v_cndmask_b32_e64 v49, v56, v57, s[14:15]
	s_barrier
	ds_write_b8 v1, v48
	ds_write_b8 v1, v50 offset:1
	ds_write_b8 v1, v52 offset:2
	;; [unrolled: 1-line block ×3, first 2 shown]
	v_mov_b32_e32 v48, v38
	s_waitcnt lgkmcnt(0)
	s_barrier
	s_and_saveexec_b64 s[16:17], s[8:9]
	s_cbranch_execz .LBB106_86
; %bb.83:                               ;   in Loop: Header=BB106_2 Depth=1
	s_mov_b64 s[18:19], 0
	v_mov_b32_e32 v48, v38
	v_mov_b32_e32 v49, v39
.LBB106_84:                             ;   Parent Loop BB106_2 Depth=1
                                        ; =>  This Inner Loop Header: Depth=2
	v_sub_u32_e32 v50, v49, v48
	v_lshrrev_b32_e32 v50, 1, v50
	v_add_u32_e32 v50, v50, v48
	v_add_u32_e32 v51, v7, v50
	v_xad_u32 v52, v50, -1, v40
	ds_read_u8 v51, v51
	ds_read_u8 v52, v52
	v_add_u32_e32 v53, 1, v50
	s_waitcnt lgkmcnt(0)
	v_cmp_lt_u16_e64 s[14:15], v52, v51
	v_cndmask_b32_e64 v49, v49, v50, s[14:15]
	v_cndmask_b32_e64 v48, v53, v48, s[14:15]
	v_cmp_ge_i32_e64 s[14:15], v48, v49
	s_or_b64 s[18:19], s[14:15], s[18:19]
	s_andn2_b64 exec, exec, s[18:19]
	s_cbranch_execnz .LBB106_84
; %bb.85:                               ;   in Loop: Header=BB106_2 Depth=1
	s_or_b64 exec, exec, s[18:19]
.LBB106_86:                             ;   in Loop: Header=BB106_2 Depth=1
	s_or_b64 exec, exec, s[16:17]
	v_add_u32_e32 v52, v48, v7
	v_sub_u32_e32 v53, v40, v48
	ds_read_u8 v48, v52
	ds_read_u8 v49, v53
	v_cmp_le_i32_e64 s[16:17], v19, v52
	v_cmp_gt_i32_e64 s[14:15], v20, v53
                                        ; implicit-def: $vgpr50
	s_waitcnt lgkmcnt(0)
	v_cmp_lt_u16_sdwa s[18:19], v49, v48 src0_sel:BYTE_0 src1_sel:BYTE_0
	s_or_b64 s[16:17], s[16:17], s[18:19]
	s_and_b64 s[14:15], s[14:15], s[16:17]
	s_xor_b64 s[16:17], s[14:15], -1
	s_and_saveexec_b64 s[18:19], s[16:17]
	s_xor_b64 s[16:17], exec, s[18:19]
; %bb.87:                               ;   in Loop: Header=BB106_2 Depth=1
	ds_read_u8 v50, v52 offset:1
; %bb.88:                               ;   in Loop: Header=BB106_2 Depth=1
	s_or_saveexec_b64 s[16:17], s[16:17]
	v_mov_b32_e32 v51, v49
	s_xor_b64 exec, exec, s[16:17]
	s_cbranch_execz .LBB106_90
; %bb.89:                               ;   in Loop: Header=BB106_2 Depth=1
	ds_read_u8 v51, v53 offset:1
	s_waitcnt lgkmcnt(1)
	v_mov_b32_e32 v50, v48
.LBB106_90:                             ;   in Loop: Header=BB106_2 Depth=1
	s_or_b64 exec, exec, s[16:17]
	v_add_u32_e32 v55, 1, v52
	v_add_u32_e32 v54, 1, v53
	v_cndmask_b32_e64 v55, v55, v52, s[14:15]
	v_cndmask_b32_e64 v54, v53, v54, s[14:15]
	v_cmp_ge_i32_e64 s[18:19], v55, v19
	s_waitcnt lgkmcnt(0)
	v_cmp_lt_u16_sdwa s[20:21], v51, v50 src0_sel:BYTE_0 src1_sel:BYTE_0
	v_cmp_lt_i32_e64 s[16:17], v54, v20
	s_or_b64 s[18:19], s[18:19], s[20:21]
	s_and_b64 s[16:17], s[16:17], s[18:19]
	s_xor_b64 s[18:19], s[16:17], -1
                                        ; implicit-def: $vgpr52
	s_and_saveexec_b64 s[20:21], s[18:19]
	s_xor_b64 s[18:19], exec, s[20:21]
; %bb.91:                               ;   in Loop: Header=BB106_2 Depth=1
	ds_read_u8 v52, v55 offset:1
; %bb.92:                               ;   in Loop: Header=BB106_2 Depth=1
	s_or_saveexec_b64 s[18:19], s[18:19]
	v_mov_b32_e32 v53, v51
	s_xor_b64 exec, exec, s[18:19]
	s_cbranch_execz .LBB106_94
; %bb.93:                               ;   in Loop: Header=BB106_2 Depth=1
	ds_read_u8 v53, v54 offset:1
	s_waitcnt lgkmcnt(1)
	v_mov_b32_e32 v52, v50
.LBB106_94:                             ;   in Loop: Header=BB106_2 Depth=1
	s_or_b64 exec, exec, s[18:19]
	v_add_u32_e32 v57, 1, v55
	v_add_u32_e32 v56, 1, v54
	v_cndmask_b32_e64 v55, v57, v55, s[16:17]
	v_cndmask_b32_e64 v54, v54, v56, s[16:17]
	v_cmp_ge_i32_e64 s[20:21], v55, v19
	s_waitcnt lgkmcnt(0)
	v_cmp_lt_u16_sdwa s[34:35], v53, v52 src0_sel:BYTE_0 src1_sel:BYTE_0
	v_cmp_lt_i32_e64 s[18:19], v54, v20
	s_or_b64 s[20:21], s[20:21], s[34:35]
	s_and_b64 s[18:19], s[18:19], s[20:21]
	s_xor_b64 s[20:21], s[18:19], -1
                                        ; implicit-def: $vgpr56
	s_and_saveexec_b64 s[34:35], s[20:21]
	s_xor_b64 s[20:21], exec, s[34:35]
; %bb.95:                               ;   in Loop: Header=BB106_2 Depth=1
	ds_read_u8 v56, v55 offset:1
; %bb.96:                               ;   in Loop: Header=BB106_2 Depth=1
	s_or_saveexec_b64 s[20:21], s[20:21]
	v_mov_b32_e32 v57, v53
	s_xor_b64 exec, exec, s[20:21]
	s_cbranch_execz .LBB106_98
; %bb.97:                               ;   in Loop: Header=BB106_2 Depth=1
	ds_read_u8 v57, v54 offset:1
	s_waitcnt lgkmcnt(1)
	v_mov_b32_e32 v56, v52
.LBB106_98:                             ;   in Loop: Header=BB106_2 Depth=1
	s_or_b64 exec, exec, s[20:21]
	v_cndmask_b32_e64 v52, v52, v53, s[18:19]
	v_add_u32_e32 v53, 1, v54
	v_add_u32_e32 v58, 1, v55
	v_cndmask_b32_e64 v53, v54, v53, s[18:19]
	v_cndmask_b32_e64 v54, v58, v55, s[18:19]
	;; [unrolled: 1-line block ×3, first 2 shown]
	v_cmp_ge_i32_e64 s[16:17], v54, v19
	s_waitcnt lgkmcnt(0)
	v_cmp_lt_u16_sdwa s[18:19], v57, v56 src0_sel:BYTE_0 src1_sel:BYTE_0
	v_cndmask_b32_e64 v48, v48, v49, s[14:15]
	v_cmp_lt_i32_e64 s[14:15], v53, v20
	s_or_b64 s[16:17], s[16:17], s[18:19]
	s_and_b64 s[14:15], s[14:15], s[16:17]
	v_cndmask_b32_e64 v49, v56, v57, s[14:15]
	s_barrier
	ds_write_b8 v1, v48
	ds_write_b8 v1, v50 offset:1
	ds_write_b8 v1, v52 offset:2
	;; [unrolled: 1-line block ×3, first 2 shown]
	v_mov_b32_e32 v48, v41
	s_waitcnt lgkmcnt(0)
	s_barrier
	s_and_saveexec_b64 s[16:17], s[10:11]
	s_cbranch_execz .LBB106_102
; %bb.99:                               ;   in Loop: Header=BB106_2 Depth=1
	s_mov_b64 s[18:19], 0
	v_mov_b32_e32 v48, v41
	v_mov_b32_e32 v49, v42
.LBB106_100:                            ;   Parent Loop BB106_2 Depth=1
                                        ; =>  This Inner Loop Header: Depth=2
	v_sub_u32_e32 v50, v49, v48
	v_lshrrev_b32_e32 v50, 1, v50
	v_add_u32_e32 v50, v50, v48
	v_add_u32_e32 v51, v8, v50
	v_xad_u32 v52, v50, -1, v43
	ds_read_u8 v51, v51
	ds_read_u8 v52, v52
	v_add_u32_e32 v53, 1, v50
	s_waitcnt lgkmcnt(0)
	v_cmp_lt_u16_e64 s[14:15], v52, v51
	v_cndmask_b32_e64 v49, v49, v50, s[14:15]
	v_cndmask_b32_e64 v48, v53, v48, s[14:15]
	v_cmp_ge_i32_e64 s[14:15], v48, v49
	s_or_b64 s[18:19], s[14:15], s[18:19]
	s_andn2_b64 exec, exec, s[18:19]
	s_cbranch_execnz .LBB106_100
; %bb.101:                              ;   in Loop: Header=BB106_2 Depth=1
	s_or_b64 exec, exec, s[18:19]
.LBB106_102:                            ;   in Loop: Header=BB106_2 Depth=1
	s_or_b64 exec, exec, s[16:17]
	v_add_u32_e32 v52, v48, v8
	v_sub_u32_e32 v53, v43, v48
	ds_read_u8 v48, v52
	ds_read_u8 v49, v53
	v_cmp_le_i32_e64 s[16:17], v21, v52
	v_cmp_gt_i32_e64 s[14:15], v22, v53
                                        ; implicit-def: $vgpr50
	s_waitcnt lgkmcnt(0)
	v_cmp_lt_u16_sdwa s[18:19], v49, v48 src0_sel:BYTE_0 src1_sel:BYTE_0
	s_or_b64 s[16:17], s[16:17], s[18:19]
	s_and_b64 s[14:15], s[14:15], s[16:17]
	s_xor_b64 s[16:17], s[14:15], -1
	s_and_saveexec_b64 s[18:19], s[16:17]
	s_xor_b64 s[16:17], exec, s[18:19]
; %bb.103:                              ;   in Loop: Header=BB106_2 Depth=1
	ds_read_u8 v50, v52 offset:1
; %bb.104:                              ;   in Loop: Header=BB106_2 Depth=1
	s_or_saveexec_b64 s[16:17], s[16:17]
	v_mov_b32_e32 v51, v49
	s_xor_b64 exec, exec, s[16:17]
	s_cbranch_execz .LBB106_106
; %bb.105:                              ;   in Loop: Header=BB106_2 Depth=1
	ds_read_u8 v51, v53 offset:1
	s_waitcnt lgkmcnt(1)
	v_mov_b32_e32 v50, v48
.LBB106_106:                            ;   in Loop: Header=BB106_2 Depth=1
	s_or_b64 exec, exec, s[16:17]
	v_add_u32_e32 v55, 1, v52
	v_add_u32_e32 v54, 1, v53
	v_cndmask_b32_e64 v55, v55, v52, s[14:15]
	v_cndmask_b32_e64 v54, v53, v54, s[14:15]
	v_cmp_ge_i32_e64 s[18:19], v55, v21
	s_waitcnt lgkmcnt(0)
	v_cmp_lt_u16_sdwa s[20:21], v51, v50 src0_sel:BYTE_0 src1_sel:BYTE_0
	v_cmp_lt_i32_e64 s[16:17], v54, v22
	s_or_b64 s[18:19], s[18:19], s[20:21]
	s_and_b64 s[16:17], s[16:17], s[18:19]
	s_xor_b64 s[18:19], s[16:17], -1
                                        ; implicit-def: $vgpr52
	s_and_saveexec_b64 s[20:21], s[18:19]
	s_xor_b64 s[18:19], exec, s[20:21]
; %bb.107:                              ;   in Loop: Header=BB106_2 Depth=1
	ds_read_u8 v52, v55 offset:1
; %bb.108:                              ;   in Loop: Header=BB106_2 Depth=1
	s_or_saveexec_b64 s[18:19], s[18:19]
	v_mov_b32_e32 v53, v51
	s_xor_b64 exec, exec, s[18:19]
	s_cbranch_execz .LBB106_110
; %bb.109:                              ;   in Loop: Header=BB106_2 Depth=1
	ds_read_u8 v53, v54 offset:1
	s_waitcnt lgkmcnt(1)
	v_mov_b32_e32 v52, v50
.LBB106_110:                            ;   in Loop: Header=BB106_2 Depth=1
	s_or_b64 exec, exec, s[18:19]
	v_add_u32_e32 v57, 1, v55
	v_add_u32_e32 v56, 1, v54
	v_cndmask_b32_e64 v55, v57, v55, s[16:17]
	v_cndmask_b32_e64 v54, v54, v56, s[16:17]
	v_cmp_ge_i32_e64 s[20:21], v55, v21
	s_waitcnt lgkmcnt(0)
	v_cmp_lt_u16_sdwa s[34:35], v53, v52 src0_sel:BYTE_0 src1_sel:BYTE_0
	v_cmp_lt_i32_e64 s[18:19], v54, v22
	s_or_b64 s[20:21], s[20:21], s[34:35]
	s_and_b64 s[18:19], s[18:19], s[20:21]
	s_xor_b64 s[20:21], s[18:19], -1
                                        ; implicit-def: $vgpr56
	s_and_saveexec_b64 s[34:35], s[20:21]
	s_xor_b64 s[20:21], exec, s[34:35]
; %bb.111:                              ;   in Loop: Header=BB106_2 Depth=1
	ds_read_u8 v56, v55 offset:1
; %bb.112:                              ;   in Loop: Header=BB106_2 Depth=1
	s_or_saveexec_b64 s[20:21], s[20:21]
	v_mov_b32_e32 v57, v53
	s_xor_b64 exec, exec, s[20:21]
	s_cbranch_execz .LBB106_114
; %bb.113:                              ;   in Loop: Header=BB106_2 Depth=1
	ds_read_u8 v57, v54 offset:1
	s_waitcnt lgkmcnt(1)
	v_mov_b32_e32 v56, v52
.LBB106_114:                            ;   in Loop: Header=BB106_2 Depth=1
	s_or_b64 exec, exec, s[20:21]
	v_cndmask_b32_e64 v52, v52, v53, s[18:19]
	v_add_u32_e32 v53, 1, v54
	v_add_u32_e32 v58, 1, v55
	v_cndmask_b32_e64 v53, v54, v53, s[18:19]
	v_cndmask_b32_e64 v54, v58, v55, s[18:19]
	;; [unrolled: 1-line block ×3, first 2 shown]
	v_cmp_ge_i32_e64 s[16:17], v54, v21
	s_waitcnt lgkmcnt(0)
	v_cmp_lt_u16_sdwa s[18:19], v57, v56 src0_sel:BYTE_0 src1_sel:BYTE_0
	v_cndmask_b32_e64 v48, v48, v49, s[14:15]
	v_cmp_lt_i32_e64 s[14:15], v53, v22
	s_or_b64 s[16:17], s[16:17], s[18:19]
	s_and_b64 s[14:15], s[14:15], s[16:17]
	v_cndmask_b32_e64 v49, v56, v57, s[14:15]
	s_barrier
	ds_write_b8 v1, v48
	ds_write_b8 v1, v50 offset:1
	ds_write_b8 v1, v52 offset:2
	;; [unrolled: 1-line block ×3, first 2 shown]
	v_mov_b32_e32 v52, v45
	s_waitcnt lgkmcnt(0)
	s_barrier
	s_and_saveexec_b64 s[16:17], s[12:13]
	s_cbranch_execz .LBB106_118
; %bb.115:                              ;   in Loop: Header=BB106_2 Depth=1
	s_mov_b64 s[18:19], 0
	v_mov_b32_e32 v52, v45
	v_mov_b32_e32 v48, v46
.LBB106_116:                            ;   Parent Loop BB106_2 Depth=1
                                        ; =>  This Inner Loop Header: Depth=2
	v_sub_u32_e32 v49, v48, v52
	v_lshrrev_b32_e32 v49, 1, v49
	v_add_u32_e32 v49, v49, v52
	v_xad_u32 v50, v49, -1, v47
	ds_read_u8 v51, v49
	ds_read_u8 v50, v50
	v_add_u32_e32 v53, 1, v49
	s_waitcnt lgkmcnt(0)
	v_cmp_lt_u16_e64 s[14:15], v50, v51
	v_cndmask_b32_e64 v48, v48, v49, s[14:15]
	v_cndmask_b32_e64 v52, v53, v52, s[14:15]
	v_cmp_ge_i32_e64 s[14:15], v52, v48
	s_or_b64 s[18:19], s[14:15], s[18:19]
	s_andn2_b64 exec, exec, s[18:19]
	s_cbranch_execnz .LBB106_116
; %bb.117:                              ;   in Loop: Header=BB106_2 Depth=1
	s_or_b64 exec, exec, s[18:19]
.LBB106_118:                            ;   in Loop: Header=BB106_2 Depth=1
	s_or_b64 exec, exec, s[16:17]
	v_sub_u32_e32 v53, v47, v52
	ds_read_u8 v48, v52
	ds_read_u8 v49, v53
	v_cmp_le_i32_e64 s[16:17], v44, v52
	v_cmp_gt_i32_e64 s[14:15], s31, v53
                                        ; implicit-def: $vgpr50
	s_waitcnt lgkmcnt(0)
	v_cmp_lt_u16_sdwa s[18:19], v49, v48 src0_sel:BYTE_0 src1_sel:BYTE_0
	s_or_b64 s[16:17], s[16:17], s[18:19]
	s_and_b64 s[14:15], s[14:15], s[16:17]
	s_xor_b64 s[16:17], s[14:15], -1
	s_and_saveexec_b64 s[18:19], s[16:17]
	s_xor_b64 s[16:17], exec, s[18:19]
; %bb.119:                              ;   in Loop: Header=BB106_2 Depth=1
	ds_read_u8 v50, v52 offset:1
; %bb.120:                              ;   in Loop: Header=BB106_2 Depth=1
	s_or_saveexec_b64 s[16:17], s[16:17]
	v_mov_b32_e32 v51, v49
	s_xor_b64 exec, exec, s[16:17]
	s_cbranch_execz .LBB106_122
; %bb.121:                              ;   in Loop: Header=BB106_2 Depth=1
	ds_read_u8 v51, v53 offset:1
	s_waitcnt lgkmcnt(1)
	v_mov_b32_e32 v50, v48
.LBB106_122:                            ;   in Loop: Header=BB106_2 Depth=1
	s_or_b64 exec, exec, s[16:17]
	v_add_u32_e32 v55, 1, v52
	v_add_u32_e32 v54, 1, v53
	v_cndmask_b32_e64 v55, v55, v52, s[14:15]
	v_cndmask_b32_e64 v54, v53, v54, s[14:15]
	v_cmp_ge_i32_e64 s[18:19], v55, v44
	s_waitcnt lgkmcnt(0)
	v_cmp_lt_u16_sdwa s[20:21], v51, v50 src0_sel:BYTE_0 src1_sel:BYTE_0
	v_cmp_gt_i32_e64 s[16:17], s31, v54
	s_or_b64 s[18:19], s[18:19], s[20:21]
	s_and_b64 s[16:17], s[16:17], s[18:19]
	s_xor_b64 s[18:19], s[16:17], -1
                                        ; implicit-def: $vgpr52
	s_and_saveexec_b64 s[20:21], s[18:19]
	s_xor_b64 s[18:19], exec, s[20:21]
; %bb.123:                              ;   in Loop: Header=BB106_2 Depth=1
	ds_read_u8 v52, v55 offset:1
; %bb.124:                              ;   in Loop: Header=BB106_2 Depth=1
	s_or_saveexec_b64 s[18:19], s[18:19]
	v_mov_b32_e32 v53, v51
	s_xor_b64 exec, exec, s[18:19]
	s_cbranch_execz .LBB106_126
; %bb.125:                              ;   in Loop: Header=BB106_2 Depth=1
	ds_read_u8 v53, v54 offset:1
	s_waitcnt lgkmcnt(1)
	v_mov_b32_e32 v52, v50
.LBB106_126:                            ;   in Loop: Header=BB106_2 Depth=1
	s_or_b64 exec, exec, s[18:19]
	v_add_u32_e32 v57, 1, v55
	v_add_u32_e32 v56, 1, v54
	v_cndmask_b32_e64 v57, v57, v55, s[16:17]
	v_cndmask_b32_e64 v54, v54, v56, s[16:17]
	v_cmp_ge_i32_e64 s[20:21], v57, v44
	s_waitcnt lgkmcnt(0)
	v_cmp_lt_u16_sdwa s[34:35], v53, v52 src0_sel:BYTE_0 src1_sel:BYTE_0
	v_cmp_gt_i32_e64 s[18:19], s31, v54
	s_or_b64 s[20:21], s[20:21], s[34:35]
	s_and_b64 s[18:19], s[18:19], s[20:21]
	s_xor_b64 s[20:21], s[18:19], -1
                                        ; implicit-def: $vgpr55
                                        ; implicit-def: $vgpr56
	s_and_saveexec_b64 s[34:35], s[20:21]
	s_xor_b64 s[20:21], exec, s[34:35]
; %bb.127:                              ;   in Loop: Header=BB106_2 Depth=1
	ds_read_u8 v55, v57 offset:1
	v_add_u32_e32 v56, 1, v57
                                        ; implicit-def: $vgpr57
; %bb.128:                              ;   in Loop: Header=BB106_2 Depth=1
	s_or_saveexec_b64 s[20:21], s[20:21]
	v_mov_b32_e32 v58, v53
	s_xor_b64 exec, exec, s[20:21]
	s_cbranch_execz .LBB106_1
; %bb.129:                              ;   in Loop: Header=BB106_2 Depth=1
	ds_read_u8 v58, v54 offset:1
	v_add_u32_e32 v54, 1, v54
	v_mov_b32_e32 v56, v57
	s_waitcnt lgkmcnt(1)
	v_mov_b32_e32 v55, v52
	s_branch .LBB106_1
.LBB106_130:
	s_add_u32 s0, s22, s24
	s_addc_u32 s1, s23, 0
	v_mov_b32_e32 v1, s1
	v_add_co_u32_e32 v0, vcc, s0, v0
	v_addc_co_u32_e32 v1, vcc, 0, v1, vcc
	global_store_byte v[0:1], v49, off
	global_store_byte v[0:1], v50, off offset:256
	global_store_byte v[0:1], v51, off offset:512
	;; [unrolled: 1-line block ×3, first 2 shown]
	s_endpgm
	.section	.rodata,"a",@progbits
	.p2align	6, 0x0
	.amdhsa_kernel _Z16sort_keys_kernelIhLj256ELj4EN10test_utils4lessELj10EEvPKT_PS2_T2_
		.amdhsa_group_segment_fixed_size 1025
		.amdhsa_private_segment_fixed_size 0
		.amdhsa_kernarg_size 20
		.amdhsa_user_sgpr_count 6
		.amdhsa_user_sgpr_private_segment_buffer 1
		.amdhsa_user_sgpr_dispatch_ptr 0
		.amdhsa_user_sgpr_queue_ptr 0
		.amdhsa_user_sgpr_kernarg_segment_ptr 1
		.amdhsa_user_sgpr_dispatch_id 0
		.amdhsa_user_sgpr_flat_scratch_init 0
		.amdhsa_user_sgpr_private_segment_size 0
		.amdhsa_uses_dynamic_stack 0
		.amdhsa_system_sgpr_private_segment_wavefront_offset 0
		.amdhsa_system_sgpr_workgroup_id_x 1
		.amdhsa_system_sgpr_workgroup_id_y 0
		.amdhsa_system_sgpr_workgroup_id_z 0
		.amdhsa_system_sgpr_workgroup_info 0
		.amdhsa_system_vgpr_workitem_id 0
		.amdhsa_next_free_vgpr 59
		.amdhsa_next_free_sgpr 36
		.amdhsa_reserve_vcc 1
		.amdhsa_reserve_flat_scratch 0
		.amdhsa_float_round_mode_32 0
		.amdhsa_float_round_mode_16_64 0
		.amdhsa_float_denorm_mode_32 3
		.amdhsa_float_denorm_mode_16_64 3
		.amdhsa_dx10_clamp 1
		.amdhsa_ieee_mode 1
		.amdhsa_fp16_overflow 0
		.amdhsa_exception_fp_ieee_invalid_op 0
		.amdhsa_exception_fp_denorm_src 0
		.amdhsa_exception_fp_ieee_div_zero 0
		.amdhsa_exception_fp_ieee_overflow 0
		.amdhsa_exception_fp_ieee_underflow 0
		.amdhsa_exception_fp_ieee_inexact 0
		.amdhsa_exception_int_div_zero 0
	.end_amdhsa_kernel
	.section	.text._Z16sort_keys_kernelIhLj256ELj4EN10test_utils4lessELj10EEvPKT_PS2_T2_,"axG",@progbits,_Z16sort_keys_kernelIhLj256ELj4EN10test_utils4lessELj10EEvPKT_PS2_T2_,comdat
.Lfunc_end106:
	.size	_Z16sort_keys_kernelIhLj256ELj4EN10test_utils4lessELj10EEvPKT_PS2_T2_, .Lfunc_end106-_Z16sort_keys_kernelIhLj256ELj4EN10test_utils4lessELj10EEvPKT_PS2_T2_
                                        ; -- End function
	.set _Z16sort_keys_kernelIhLj256ELj4EN10test_utils4lessELj10EEvPKT_PS2_T2_.num_vgpr, 59
	.set _Z16sort_keys_kernelIhLj256ELj4EN10test_utils4lessELj10EEvPKT_PS2_T2_.num_agpr, 0
	.set _Z16sort_keys_kernelIhLj256ELj4EN10test_utils4lessELj10EEvPKT_PS2_T2_.numbered_sgpr, 36
	.set _Z16sort_keys_kernelIhLj256ELj4EN10test_utils4lessELj10EEvPKT_PS2_T2_.num_named_barrier, 0
	.set _Z16sort_keys_kernelIhLj256ELj4EN10test_utils4lessELj10EEvPKT_PS2_T2_.private_seg_size, 0
	.set _Z16sort_keys_kernelIhLj256ELj4EN10test_utils4lessELj10EEvPKT_PS2_T2_.uses_vcc, 1
	.set _Z16sort_keys_kernelIhLj256ELj4EN10test_utils4lessELj10EEvPKT_PS2_T2_.uses_flat_scratch, 0
	.set _Z16sort_keys_kernelIhLj256ELj4EN10test_utils4lessELj10EEvPKT_PS2_T2_.has_dyn_sized_stack, 0
	.set _Z16sort_keys_kernelIhLj256ELj4EN10test_utils4lessELj10EEvPKT_PS2_T2_.has_recursion, 0
	.set _Z16sort_keys_kernelIhLj256ELj4EN10test_utils4lessELj10EEvPKT_PS2_T2_.has_indirect_call, 0
	.section	.AMDGPU.csdata,"",@progbits
; Kernel info:
; codeLenInByte = 5852
; TotalNumSgprs: 40
; NumVgprs: 59
; ScratchSize: 0
; MemoryBound: 0
; FloatMode: 240
; IeeeMode: 1
; LDSByteSize: 1025 bytes/workgroup (compile time only)
; SGPRBlocks: 4
; VGPRBlocks: 14
; NumSGPRsForWavesPerEU: 40
; NumVGPRsForWavesPerEU: 59
; Occupancy: 4
; WaveLimiterHint : 1
; COMPUTE_PGM_RSRC2:SCRATCH_EN: 0
; COMPUTE_PGM_RSRC2:USER_SGPR: 6
; COMPUTE_PGM_RSRC2:TRAP_HANDLER: 0
; COMPUTE_PGM_RSRC2:TGID_X_EN: 1
; COMPUTE_PGM_RSRC2:TGID_Y_EN: 0
; COMPUTE_PGM_RSRC2:TGID_Z_EN: 0
; COMPUTE_PGM_RSRC2:TIDIG_COMP_CNT: 0
	.section	.text._Z17sort_pairs_kernelIhLj256ELj4EN10test_utils4lessELj10EEvPKT_PS2_T2_,"axG",@progbits,_Z17sort_pairs_kernelIhLj256ELj4EN10test_utils4lessELj10EEvPKT_PS2_T2_,comdat
	.protected	_Z17sort_pairs_kernelIhLj256ELj4EN10test_utils4lessELj10EEvPKT_PS2_T2_ ; -- Begin function _Z17sort_pairs_kernelIhLj256ELj4EN10test_utils4lessELj10EEvPKT_PS2_T2_
	.globl	_Z17sort_pairs_kernelIhLj256ELj4EN10test_utils4lessELj10EEvPKT_PS2_T2_
	.p2align	8
	.type	_Z17sort_pairs_kernelIhLj256ELj4EN10test_utils4lessELj10EEvPKT_PS2_T2_,@function
_Z17sort_pairs_kernelIhLj256ELj4EN10test_utils4lessELj10EEvPKT_PS2_T2_: ; @_Z17sort_pairs_kernelIhLj256ELj4EN10test_utils4lessELj10EEvPKT_PS2_T2_
; %bb.0:
	s_load_dwordx4 s[36:39], s[4:5], 0x0
	s_lshl_b32 s33, s6, 10
	v_lshlrev_b32_e32 v1, 2, v0
	v_and_b32_e32 v2, 0x3f8, v1
	v_and_b32_e32 v5, 0x3f0, v1
	s_waitcnt lgkmcnt(0)
	s_add_u32 s0, s36, s33
	s_addc_u32 s1, s37, 0
	global_load_ubyte v53, v0, s[0:1]
	global_load_ubyte v54, v0, s[0:1] offset:256
	global_load_ubyte v55, v0, s[0:1] offset:512
	;; [unrolled: 1-line block ×3, first 2 shown]
	v_and_b32_e32 v8, 0x3e0, v1
	v_and_b32_e32 v11, 0x3c0, v1
	;; [unrolled: 1-line block ×5, first 2 shown]
	v_or_b32_e32 v3, 4, v2
	v_add_u32_e32 v4, 8, v2
	v_or_b32_e32 v6, 8, v5
	v_add_u32_e32 v7, 16, v5
	;; [unrolled: 2-line block ×7, first 2 shown]
	v_and_b32_e32 v25, 4, v1
	v_sub_u32_e32 v23, v4, v3
	v_and_b32_e32 v28, 12, v1
	v_sub_u32_e32 v26, v7, v6
	;; [unrolled: 2-line block ×7, first 2 shown]
	v_sub_u32_e32 v24, v25, v23
	v_sub_u32_e32 v27, v28, v26
	;; [unrolled: 1-line block ×7, first 2 shown]
	v_cmp_ge_i32_e32 vcc, v25, v23
	v_cmp_ge_i32_e64 s[0:1], v28, v26
	v_cmp_ge_i32_e64 s[2:3], v31, v29
	;; [unrolled: 1-line block ×6, first 2 shown]
	v_cndmask_b32_e32 v23, 0, v24, vcc
	v_sub_u32_e32 v24, v3, v2
	v_cndmask_b32_e64 v26, 0, v27, s[0:1]
	v_sub_u32_e32 v27, v6, v5
	v_cndmask_b32_e64 v29, 0, v30, s[2:3]
	;; [unrolled: 2-line block ×6, first 2 shown]
	v_sub_u32_e32 v42, v21, v20
	v_mov_b32_e32 v44, 0x200
	v_min_i32_e32 v24, v25, v24
	v_min_i32_e32 v27, v28, v27
	;; [unrolled: 1-line block ×7, first 2 shown]
	v_sub_u32_e64 v45, v1, v44 clamp
	v_min_i32_e32 v46, 0x200, v1
	s_mov_b32 s36, 0
	v_cmp_lt_i32_e32 vcc, v23, v24
	v_add_u32_e32 v25, v3, v25
	v_cmp_lt_i32_e64 s[0:1], v26, v27
	v_add_u32_e32 v28, v6, v28
	v_cmp_lt_i32_e64 s[2:3], v29, v30
	;; [unrolled: 2-line block ×7, first 2 shown]
	s_mov_b32 s37, 0xc0c0004
	s_mov_b32 s40, 0xc0c0001
	;; [unrolled: 1-line block ×3, first 2 shown]
	s_movk_i32 s42, 0xff00
	s_mov_b32 s43, 0xffff0000
	s_mov_b32 s44, 0x7050604
	s_movk_i32 s45, 0x400
	s_waitcnt vmcnt(3)
	v_add_u16_e32 v48, 1, v53
	s_waitcnt vmcnt(2)
	v_add_u16_e32 v49, 1, v54
	s_waitcnt vmcnt(1)
	v_add_u16_e32 v50, 1, v55
	s_waitcnt vmcnt(0)
	v_add_u16_e32 v51, 1, v52
	v_add_u32_e32 v47, 0x200, v1
	s_branch .LBB107_2
.LBB107_1:                              ;   in Loop: Header=BB107_2 Depth=1
	s_or_b64 exec, exec, s[20:21]
	v_cmp_ge_i32_e64 s[20:21], v64, v44
	s_waitcnt lgkmcnt(0)
	v_cmp_lt_u16_sdwa s[22:23], v67, v65 src0_sel:BYTE_0 src1_sel:BYTE_0
	v_cndmask_b32_e64 v53, v53, v57, s[14:15]
	v_cndmask_b32_e64 v55, v52, v55, s[14:15]
	v_cmp_gt_i32_e64 s[14:15], s45, v62
	s_or_b64 s[20:21], s[20:21], s[22:23]
	s_and_b64 s[14:15], s[14:15], s[20:21]
	v_cndmask_b32_e64 v57, v61, v60, s[16:17]
	v_cndmask_b32_e64 v60, v64, v62, s[14:15]
	s_barrier
	ds_write_b8 v1, v48
	ds_write_b8 v1, v50 offset:1
	ds_write_b8 v1, v51 offset:2
	;; [unrolled: 1-line block ×3, first 2 shown]
	s_waitcnt lgkmcnt(0)
	s_barrier
	ds_read_u8 v48, v55
	ds_read_u8 v50, v63
	;; [unrolled: 1-line block ×4, first 2 shown]
	s_add_i32 s36, s36, 1
	v_cndmask_b32_e64 v52, v65, v67, s[14:15]
	v_cndmask_b32_e64 v54, v54, v56, s[16:17]
	s_cmp_eq_u32 s36, 10
	v_cndmask_b32_e64 v55, v58, v59, s[18:19]
	s_cbranch_scc1 .LBB107_130
.LBB107_2:                              ; =>This Loop Header: Depth=1
                                        ;     Child Loop BB107_4 Depth 2
                                        ;     Child Loop BB107_20 Depth 2
                                        ;     Child Loop BB107_36 Depth 2
                                        ;     Child Loop BB107_52 Depth 2
                                        ;     Child Loop BB107_68 Depth 2
                                        ;     Child Loop BB107_84 Depth 2
                                        ;     Child Loop BB107_100 Depth 2
                                        ;     Child Loop BB107_116 Depth 2
	v_perm_b32 v52, v55, v52, s37
	v_lshlrev_b32_e32 v52, 16, v52
	v_perm_b32 v55, v54, v53, s37
	v_perm_b32 v56, v53, v54, s37
	v_or_b32_e32 v55, v55, v52
	v_or_b32_e32 v52, v56, v52
	v_cmp_lt_u16_sdwa s[14:15], v54, v53 src0_sel:BYTE_0 src1_sel:BYTE_0
	v_cndmask_b32_e64 v52, v52, v55, s[14:15]
	v_lshrrev_b32_e32 v53, 16, v52
	v_perm_b32 v54, 0, v53, s40
	v_lshlrev_b32_e32 v54, 16, v54
	v_and_or_b32 v54, v52, s41, v54
	v_cmp_lt_u16_sdwa s[16:17], v52, v53 src0_sel:BYTE_3 src1_sel:BYTE_0
	v_cndmask_b32_e64 v54, v52, v54, s[16:17]
	v_min_u16_sdwa v52, v52, v53 dst_sel:DWORD dst_unused:UNUSED_PAD src0_sel:BYTE_3 src1_sel:BYTE_0
	v_and_b32_sdwa v55, v54, s42 dst_sel:DWORD dst_unused:UNUSED_PAD src0_sel:WORD_1 src1_sel:DWORD
	v_lshlrev_b16_e32 v56, 8, v52
	v_or_b32_sdwa v55, v54, v55 dst_sel:WORD_1 dst_unused:UNUSED_PAD src0_sel:BYTE_1 src1_sel:DWORD
	v_lshrrev_b32_e32 v53, 8, v54
	v_or_b32_sdwa v56, v54, v56 dst_sel:DWORD dst_unused:UNUSED_PAD src0_sel:BYTE_0 src1_sel:DWORD
	v_or_b32_sdwa v55, v56, v55 dst_sel:DWORD dst_unused:UNUSED_PAD src0_sel:WORD_0 src1_sel:DWORD
	v_cmp_lt_u16_sdwa s[18:19], v52, v53 src0_sel:DWORD src1_sel:BYTE_0
	v_cndmask_b32_e64 v54, v54, v55, s[18:19]
	v_lshlrev_b16_e32 v55, 8, v54
	v_min_u16_sdwa v52, v52, v53 dst_sel:DWORD dst_unused:UNUSED_PAD src0_sel:DWORD src1_sel:BYTE_0
	v_or_b32_e32 v53, v52, v55
	v_and_b32_e32 v53, 0xffff, v53
	v_and_or_b32 v53, v54, s43, v53
	v_cmp_lt_u16_sdwa s[20:21], v52, v54 src0_sel:DWORD src1_sel:BYTE_0
	v_cndmask_b32_e64 v52, v54, v53, s[20:21]
	v_lshrrev_b32_e32 v53, 16, v52
	v_perm_b32 v54, 0, v53, s40
	v_lshlrev_b32_e32 v54, 16, v54
	v_and_or_b32 v54, v52, s41, v54
	v_cmp_lt_u16_sdwa s[22:23], v52, v53 src0_sel:BYTE_3 src1_sel:BYTE_0
	v_cndmask_b32_e64 v54, v52, v54, s[22:23]
	v_min_u16_sdwa v52, v52, v53 dst_sel:DWORD dst_unused:UNUSED_PAD src0_sel:BYTE_3 src1_sel:BYTE_0
	v_and_b32_sdwa v55, v54, s42 dst_sel:DWORD dst_unused:UNUSED_PAD src0_sel:WORD_1 src1_sel:DWORD
	v_lshlrev_b16_e32 v56, 8, v52
	v_or_b32_sdwa v55, v54, v55 dst_sel:WORD_1 dst_unused:UNUSED_PAD src0_sel:BYTE_1 src1_sel:DWORD
	v_lshrrev_b32_e32 v53, 8, v54
	v_or_b32_sdwa v56, v54, v56 dst_sel:DWORD dst_unused:UNUSED_PAD src0_sel:BYTE_0 src1_sel:DWORD
	v_or_b32_sdwa v55, v56, v55 dst_sel:DWORD dst_unused:UNUSED_PAD src0_sel:WORD_0 src1_sel:DWORD
	v_cmp_lt_u16_sdwa s[24:25], v52, v53 src0_sel:DWORD src1_sel:BYTE_0
	v_cndmask_b32_e64 v52, v54, v55, s[24:25]
	v_mov_b32_e32 v53, v23
	s_waitcnt lgkmcnt(0)
	s_barrier
	ds_write_b32 v1, v52
	s_waitcnt lgkmcnt(0)
	s_barrier
	s_and_saveexec_b64 s[28:29], vcc
	s_cbranch_execz .LBB107_6
; %bb.3:                                ;   in Loop: Header=BB107_2 Depth=1
	s_mov_b64 s[30:31], 0
	v_mov_b32_e32 v53, v23
	v_mov_b32_e32 v52, v24
.LBB107_4:                              ;   Parent Loop BB107_2 Depth=1
                                        ; =>  This Inner Loop Header: Depth=2
	v_sub_u32_e32 v54, v52, v53
	v_lshrrev_b32_e32 v54, 1, v54
	v_add_u32_e32 v54, v54, v53
	v_add_u32_e32 v55, v2, v54
	v_xad_u32 v56, v54, -1, v25
	ds_read_u8 v55, v55
	ds_read_u8 v56, v56
	v_add_u32_e32 v57, 1, v54
	s_waitcnt lgkmcnt(0)
	v_cmp_lt_u16_e64 s[26:27], v56, v55
	v_cndmask_b32_e64 v52, v52, v54, s[26:27]
	v_cndmask_b32_e64 v53, v57, v53, s[26:27]
	v_cmp_ge_i32_e64 s[26:27], v53, v52
	s_or_b64 s[30:31], s[26:27], s[30:31]
	s_andn2_b64 exec, exec, s[30:31]
	s_cbranch_execnz .LBB107_4
; %bb.5:                                ;   in Loop: Header=BB107_2 Depth=1
	s_or_b64 exec, exec, s[30:31]
.LBB107_6:                              ;   in Loop: Header=BB107_2 Depth=1
	s_or_b64 exec, exec, s[28:29]
	v_add_u32_e32 v52, v53, v2
	v_sub_u32_e32 v53, v25, v53
	ds_read_u8 v54, v52
	ds_read_u8 v55, v53
	v_cmp_le_i32_e64 s[28:29], v3, v52
	v_cmp_gt_i32_e64 s[26:27], v4, v53
                                        ; implicit-def: $vgpr56
	s_waitcnt lgkmcnt(0)
	v_cmp_lt_u16_sdwa s[30:31], v55, v54 src0_sel:BYTE_0 src1_sel:BYTE_0
	s_or_b64 s[28:29], s[28:29], s[30:31]
	s_and_b64 s[26:27], s[26:27], s[28:29]
	s_xor_b64 s[28:29], s[26:27], -1
	s_and_saveexec_b64 s[30:31], s[28:29]
	s_xor_b64 s[28:29], exec, s[30:31]
; %bb.7:                                ;   in Loop: Header=BB107_2 Depth=1
	ds_read_u8 v56, v52 offset:1
; %bb.8:                                ;   in Loop: Header=BB107_2 Depth=1
	s_or_saveexec_b64 s[28:29], s[28:29]
	v_mov_b32_e32 v57, v55
	s_xor_b64 exec, exec, s[28:29]
	s_cbranch_execz .LBB107_10
; %bb.9:                                ;   in Loop: Header=BB107_2 Depth=1
	ds_read_u8 v57, v53 offset:1
	s_waitcnt lgkmcnt(1)
	v_mov_b32_e32 v56, v54
.LBB107_10:                             ;   in Loop: Header=BB107_2 Depth=1
	s_or_b64 exec, exec, s[28:29]
	v_add_u32_e32 v59, 1, v52
	v_add_u32_e32 v58, 1, v53
	v_cndmask_b32_e64 v59, v59, v52, s[26:27]
	v_cndmask_b32_e64 v58, v53, v58, s[26:27]
	v_cmp_ge_i32_e64 s[30:31], v59, v3
	s_waitcnt lgkmcnt(0)
	v_cmp_lt_u16_sdwa s[34:35], v57, v56 src0_sel:BYTE_0 src1_sel:BYTE_0
	v_cmp_lt_i32_e64 s[28:29], v58, v4
	s_or_b64 s[30:31], s[30:31], s[34:35]
	s_and_b64 s[28:29], s[28:29], s[30:31]
	s_xor_b64 s[30:31], s[28:29], -1
                                        ; implicit-def: $vgpr60
	s_and_saveexec_b64 s[34:35], s[30:31]
	s_xor_b64 s[30:31], exec, s[34:35]
; %bb.11:                               ;   in Loop: Header=BB107_2 Depth=1
	ds_read_u8 v60, v59 offset:1
; %bb.12:                               ;   in Loop: Header=BB107_2 Depth=1
	s_or_saveexec_b64 s[30:31], s[30:31]
	v_mov_b32_e32 v62, v57
	s_xor_b64 exec, exec, s[30:31]
	s_cbranch_execz .LBB107_14
; %bb.13:                               ;   in Loop: Header=BB107_2 Depth=1
	ds_read_u8 v62, v58 offset:1
	s_waitcnt lgkmcnt(1)
	v_mov_b32_e32 v60, v56
.LBB107_14:                             ;   in Loop: Header=BB107_2 Depth=1
	s_or_b64 exec, exec, s[30:31]
	v_add_u32_e32 v63, 1, v59
	v_add_u32_e32 v61, 1, v58
	v_cndmask_b32_e64 v65, v63, v59, s[28:29]
	v_cndmask_b32_e64 v64, v58, v61, s[28:29]
	v_cmp_ge_i32_e64 s[34:35], v65, v3
	s_waitcnt lgkmcnt(0)
	v_cmp_lt_u16_sdwa s[46:47], v62, v60 src0_sel:BYTE_0 src1_sel:BYTE_0
	v_cmp_lt_i32_e64 s[30:31], v64, v4
	s_or_b64 s[34:35], s[34:35], s[46:47]
	s_and_b64 s[30:31], s[30:31], s[34:35]
	s_xor_b64 s[34:35], s[30:31], -1
                                        ; implicit-def: $vgpr61
	s_and_saveexec_b64 s[46:47], s[34:35]
	s_xor_b64 s[34:35], exec, s[46:47]
; %bb.15:                               ;   in Loop: Header=BB107_2 Depth=1
	ds_read_u8 v61, v65 offset:1
; %bb.16:                               ;   in Loop: Header=BB107_2 Depth=1
	s_or_saveexec_b64 s[34:35], s[34:35]
	v_mov_b32_e32 v63, v62
	s_xor_b64 exec, exec, s[34:35]
	s_cbranch_execz .LBB107_18
; %bb.17:                               ;   in Loop: Header=BB107_2 Depth=1
	ds_read_u8 v63, v64 offset:1
	s_waitcnt lgkmcnt(1)
	v_mov_b32_e32 v61, v60
.LBB107_18:                             ;   in Loop: Header=BB107_2 Depth=1
	s_or_b64 exec, exec, s[34:35]
	v_perm_b32 v50, v50, v51, s37
	v_perm_b32 v51, v49, v48, s37
	;; [unrolled: 1-line block ×3, first 2 shown]
	v_cndmask_b32_e64 v48, v48, v51, s[14:15]
	v_perm_b32 v49, 0, v50, s40
	v_lshl_or_b32 v48, v50, 16, v48
	v_lshlrev_b32_e32 v49, 16, v49
	v_and_or_b32 v49, v48, s41, v49
	v_cndmask_b32_e64 v48, v48, v49, s[16:17]
	v_perm_b32 v49, v48, v48, s44
	v_cndmask_b32_e64 v48, v48, v49, s[18:19]
	v_perm_b32 v49, 0, v48, s40
	v_and_or_b32 v49, v48, s43, v49
	v_cndmask_b32_e64 v48, v48, v49, s[20:21]
	v_lshrrev_b32_e32 v49, 16, v48
	v_add_u32_e32 v66, 1, v65
	v_perm_b32 v49, 0, v49, s40
	v_cndmask_b32_e64 v60, v60, v62, s[30:31]
	v_add_u32_e32 v62, 1, v64
	v_cndmask_b32_e64 v66, v66, v65, s[30:31]
	v_lshlrev_b32_e32 v49, 16, v49
	v_cndmask_b32_e64 v62, v64, v62, s[30:31]
	v_and_or_b32 v49, v48, s41, v49
	v_cmp_ge_i32_e64 s[16:17], v66, v3
	s_waitcnt lgkmcnt(0)
	v_cmp_lt_u16_sdwa s[18:19], v63, v61 src0_sel:BYTE_0 src1_sel:BYTE_0
	v_cndmask_b32_e64 v48, v48, v49, s[22:23]
	v_cmp_lt_i32_e64 s[14:15], v62, v4
	s_or_b64 s[16:17], s[16:17], s[18:19]
	v_perm_b32 v49, v48, v48, s44
	s_and_b64 s[14:15], s[14:15], s[16:17]
	v_cndmask_b32_e64 v52, v52, v53, s[26:27]
	v_cndmask_b32_e64 v48, v48, v49, s[24:25]
	;; [unrolled: 1-line block ×6, first 2 shown]
	s_barrier
	ds_write_b32 v1, v48
	s_waitcnt lgkmcnt(0)
	s_barrier
	ds_read_u8 v48, v52
	ds_read_u8 v49, v49
	;; [unrolled: 1-line block ×4, first 2 shown]
	v_cndmask_b32_e64 v54, v54, v55, s[26:27]
	v_cndmask_b32_e64 v53, v61, v63, s[14:15]
	s_waitcnt lgkmcnt(0)
	s_barrier
	ds_write_b8 v1, v54
	ds_write_b8 v1, v56 offset:1
	ds_write_b8 v1, v60 offset:2
	;; [unrolled: 1-line block ×3, first 2 shown]
	v_mov_b32_e32 v53, v26
	s_waitcnt lgkmcnt(0)
	s_barrier
	s_and_saveexec_b64 s[16:17], s[0:1]
	s_cbranch_execz .LBB107_22
; %bb.19:                               ;   in Loop: Header=BB107_2 Depth=1
	s_mov_b64 s[18:19], 0
	v_mov_b32_e32 v53, v26
	v_mov_b32_e32 v52, v27
.LBB107_20:                             ;   Parent Loop BB107_2 Depth=1
                                        ; =>  This Inner Loop Header: Depth=2
	v_sub_u32_e32 v54, v52, v53
	v_lshrrev_b32_e32 v54, 1, v54
	v_add_u32_e32 v54, v54, v53
	v_add_u32_e32 v55, v5, v54
	v_xad_u32 v56, v54, -1, v28
	ds_read_u8 v55, v55
	ds_read_u8 v56, v56
	v_add_u32_e32 v57, 1, v54
	s_waitcnt lgkmcnt(0)
	v_cmp_lt_u16_e64 s[14:15], v56, v55
	v_cndmask_b32_e64 v52, v52, v54, s[14:15]
	v_cndmask_b32_e64 v53, v57, v53, s[14:15]
	v_cmp_ge_i32_e64 s[14:15], v53, v52
	s_or_b64 s[18:19], s[14:15], s[18:19]
	s_andn2_b64 exec, exec, s[18:19]
	s_cbranch_execnz .LBB107_20
; %bb.21:                               ;   in Loop: Header=BB107_2 Depth=1
	s_or_b64 exec, exec, s[18:19]
.LBB107_22:                             ;   in Loop: Header=BB107_2 Depth=1
	s_or_b64 exec, exec, s[16:17]
	v_add_u32_e32 v52, v53, v5
	v_sub_u32_e32 v53, v28, v53
	ds_read_u8 v54, v52
	ds_read_u8 v55, v53
	v_cmp_le_i32_e64 s[16:17], v6, v52
	v_cmp_gt_i32_e64 s[14:15], v7, v53
                                        ; implicit-def: $vgpr56
	s_waitcnt lgkmcnt(0)
	v_cmp_lt_u16_sdwa s[18:19], v55, v54 src0_sel:BYTE_0 src1_sel:BYTE_0
	s_or_b64 s[16:17], s[16:17], s[18:19]
	s_and_b64 s[14:15], s[14:15], s[16:17]
	s_xor_b64 s[16:17], s[14:15], -1
	s_and_saveexec_b64 s[18:19], s[16:17]
	s_xor_b64 s[16:17], exec, s[18:19]
; %bb.23:                               ;   in Loop: Header=BB107_2 Depth=1
	ds_read_u8 v56, v52 offset:1
; %bb.24:                               ;   in Loop: Header=BB107_2 Depth=1
	s_or_saveexec_b64 s[16:17], s[16:17]
	v_mov_b32_e32 v57, v55
	s_xor_b64 exec, exec, s[16:17]
	s_cbranch_execz .LBB107_26
; %bb.25:                               ;   in Loop: Header=BB107_2 Depth=1
	ds_read_u8 v57, v53 offset:1
	s_waitcnt lgkmcnt(1)
	v_mov_b32_e32 v56, v54
.LBB107_26:                             ;   in Loop: Header=BB107_2 Depth=1
	s_or_b64 exec, exec, s[16:17]
	v_add_u32_e32 v59, 1, v52
	v_add_u32_e32 v58, 1, v53
	v_cndmask_b32_e64 v59, v59, v52, s[14:15]
	v_cndmask_b32_e64 v58, v53, v58, s[14:15]
	v_cmp_ge_i32_e64 s[18:19], v59, v6
	s_waitcnt lgkmcnt(0)
	v_cmp_lt_u16_sdwa s[20:21], v57, v56 src0_sel:BYTE_0 src1_sel:BYTE_0
	v_cmp_lt_i32_e64 s[16:17], v58, v7
	s_or_b64 s[18:19], s[18:19], s[20:21]
	s_and_b64 s[16:17], s[16:17], s[18:19]
	s_xor_b64 s[18:19], s[16:17], -1
                                        ; implicit-def: $vgpr60
	s_and_saveexec_b64 s[20:21], s[18:19]
	s_xor_b64 s[18:19], exec, s[20:21]
; %bb.27:                               ;   in Loop: Header=BB107_2 Depth=1
	ds_read_u8 v60, v59 offset:1
; %bb.28:                               ;   in Loop: Header=BB107_2 Depth=1
	s_or_saveexec_b64 s[18:19], s[18:19]
	v_mov_b32_e32 v61, v57
	s_xor_b64 exec, exec, s[18:19]
	s_cbranch_execz .LBB107_30
; %bb.29:                               ;   in Loop: Header=BB107_2 Depth=1
	ds_read_u8 v61, v58 offset:1
	s_waitcnt lgkmcnt(1)
	v_mov_b32_e32 v60, v56
.LBB107_30:                             ;   in Loop: Header=BB107_2 Depth=1
	s_or_b64 exec, exec, s[18:19]
	v_add_u32_e32 v63, 1, v59
	v_add_u32_e32 v62, 1, v58
	v_cndmask_b32_e64 v63, v63, v59, s[16:17]
	v_cndmask_b32_e64 v62, v58, v62, s[16:17]
	v_cmp_ge_i32_e64 s[20:21], v63, v6
	s_waitcnt lgkmcnt(0)
	v_cmp_lt_u16_sdwa s[22:23], v61, v60 src0_sel:BYTE_0 src1_sel:BYTE_0
	v_cmp_lt_i32_e64 s[18:19], v62, v7
	s_or_b64 s[20:21], s[20:21], s[22:23]
	s_and_b64 s[18:19], s[18:19], s[20:21]
	s_xor_b64 s[20:21], s[18:19], -1
                                        ; implicit-def: $vgpr64
	s_and_saveexec_b64 s[22:23], s[20:21]
	s_xor_b64 s[20:21], exec, s[22:23]
; %bb.31:                               ;   in Loop: Header=BB107_2 Depth=1
	ds_read_u8 v64, v63 offset:1
; %bb.32:                               ;   in Loop: Header=BB107_2 Depth=1
	s_or_saveexec_b64 s[20:21], s[20:21]
	v_mov_b32_e32 v65, v61
	s_xor_b64 exec, exec, s[20:21]
	s_cbranch_execz .LBB107_34
; %bb.33:                               ;   in Loop: Header=BB107_2 Depth=1
	ds_read_u8 v65, v62 offset:1
	s_waitcnt lgkmcnt(1)
	v_mov_b32_e32 v64, v60
.LBB107_34:                             ;   in Loop: Header=BB107_2 Depth=1
	s_or_b64 exec, exec, s[20:21]
	v_add_u32_e32 v66, 1, v63
	v_cndmask_b32_e64 v60, v60, v61, s[18:19]
	v_add_u32_e32 v61, 1, v62
	v_cndmask_b32_e64 v66, v66, v63, s[18:19]
	v_cndmask_b32_e64 v61, v62, v61, s[18:19]
	;; [unrolled: 1-line block ×5, first 2 shown]
	v_cmp_ge_i32_e64 s[16:17], v66, v6
	s_waitcnt lgkmcnt(0)
	v_cmp_lt_u16_sdwa s[18:19], v65, v64 src0_sel:BYTE_0 src1_sel:BYTE_0
	v_cndmask_b32_e64 v54, v54, v55, s[14:15]
	v_cndmask_b32_e64 v52, v52, v53, s[14:15]
	v_cmp_lt_i32_e64 s[14:15], v61, v7
	s_or_b64 s[16:17], s[16:17], s[18:19]
	s_and_b64 s[14:15], s[14:15], s[16:17]
	v_cndmask_b32_e64 v55, v66, v61, s[14:15]
	s_barrier
	ds_write_b8 v1, v48
	ds_write_b8 v1, v50 offset:1
	ds_write_b8 v1, v51 offset:2
	;; [unrolled: 1-line block ×3, first 2 shown]
	s_waitcnt lgkmcnt(0)
	s_barrier
	ds_read_u8 v48, v52
	ds_read_u8 v49, v55
	;; [unrolled: 1-line block ×4, first 2 shown]
	v_cndmask_b32_e64 v53, v64, v65, s[14:15]
	s_waitcnt lgkmcnt(0)
	s_barrier
	ds_write_b8 v1, v54
	ds_write_b8 v1, v56 offset:1
	ds_write_b8 v1, v60 offset:2
	ds_write_b8 v1, v53 offset:3
	v_mov_b32_e32 v53, v29
	s_waitcnt lgkmcnt(0)
	s_barrier
	s_and_saveexec_b64 s[16:17], s[2:3]
	s_cbranch_execz .LBB107_38
; %bb.35:                               ;   in Loop: Header=BB107_2 Depth=1
	s_mov_b64 s[18:19], 0
	v_mov_b32_e32 v53, v29
	v_mov_b32_e32 v52, v30
.LBB107_36:                             ;   Parent Loop BB107_2 Depth=1
                                        ; =>  This Inner Loop Header: Depth=2
	v_sub_u32_e32 v54, v52, v53
	v_lshrrev_b32_e32 v54, 1, v54
	v_add_u32_e32 v54, v54, v53
	v_add_u32_e32 v55, v8, v54
	v_xad_u32 v56, v54, -1, v31
	ds_read_u8 v55, v55
	ds_read_u8 v56, v56
	v_add_u32_e32 v57, 1, v54
	s_waitcnt lgkmcnt(0)
	v_cmp_lt_u16_e64 s[14:15], v56, v55
	v_cndmask_b32_e64 v52, v52, v54, s[14:15]
	v_cndmask_b32_e64 v53, v57, v53, s[14:15]
	v_cmp_ge_i32_e64 s[14:15], v53, v52
	s_or_b64 s[18:19], s[14:15], s[18:19]
	s_andn2_b64 exec, exec, s[18:19]
	s_cbranch_execnz .LBB107_36
; %bb.37:                               ;   in Loop: Header=BB107_2 Depth=1
	s_or_b64 exec, exec, s[18:19]
.LBB107_38:                             ;   in Loop: Header=BB107_2 Depth=1
	s_or_b64 exec, exec, s[16:17]
	v_add_u32_e32 v52, v53, v8
	v_sub_u32_e32 v53, v31, v53
	ds_read_u8 v54, v52
	ds_read_u8 v55, v53
	v_cmp_le_i32_e64 s[16:17], v9, v52
	v_cmp_gt_i32_e64 s[14:15], v10, v53
                                        ; implicit-def: $vgpr56
	s_waitcnt lgkmcnt(0)
	v_cmp_lt_u16_sdwa s[18:19], v55, v54 src0_sel:BYTE_0 src1_sel:BYTE_0
	s_or_b64 s[16:17], s[16:17], s[18:19]
	s_and_b64 s[14:15], s[14:15], s[16:17]
	s_xor_b64 s[16:17], s[14:15], -1
	s_and_saveexec_b64 s[18:19], s[16:17]
	s_xor_b64 s[16:17], exec, s[18:19]
; %bb.39:                               ;   in Loop: Header=BB107_2 Depth=1
	ds_read_u8 v56, v52 offset:1
; %bb.40:                               ;   in Loop: Header=BB107_2 Depth=1
	s_or_saveexec_b64 s[16:17], s[16:17]
	v_mov_b32_e32 v57, v55
	s_xor_b64 exec, exec, s[16:17]
	s_cbranch_execz .LBB107_42
; %bb.41:                               ;   in Loop: Header=BB107_2 Depth=1
	ds_read_u8 v57, v53 offset:1
	s_waitcnt lgkmcnt(1)
	v_mov_b32_e32 v56, v54
.LBB107_42:                             ;   in Loop: Header=BB107_2 Depth=1
	s_or_b64 exec, exec, s[16:17]
	v_add_u32_e32 v59, 1, v52
	v_add_u32_e32 v58, 1, v53
	v_cndmask_b32_e64 v59, v59, v52, s[14:15]
	v_cndmask_b32_e64 v58, v53, v58, s[14:15]
	v_cmp_ge_i32_e64 s[18:19], v59, v9
	s_waitcnt lgkmcnt(0)
	v_cmp_lt_u16_sdwa s[20:21], v57, v56 src0_sel:BYTE_0 src1_sel:BYTE_0
	v_cmp_lt_i32_e64 s[16:17], v58, v10
	s_or_b64 s[18:19], s[18:19], s[20:21]
	s_and_b64 s[16:17], s[16:17], s[18:19]
	s_xor_b64 s[18:19], s[16:17], -1
                                        ; implicit-def: $vgpr60
	s_and_saveexec_b64 s[20:21], s[18:19]
	s_xor_b64 s[18:19], exec, s[20:21]
; %bb.43:                               ;   in Loop: Header=BB107_2 Depth=1
	ds_read_u8 v60, v59 offset:1
; %bb.44:                               ;   in Loop: Header=BB107_2 Depth=1
	s_or_saveexec_b64 s[18:19], s[18:19]
	v_mov_b32_e32 v61, v57
	s_xor_b64 exec, exec, s[18:19]
	s_cbranch_execz .LBB107_46
; %bb.45:                               ;   in Loop: Header=BB107_2 Depth=1
	ds_read_u8 v61, v58 offset:1
	s_waitcnt lgkmcnt(1)
	v_mov_b32_e32 v60, v56
.LBB107_46:                             ;   in Loop: Header=BB107_2 Depth=1
	s_or_b64 exec, exec, s[18:19]
	v_add_u32_e32 v63, 1, v59
	v_add_u32_e32 v62, 1, v58
	v_cndmask_b32_e64 v63, v63, v59, s[16:17]
	v_cndmask_b32_e64 v62, v58, v62, s[16:17]
	v_cmp_ge_i32_e64 s[20:21], v63, v9
	s_waitcnt lgkmcnt(0)
	v_cmp_lt_u16_sdwa s[22:23], v61, v60 src0_sel:BYTE_0 src1_sel:BYTE_0
	v_cmp_lt_i32_e64 s[18:19], v62, v10
	s_or_b64 s[20:21], s[20:21], s[22:23]
	s_and_b64 s[18:19], s[18:19], s[20:21]
	s_xor_b64 s[20:21], s[18:19], -1
                                        ; implicit-def: $vgpr64
	s_and_saveexec_b64 s[22:23], s[20:21]
	s_xor_b64 s[20:21], exec, s[22:23]
; %bb.47:                               ;   in Loop: Header=BB107_2 Depth=1
	ds_read_u8 v64, v63 offset:1
; %bb.48:                               ;   in Loop: Header=BB107_2 Depth=1
	s_or_saveexec_b64 s[20:21], s[20:21]
	v_mov_b32_e32 v65, v61
	s_xor_b64 exec, exec, s[20:21]
	s_cbranch_execz .LBB107_50
; %bb.49:                               ;   in Loop: Header=BB107_2 Depth=1
	ds_read_u8 v65, v62 offset:1
	s_waitcnt lgkmcnt(1)
	v_mov_b32_e32 v64, v60
.LBB107_50:                             ;   in Loop: Header=BB107_2 Depth=1
	s_or_b64 exec, exec, s[20:21]
	v_add_u32_e32 v66, 1, v63
	v_cndmask_b32_e64 v60, v60, v61, s[18:19]
	v_add_u32_e32 v61, 1, v62
	v_cndmask_b32_e64 v66, v66, v63, s[18:19]
	v_cndmask_b32_e64 v61, v62, v61, s[18:19]
	;; [unrolled: 1-line block ×5, first 2 shown]
	v_cmp_ge_i32_e64 s[16:17], v66, v9
	s_waitcnt lgkmcnt(0)
	v_cmp_lt_u16_sdwa s[18:19], v65, v64 src0_sel:BYTE_0 src1_sel:BYTE_0
	v_cndmask_b32_e64 v54, v54, v55, s[14:15]
	v_cndmask_b32_e64 v52, v52, v53, s[14:15]
	v_cmp_lt_i32_e64 s[14:15], v61, v10
	s_or_b64 s[16:17], s[16:17], s[18:19]
	s_and_b64 s[14:15], s[14:15], s[16:17]
	v_cndmask_b32_e64 v55, v66, v61, s[14:15]
	s_barrier
	ds_write_b8 v1, v48
	ds_write_b8 v1, v50 offset:1
	ds_write_b8 v1, v51 offset:2
	;; [unrolled: 1-line block ×3, first 2 shown]
	s_waitcnt lgkmcnt(0)
	s_barrier
	ds_read_u8 v48, v52
	ds_read_u8 v49, v55
	;; [unrolled: 1-line block ×4, first 2 shown]
	v_cndmask_b32_e64 v53, v64, v65, s[14:15]
	s_waitcnt lgkmcnt(0)
	s_barrier
	ds_write_b8 v1, v54
	ds_write_b8 v1, v56 offset:1
	ds_write_b8 v1, v60 offset:2
	;; [unrolled: 1-line block ×3, first 2 shown]
	v_mov_b32_e32 v53, v32
	s_waitcnt lgkmcnt(0)
	s_barrier
	s_and_saveexec_b64 s[16:17], s[4:5]
	s_cbranch_execz .LBB107_54
; %bb.51:                               ;   in Loop: Header=BB107_2 Depth=1
	s_mov_b64 s[18:19], 0
	v_mov_b32_e32 v53, v32
	v_mov_b32_e32 v52, v33
.LBB107_52:                             ;   Parent Loop BB107_2 Depth=1
                                        ; =>  This Inner Loop Header: Depth=2
	v_sub_u32_e32 v54, v52, v53
	v_lshrrev_b32_e32 v54, 1, v54
	v_add_u32_e32 v54, v54, v53
	v_add_u32_e32 v55, v11, v54
	v_xad_u32 v56, v54, -1, v34
	ds_read_u8 v55, v55
	ds_read_u8 v56, v56
	v_add_u32_e32 v57, 1, v54
	s_waitcnt lgkmcnt(0)
	v_cmp_lt_u16_e64 s[14:15], v56, v55
	v_cndmask_b32_e64 v52, v52, v54, s[14:15]
	v_cndmask_b32_e64 v53, v57, v53, s[14:15]
	v_cmp_ge_i32_e64 s[14:15], v53, v52
	s_or_b64 s[18:19], s[14:15], s[18:19]
	s_andn2_b64 exec, exec, s[18:19]
	s_cbranch_execnz .LBB107_52
; %bb.53:                               ;   in Loop: Header=BB107_2 Depth=1
	s_or_b64 exec, exec, s[18:19]
.LBB107_54:                             ;   in Loop: Header=BB107_2 Depth=1
	s_or_b64 exec, exec, s[16:17]
	v_add_u32_e32 v52, v53, v11
	v_sub_u32_e32 v53, v34, v53
	ds_read_u8 v54, v52
	ds_read_u8 v55, v53
	v_cmp_le_i32_e64 s[16:17], v12, v52
	v_cmp_gt_i32_e64 s[14:15], v13, v53
                                        ; implicit-def: $vgpr56
	s_waitcnt lgkmcnt(0)
	v_cmp_lt_u16_sdwa s[18:19], v55, v54 src0_sel:BYTE_0 src1_sel:BYTE_0
	s_or_b64 s[16:17], s[16:17], s[18:19]
	s_and_b64 s[14:15], s[14:15], s[16:17]
	s_xor_b64 s[16:17], s[14:15], -1
	s_and_saveexec_b64 s[18:19], s[16:17]
	s_xor_b64 s[16:17], exec, s[18:19]
; %bb.55:                               ;   in Loop: Header=BB107_2 Depth=1
	ds_read_u8 v56, v52 offset:1
; %bb.56:                               ;   in Loop: Header=BB107_2 Depth=1
	s_or_saveexec_b64 s[16:17], s[16:17]
	v_mov_b32_e32 v57, v55
	s_xor_b64 exec, exec, s[16:17]
	s_cbranch_execz .LBB107_58
; %bb.57:                               ;   in Loop: Header=BB107_2 Depth=1
	ds_read_u8 v57, v53 offset:1
	s_waitcnt lgkmcnt(1)
	v_mov_b32_e32 v56, v54
.LBB107_58:                             ;   in Loop: Header=BB107_2 Depth=1
	s_or_b64 exec, exec, s[16:17]
	v_add_u32_e32 v59, 1, v52
	v_add_u32_e32 v58, 1, v53
	v_cndmask_b32_e64 v59, v59, v52, s[14:15]
	v_cndmask_b32_e64 v58, v53, v58, s[14:15]
	v_cmp_ge_i32_e64 s[18:19], v59, v12
	s_waitcnt lgkmcnt(0)
	v_cmp_lt_u16_sdwa s[20:21], v57, v56 src0_sel:BYTE_0 src1_sel:BYTE_0
	v_cmp_lt_i32_e64 s[16:17], v58, v13
	s_or_b64 s[18:19], s[18:19], s[20:21]
	s_and_b64 s[16:17], s[16:17], s[18:19]
	s_xor_b64 s[18:19], s[16:17], -1
                                        ; implicit-def: $vgpr60
	s_and_saveexec_b64 s[20:21], s[18:19]
	s_xor_b64 s[18:19], exec, s[20:21]
; %bb.59:                               ;   in Loop: Header=BB107_2 Depth=1
	ds_read_u8 v60, v59 offset:1
; %bb.60:                               ;   in Loop: Header=BB107_2 Depth=1
	s_or_saveexec_b64 s[18:19], s[18:19]
	v_mov_b32_e32 v61, v57
	s_xor_b64 exec, exec, s[18:19]
	s_cbranch_execz .LBB107_62
; %bb.61:                               ;   in Loop: Header=BB107_2 Depth=1
	ds_read_u8 v61, v58 offset:1
	s_waitcnt lgkmcnt(1)
	v_mov_b32_e32 v60, v56
.LBB107_62:                             ;   in Loop: Header=BB107_2 Depth=1
	s_or_b64 exec, exec, s[18:19]
	v_add_u32_e32 v63, 1, v59
	v_add_u32_e32 v62, 1, v58
	v_cndmask_b32_e64 v63, v63, v59, s[16:17]
	v_cndmask_b32_e64 v62, v58, v62, s[16:17]
	v_cmp_ge_i32_e64 s[20:21], v63, v12
	s_waitcnt lgkmcnt(0)
	v_cmp_lt_u16_sdwa s[22:23], v61, v60 src0_sel:BYTE_0 src1_sel:BYTE_0
	v_cmp_lt_i32_e64 s[18:19], v62, v13
	s_or_b64 s[20:21], s[20:21], s[22:23]
	s_and_b64 s[18:19], s[18:19], s[20:21]
	s_xor_b64 s[20:21], s[18:19], -1
                                        ; implicit-def: $vgpr64
	s_and_saveexec_b64 s[22:23], s[20:21]
	s_xor_b64 s[20:21], exec, s[22:23]
; %bb.63:                               ;   in Loop: Header=BB107_2 Depth=1
	ds_read_u8 v64, v63 offset:1
; %bb.64:                               ;   in Loop: Header=BB107_2 Depth=1
	s_or_saveexec_b64 s[20:21], s[20:21]
	v_mov_b32_e32 v65, v61
	s_xor_b64 exec, exec, s[20:21]
	s_cbranch_execz .LBB107_66
; %bb.65:                               ;   in Loop: Header=BB107_2 Depth=1
	ds_read_u8 v65, v62 offset:1
	s_waitcnt lgkmcnt(1)
	v_mov_b32_e32 v64, v60
.LBB107_66:                             ;   in Loop: Header=BB107_2 Depth=1
	s_or_b64 exec, exec, s[20:21]
	v_add_u32_e32 v66, 1, v63
	v_cndmask_b32_e64 v60, v60, v61, s[18:19]
	v_add_u32_e32 v61, 1, v62
	v_cndmask_b32_e64 v66, v66, v63, s[18:19]
	v_cndmask_b32_e64 v61, v62, v61, s[18:19]
	;; [unrolled: 1-line block ×5, first 2 shown]
	v_cmp_ge_i32_e64 s[16:17], v66, v12
	s_waitcnt lgkmcnt(0)
	v_cmp_lt_u16_sdwa s[18:19], v65, v64 src0_sel:BYTE_0 src1_sel:BYTE_0
	v_cndmask_b32_e64 v54, v54, v55, s[14:15]
	v_cndmask_b32_e64 v52, v52, v53, s[14:15]
	v_cmp_lt_i32_e64 s[14:15], v61, v13
	s_or_b64 s[16:17], s[16:17], s[18:19]
	s_and_b64 s[14:15], s[14:15], s[16:17]
	v_cndmask_b32_e64 v55, v66, v61, s[14:15]
	s_barrier
	ds_write_b8 v1, v48
	ds_write_b8 v1, v50 offset:1
	ds_write_b8 v1, v51 offset:2
	;; [unrolled: 1-line block ×3, first 2 shown]
	s_waitcnt lgkmcnt(0)
	s_barrier
	ds_read_u8 v48, v52
	ds_read_u8 v49, v55
	;; [unrolled: 1-line block ×4, first 2 shown]
	v_cndmask_b32_e64 v53, v64, v65, s[14:15]
	s_waitcnt lgkmcnt(0)
	s_barrier
	ds_write_b8 v1, v54
	ds_write_b8 v1, v56 offset:1
	ds_write_b8 v1, v60 offset:2
	;; [unrolled: 1-line block ×3, first 2 shown]
	v_mov_b32_e32 v53, v35
	s_waitcnt lgkmcnt(0)
	s_barrier
	s_and_saveexec_b64 s[16:17], s[6:7]
	s_cbranch_execz .LBB107_70
; %bb.67:                               ;   in Loop: Header=BB107_2 Depth=1
	s_mov_b64 s[18:19], 0
	v_mov_b32_e32 v53, v35
	v_mov_b32_e32 v52, v36
.LBB107_68:                             ;   Parent Loop BB107_2 Depth=1
                                        ; =>  This Inner Loop Header: Depth=2
	v_sub_u32_e32 v54, v52, v53
	v_lshrrev_b32_e32 v54, 1, v54
	v_add_u32_e32 v54, v54, v53
	v_add_u32_e32 v55, v14, v54
	v_xad_u32 v56, v54, -1, v37
	ds_read_u8 v55, v55
	ds_read_u8 v56, v56
	v_add_u32_e32 v57, 1, v54
	s_waitcnt lgkmcnt(0)
	v_cmp_lt_u16_e64 s[14:15], v56, v55
	v_cndmask_b32_e64 v52, v52, v54, s[14:15]
	v_cndmask_b32_e64 v53, v57, v53, s[14:15]
	v_cmp_ge_i32_e64 s[14:15], v53, v52
	s_or_b64 s[18:19], s[14:15], s[18:19]
	s_andn2_b64 exec, exec, s[18:19]
	s_cbranch_execnz .LBB107_68
; %bb.69:                               ;   in Loop: Header=BB107_2 Depth=1
	s_or_b64 exec, exec, s[18:19]
.LBB107_70:                             ;   in Loop: Header=BB107_2 Depth=1
	s_or_b64 exec, exec, s[16:17]
	v_add_u32_e32 v52, v53, v14
	v_sub_u32_e32 v53, v37, v53
	ds_read_u8 v54, v52
	ds_read_u8 v55, v53
	v_cmp_le_i32_e64 s[16:17], v15, v52
	v_cmp_gt_i32_e64 s[14:15], v16, v53
                                        ; implicit-def: $vgpr56
	s_waitcnt lgkmcnt(0)
	v_cmp_lt_u16_sdwa s[18:19], v55, v54 src0_sel:BYTE_0 src1_sel:BYTE_0
	s_or_b64 s[16:17], s[16:17], s[18:19]
	s_and_b64 s[14:15], s[14:15], s[16:17]
	s_xor_b64 s[16:17], s[14:15], -1
	s_and_saveexec_b64 s[18:19], s[16:17]
	s_xor_b64 s[16:17], exec, s[18:19]
; %bb.71:                               ;   in Loop: Header=BB107_2 Depth=1
	ds_read_u8 v56, v52 offset:1
; %bb.72:                               ;   in Loop: Header=BB107_2 Depth=1
	s_or_saveexec_b64 s[16:17], s[16:17]
	v_mov_b32_e32 v57, v55
	s_xor_b64 exec, exec, s[16:17]
	s_cbranch_execz .LBB107_74
; %bb.73:                               ;   in Loop: Header=BB107_2 Depth=1
	ds_read_u8 v57, v53 offset:1
	s_waitcnt lgkmcnt(1)
	v_mov_b32_e32 v56, v54
.LBB107_74:                             ;   in Loop: Header=BB107_2 Depth=1
	s_or_b64 exec, exec, s[16:17]
	v_add_u32_e32 v59, 1, v52
	v_add_u32_e32 v58, 1, v53
	v_cndmask_b32_e64 v59, v59, v52, s[14:15]
	v_cndmask_b32_e64 v58, v53, v58, s[14:15]
	v_cmp_ge_i32_e64 s[18:19], v59, v15
	s_waitcnt lgkmcnt(0)
	v_cmp_lt_u16_sdwa s[20:21], v57, v56 src0_sel:BYTE_0 src1_sel:BYTE_0
	v_cmp_lt_i32_e64 s[16:17], v58, v16
	s_or_b64 s[18:19], s[18:19], s[20:21]
	s_and_b64 s[16:17], s[16:17], s[18:19]
	s_xor_b64 s[18:19], s[16:17], -1
                                        ; implicit-def: $vgpr60
	s_and_saveexec_b64 s[20:21], s[18:19]
	s_xor_b64 s[18:19], exec, s[20:21]
; %bb.75:                               ;   in Loop: Header=BB107_2 Depth=1
	ds_read_u8 v60, v59 offset:1
; %bb.76:                               ;   in Loop: Header=BB107_2 Depth=1
	s_or_saveexec_b64 s[18:19], s[18:19]
	v_mov_b32_e32 v61, v57
	s_xor_b64 exec, exec, s[18:19]
	s_cbranch_execz .LBB107_78
; %bb.77:                               ;   in Loop: Header=BB107_2 Depth=1
	ds_read_u8 v61, v58 offset:1
	s_waitcnt lgkmcnt(1)
	v_mov_b32_e32 v60, v56
.LBB107_78:                             ;   in Loop: Header=BB107_2 Depth=1
	s_or_b64 exec, exec, s[18:19]
	v_add_u32_e32 v63, 1, v59
	v_add_u32_e32 v62, 1, v58
	v_cndmask_b32_e64 v63, v63, v59, s[16:17]
	v_cndmask_b32_e64 v62, v58, v62, s[16:17]
	v_cmp_ge_i32_e64 s[20:21], v63, v15
	s_waitcnt lgkmcnt(0)
	v_cmp_lt_u16_sdwa s[22:23], v61, v60 src0_sel:BYTE_0 src1_sel:BYTE_0
	v_cmp_lt_i32_e64 s[18:19], v62, v16
	s_or_b64 s[20:21], s[20:21], s[22:23]
	s_and_b64 s[18:19], s[18:19], s[20:21]
	s_xor_b64 s[20:21], s[18:19], -1
                                        ; implicit-def: $vgpr64
	s_and_saveexec_b64 s[22:23], s[20:21]
	s_xor_b64 s[20:21], exec, s[22:23]
; %bb.79:                               ;   in Loop: Header=BB107_2 Depth=1
	ds_read_u8 v64, v63 offset:1
; %bb.80:                               ;   in Loop: Header=BB107_2 Depth=1
	s_or_saveexec_b64 s[20:21], s[20:21]
	v_mov_b32_e32 v65, v61
	s_xor_b64 exec, exec, s[20:21]
	s_cbranch_execz .LBB107_82
; %bb.81:                               ;   in Loop: Header=BB107_2 Depth=1
	ds_read_u8 v65, v62 offset:1
	s_waitcnt lgkmcnt(1)
	v_mov_b32_e32 v64, v60
.LBB107_82:                             ;   in Loop: Header=BB107_2 Depth=1
	s_or_b64 exec, exec, s[20:21]
	v_add_u32_e32 v66, 1, v63
	v_cndmask_b32_e64 v60, v60, v61, s[18:19]
	v_add_u32_e32 v61, 1, v62
	v_cndmask_b32_e64 v66, v66, v63, s[18:19]
	v_cndmask_b32_e64 v61, v62, v61, s[18:19]
	;; [unrolled: 1-line block ×5, first 2 shown]
	v_cmp_ge_i32_e64 s[16:17], v66, v15
	s_waitcnt lgkmcnt(0)
	v_cmp_lt_u16_sdwa s[18:19], v65, v64 src0_sel:BYTE_0 src1_sel:BYTE_0
	v_cndmask_b32_e64 v54, v54, v55, s[14:15]
	v_cndmask_b32_e64 v52, v52, v53, s[14:15]
	v_cmp_lt_i32_e64 s[14:15], v61, v16
	s_or_b64 s[16:17], s[16:17], s[18:19]
	s_and_b64 s[14:15], s[14:15], s[16:17]
	v_cndmask_b32_e64 v55, v66, v61, s[14:15]
	s_barrier
	ds_write_b8 v1, v48
	ds_write_b8 v1, v50 offset:1
	ds_write_b8 v1, v51 offset:2
	;; [unrolled: 1-line block ×3, first 2 shown]
	s_waitcnt lgkmcnt(0)
	s_barrier
	ds_read_u8 v48, v52
	ds_read_u8 v49, v55
	ds_read_u8 v50, v57
	ds_read_u8 v51, v62
	v_cndmask_b32_e64 v53, v64, v65, s[14:15]
	s_waitcnt lgkmcnt(0)
	s_barrier
	ds_write_b8 v1, v54
	ds_write_b8 v1, v56 offset:1
	ds_write_b8 v1, v60 offset:2
	;; [unrolled: 1-line block ×3, first 2 shown]
	v_mov_b32_e32 v53, v38
	s_waitcnt lgkmcnt(0)
	s_barrier
	s_and_saveexec_b64 s[16:17], s[8:9]
	s_cbranch_execz .LBB107_86
; %bb.83:                               ;   in Loop: Header=BB107_2 Depth=1
	s_mov_b64 s[18:19], 0
	v_mov_b32_e32 v53, v38
	v_mov_b32_e32 v52, v39
.LBB107_84:                             ;   Parent Loop BB107_2 Depth=1
                                        ; =>  This Inner Loop Header: Depth=2
	v_sub_u32_e32 v54, v52, v53
	v_lshrrev_b32_e32 v54, 1, v54
	v_add_u32_e32 v54, v54, v53
	v_add_u32_e32 v55, v17, v54
	v_xad_u32 v56, v54, -1, v40
	ds_read_u8 v55, v55
	ds_read_u8 v56, v56
	v_add_u32_e32 v57, 1, v54
	s_waitcnt lgkmcnt(0)
	v_cmp_lt_u16_e64 s[14:15], v56, v55
	v_cndmask_b32_e64 v52, v52, v54, s[14:15]
	v_cndmask_b32_e64 v53, v57, v53, s[14:15]
	v_cmp_ge_i32_e64 s[14:15], v53, v52
	s_or_b64 s[18:19], s[14:15], s[18:19]
	s_andn2_b64 exec, exec, s[18:19]
	s_cbranch_execnz .LBB107_84
; %bb.85:                               ;   in Loop: Header=BB107_2 Depth=1
	s_or_b64 exec, exec, s[18:19]
.LBB107_86:                             ;   in Loop: Header=BB107_2 Depth=1
	s_or_b64 exec, exec, s[16:17]
	v_add_u32_e32 v52, v53, v17
	v_sub_u32_e32 v53, v40, v53
	ds_read_u8 v54, v52
	ds_read_u8 v55, v53
	v_cmp_le_i32_e64 s[16:17], v18, v52
	v_cmp_gt_i32_e64 s[14:15], v19, v53
                                        ; implicit-def: $vgpr56
	s_waitcnt lgkmcnt(0)
	v_cmp_lt_u16_sdwa s[18:19], v55, v54 src0_sel:BYTE_0 src1_sel:BYTE_0
	s_or_b64 s[16:17], s[16:17], s[18:19]
	s_and_b64 s[14:15], s[14:15], s[16:17]
	s_xor_b64 s[16:17], s[14:15], -1
	s_and_saveexec_b64 s[18:19], s[16:17]
	s_xor_b64 s[16:17], exec, s[18:19]
; %bb.87:                               ;   in Loop: Header=BB107_2 Depth=1
	ds_read_u8 v56, v52 offset:1
; %bb.88:                               ;   in Loop: Header=BB107_2 Depth=1
	s_or_saveexec_b64 s[16:17], s[16:17]
	v_mov_b32_e32 v57, v55
	s_xor_b64 exec, exec, s[16:17]
	s_cbranch_execz .LBB107_90
; %bb.89:                               ;   in Loop: Header=BB107_2 Depth=1
	ds_read_u8 v57, v53 offset:1
	s_waitcnt lgkmcnt(1)
	v_mov_b32_e32 v56, v54
.LBB107_90:                             ;   in Loop: Header=BB107_2 Depth=1
	s_or_b64 exec, exec, s[16:17]
	v_add_u32_e32 v59, 1, v52
	v_add_u32_e32 v58, 1, v53
	v_cndmask_b32_e64 v59, v59, v52, s[14:15]
	v_cndmask_b32_e64 v58, v53, v58, s[14:15]
	v_cmp_ge_i32_e64 s[18:19], v59, v18
	s_waitcnt lgkmcnt(0)
	v_cmp_lt_u16_sdwa s[20:21], v57, v56 src0_sel:BYTE_0 src1_sel:BYTE_0
	v_cmp_lt_i32_e64 s[16:17], v58, v19
	s_or_b64 s[18:19], s[18:19], s[20:21]
	s_and_b64 s[16:17], s[16:17], s[18:19]
	s_xor_b64 s[18:19], s[16:17], -1
                                        ; implicit-def: $vgpr60
	s_and_saveexec_b64 s[20:21], s[18:19]
	s_xor_b64 s[18:19], exec, s[20:21]
; %bb.91:                               ;   in Loop: Header=BB107_2 Depth=1
	ds_read_u8 v60, v59 offset:1
; %bb.92:                               ;   in Loop: Header=BB107_2 Depth=1
	s_or_saveexec_b64 s[18:19], s[18:19]
	v_mov_b32_e32 v61, v57
	s_xor_b64 exec, exec, s[18:19]
	s_cbranch_execz .LBB107_94
; %bb.93:                               ;   in Loop: Header=BB107_2 Depth=1
	ds_read_u8 v61, v58 offset:1
	s_waitcnt lgkmcnt(1)
	v_mov_b32_e32 v60, v56
.LBB107_94:                             ;   in Loop: Header=BB107_2 Depth=1
	s_or_b64 exec, exec, s[18:19]
	v_add_u32_e32 v63, 1, v59
	v_add_u32_e32 v62, 1, v58
	v_cndmask_b32_e64 v63, v63, v59, s[16:17]
	v_cndmask_b32_e64 v62, v58, v62, s[16:17]
	v_cmp_ge_i32_e64 s[20:21], v63, v18
	s_waitcnt lgkmcnt(0)
	v_cmp_lt_u16_sdwa s[22:23], v61, v60 src0_sel:BYTE_0 src1_sel:BYTE_0
	v_cmp_lt_i32_e64 s[18:19], v62, v19
	s_or_b64 s[20:21], s[20:21], s[22:23]
	s_and_b64 s[18:19], s[18:19], s[20:21]
	s_xor_b64 s[20:21], s[18:19], -1
                                        ; implicit-def: $vgpr64
	s_and_saveexec_b64 s[22:23], s[20:21]
	s_xor_b64 s[20:21], exec, s[22:23]
; %bb.95:                               ;   in Loop: Header=BB107_2 Depth=1
	ds_read_u8 v64, v63 offset:1
; %bb.96:                               ;   in Loop: Header=BB107_2 Depth=1
	s_or_saveexec_b64 s[20:21], s[20:21]
	v_mov_b32_e32 v65, v61
	s_xor_b64 exec, exec, s[20:21]
	s_cbranch_execz .LBB107_98
; %bb.97:                               ;   in Loop: Header=BB107_2 Depth=1
	ds_read_u8 v65, v62 offset:1
	s_waitcnt lgkmcnt(1)
	v_mov_b32_e32 v64, v60
.LBB107_98:                             ;   in Loop: Header=BB107_2 Depth=1
	s_or_b64 exec, exec, s[20:21]
	v_add_u32_e32 v66, 1, v63
	v_cndmask_b32_e64 v60, v60, v61, s[18:19]
	v_add_u32_e32 v61, 1, v62
	v_cndmask_b32_e64 v66, v66, v63, s[18:19]
	v_cndmask_b32_e64 v61, v62, v61, s[18:19]
	;; [unrolled: 1-line block ×5, first 2 shown]
	v_cmp_ge_i32_e64 s[16:17], v66, v18
	s_waitcnt lgkmcnt(0)
	v_cmp_lt_u16_sdwa s[18:19], v65, v64 src0_sel:BYTE_0 src1_sel:BYTE_0
	v_cndmask_b32_e64 v54, v54, v55, s[14:15]
	v_cndmask_b32_e64 v52, v52, v53, s[14:15]
	v_cmp_lt_i32_e64 s[14:15], v61, v19
	s_or_b64 s[16:17], s[16:17], s[18:19]
	s_and_b64 s[14:15], s[14:15], s[16:17]
	v_cndmask_b32_e64 v55, v66, v61, s[14:15]
	s_barrier
	ds_write_b8 v1, v48
	ds_write_b8 v1, v50 offset:1
	ds_write_b8 v1, v51 offset:2
	;; [unrolled: 1-line block ×3, first 2 shown]
	s_waitcnt lgkmcnt(0)
	s_barrier
	ds_read_u8 v48, v52
	ds_read_u8 v49, v55
	;; [unrolled: 1-line block ×4, first 2 shown]
	v_cndmask_b32_e64 v53, v64, v65, s[14:15]
	s_waitcnt lgkmcnt(0)
	s_barrier
	ds_write_b8 v1, v54
	ds_write_b8 v1, v56 offset:1
	ds_write_b8 v1, v60 offset:2
	;; [unrolled: 1-line block ×3, first 2 shown]
	v_mov_b32_e32 v53, v41
	s_waitcnt lgkmcnt(0)
	s_barrier
	s_and_saveexec_b64 s[16:17], s[10:11]
	s_cbranch_execz .LBB107_102
; %bb.99:                               ;   in Loop: Header=BB107_2 Depth=1
	s_mov_b64 s[18:19], 0
	v_mov_b32_e32 v53, v41
	v_mov_b32_e32 v52, v42
.LBB107_100:                            ;   Parent Loop BB107_2 Depth=1
                                        ; =>  This Inner Loop Header: Depth=2
	v_sub_u32_e32 v54, v52, v53
	v_lshrrev_b32_e32 v54, 1, v54
	v_add_u32_e32 v54, v54, v53
	v_add_u32_e32 v55, v20, v54
	v_xad_u32 v56, v54, -1, v43
	ds_read_u8 v55, v55
	ds_read_u8 v56, v56
	v_add_u32_e32 v57, 1, v54
	s_waitcnt lgkmcnt(0)
	v_cmp_lt_u16_e64 s[14:15], v56, v55
	v_cndmask_b32_e64 v52, v52, v54, s[14:15]
	v_cndmask_b32_e64 v53, v57, v53, s[14:15]
	v_cmp_ge_i32_e64 s[14:15], v53, v52
	s_or_b64 s[18:19], s[14:15], s[18:19]
	s_andn2_b64 exec, exec, s[18:19]
	s_cbranch_execnz .LBB107_100
; %bb.101:                              ;   in Loop: Header=BB107_2 Depth=1
	s_or_b64 exec, exec, s[18:19]
.LBB107_102:                            ;   in Loop: Header=BB107_2 Depth=1
	s_or_b64 exec, exec, s[16:17]
	v_add_u32_e32 v52, v53, v20
	v_sub_u32_e32 v53, v43, v53
	ds_read_u8 v54, v52
	ds_read_u8 v55, v53
	v_cmp_le_i32_e64 s[16:17], v21, v52
	v_cmp_gt_i32_e64 s[14:15], v22, v53
                                        ; implicit-def: $vgpr56
	s_waitcnt lgkmcnt(0)
	v_cmp_lt_u16_sdwa s[18:19], v55, v54 src0_sel:BYTE_0 src1_sel:BYTE_0
	s_or_b64 s[16:17], s[16:17], s[18:19]
	s_and_b64 s[14:15], s[14:15], s[16:17]
	s_xor_b64 s[16:17], s[14:15], -1
	s_and_saveexec_b64 s[18:19], s[16:17]
	s_xor_b64 s[16:17], exec, s[18:19]
; %bb.103:                              ;   in Loop: Header=BB107_2 Depth=1
	ds_read_u8 v56, v52 offset:1
; %bb.104:                              ;   in Loop: Header=BB107_2 Depth=1
	s_or_saveexec_b64 s[16:17], s[16:17]
	v_mov_b32_e32 v57, v55
	s_xor_b64 exec, exec, s[16:17]
	s_cbranch_execz .LBB107_106
; %bb.105:                              ;   in Loop: Header=BB107_2 Depth=1
	ds_read_u8 v57, v53 offset:1
	s_waitcnt lgkmcnt(1)
	v_mov_b32_e32 v56, v54
.LBB107_106:                            ;   in Loop: Header=BB107_2 Depth=1
	s_or_b64 exec, exec, s[16:17]
	v_add_u32_e32 v59, 1, v52
	v_add_u32_e32 v58, 1, v53
	v_cndmask_b32_e64 v59, v59, v52, s[14:15]
	v_cndmask_b32_e64 v58, v53, v58, s[14:15]
	v_cmp_ge_i32_e64 s[18:19], v59, v21
	s_waitcnt lgkmcnt(0)
	v_cmp_lt_u16_sdwa s[20:21], v57, v56 src0_sel:BYTE_0 src1_sel:BYTE_0
	v_cmp_lt_i32_e64 s[16:17], v58, v22
	s_or_b64 s[18:19], s[18:19], s[20:21]
	s_and_b64 s[16:17], s[16:17], s[18:19]
	s_xor_b64 s[18:19], s[16:17], -1
                                        ; implicit-def: $vgpr60
	s_and_saveexec_b64 s[20:21], s[18:19]
	s_xor_b64 s[18:19], exec, s[20:21]
; %bb.107:                              ;   in Loop: Header=BB107_2 Depth=1
	ds_read_u8 v60, v59 offset:1
; %bb.108:                              ;   in Loop: Header=BB107_2 Depth=1
	s_or_saveexec_b64 s[18:19], s[18:19]
	v_mov_b32_e32 v61, v57
	s_xor_b64 exec, exec, s[18:19]
	s_cbranch_execz .LBB107_110
; %bb.109:                              ;   in Loop: Header=BB107_2 Depth=1
	ds_read_u8 v61, v58 offset:1
	s_waitcnt lgkmcnt(1)
	v_mov_b32_e32 v60, v56
.LBB107_110:                            ;   in Loop: Header=BB107_2 Depth=1
	s_or_b64 exec, exec, s[18:19]
	v_add_u32_e32 v63, 1, v59
	v_add_u32_e32 v62, 1, v58
	v_cndmask_b32_e64 v63, v63, v59, s[16:17]
	v_cndmask_b32_e64 v62, v58, v62, s[16:17]
	v_cmp_ge_i32_e64 s[20:21], v63, v21
	s_waitcnt lgkmcnt(0)
	v_cmp_lt_u16_sdwa s[22:23], v61, v60 src0_sel:BYTE_0 src1_sel:BYTE_0
	v_cmp_lt_i32_e64 s[18:19], v62, v22
	s_or_b64 s[20:21], s[20:21], s[22:23]
	s_and_b64 s[18:19], s[18:19], s[20:21]
	s_xor_b64 s[20:21], s[18:19], -1
                                        ; implicit-def: $vgpr64
	s_and_saveexec_b64 s[22:23], s[20:21]
	s_xor_b64 s[20:21], exec, s[22:23]
; %bb.111:                              ;   in Loop: Header=BB107_2 Depth=1
	ds_read_u8 v64, v63 offset:1
; %bb.112:                              ;   in Loop: Header=BB107_2 Depth=1
	s_or_saveexec_b64 s[20:21], s[20:21]
	v_mov_b32_e32 v65, v61
	s_xor_b64 exec, exec, s[20:21]
	s_cbranch_execz .LBB107_114
; %bb.113:                              ;   in Loop: Header=BB107_2 Depth=1
	ds_read_u8 v65, v62 offset:1
	s_waitcnt lgkmcnt(1)
	v_mov_b32_e32 v64, v60
.LBB107_114:                            ;   in Loop: Header=BB107_2 Depth=1
	s_or_b64 exec, exec, s[20:21]
	v_add_u32_e32 v66, 1, v63
	v_cndmask_b32_e64 v60, v60, v61, s[18:19]
	v_add_u32_e32 v61, 1, v62
	v_cndmask_b32_e64 v66, v66, v63, s[18:19]
	v_cndmask_b32_e64 v61, v62, v61, s[18:19]
	v_cndmask_b32_e64 v62, v63, v62, s[18:19]
	v_cndmask_b32_e64 v56, v56, v57, s[16:17]
	v_cndmask_b32_e64 v57, v59, v58, s[16:17]
	v_cmp_ge_i32_e64 s[16:17], v66, v21
	s_waitcnt lgkmcnt(0)
	v_cmp_lt_u16_sdwa s[18:19], v65, v64 src0_sel:BYTE_0 src1_sel:BYTE_0
	v_cndmask_b32_e64 v54, v54, v55, s[14:15]
	v_cndmask_b32_e64 v52, v52, v53, s[14:15]
	v_cmp_lt_i32_e64 s[14:15], v61, v22
	s_or_b64 s[16:17], s[16:17], s[18:19]
	s_and_b64 s[14:15], s[14:15], s[16:17]
	v_cndmask_b32_e64 v55, v66, v61, s[14:15]
	s_barrier
	ds_write_b8 v1, v48
	ds_write_b8 v1, v50 offset:1
	ds_write_b8 v1, v51 offset:2
	ds_write_b8 v1, v49 offset:3
	s_waitcnt lgkmcnt(0)
	s_barrier
	ds_read_u8 v48, v52
	ds_read_u8 v49, v55
	ds_read_u8 v50, v57
	ds_read_u8 v51, v62
	v_mov_b32_e32 v52, v45
	v_cndmask_b32_e64 v53, v64, v65, s[14:15]
	s_waitcnt lgkmcnt(0)
	s_barrier
	ds_write_b8 v1, v54
	ds_write_b8 v1, v56 offset:1
	ds_write_b8 v1, v60 offset:2
	;; [unrolled: 1-line block ×3, first 2 shown]
	s_waitcnt lgkmcnt(0)
	s_barrier
	s_and_saveexec_b64 s[16:17], s[12:13]
	s_cbranch_execz .LBB107_118
; %bb.115:                              ;   in Loop: Header=BB107_2 Depth=1
	s_mov_b64 s[18:19], 0
	v_mov_b32_e32 v52, v45
	v_mov_b32_e32 v53, v46
.LBB107_116:                            ;   Parent Loop BB107_2 Depth=1
                                        ; =>  This Inner Loop Header: Depth=2
	v_sub_u32_e32 v54, v53, v52
	v_lshrrev_b32_e32 v54, 1, v54
	v_add_u32_e32 v54, v54, v52
	v_xad_u32 v55, v54, -1, v47
	ds_read_u8 v56, v54
	ds_read_u8 v55, v55
	v_add_u32_e32 v57, 1, v54
	s_waitcnt lgkmcnt(0)
	v_cmp_lt_u16_e64 s[14:15], v55, v56
	v_cndmask_b32_e64 v53, v53, v54, s[14:15]
	v_cndmask_b32_e64 v52, v57, v52, s[14:15]
	v_cmp_ge_i32_e64 s[14:15], v52, v53
	s_or_b64 s[18:19], s[14:15], s[18:19]
	s_andn2_b64 exec, exec, s[18:19]
	s_cbranch_execnz .LBB107_116
; %bb.117:                              ;   in Loop: Header=BB107_2 Depth=1
	s_or_b64 exec, exec, s[18:19]
.LBB107_118:                            ;   in Loop: Header=BB107_2 Depth=1
	s_or_b64 exec, exec, s[16:17]
	v_sub_u32_e32 v55, v47, v52
	ds_read_u8 v53, v52
	ds_read_u8 v57, v55
	v_cmp_le_i32_e64 s[16:17], v44, v52
	v_cmp_gt_i32_e64 s[14:15], s45, v55
                                        ; implicit-def: $vgpr54
	s_waitcnt lgkmcnt(0)
	v_cmp_lt_u16_sdwa s[18:19], v57, v53 src0_sel:BYTE_0 src1_sel:BYTE_0
	s_or_b64 s[16:17], s[16:17], s[18:19]
	s_and_b64 s[14:15], s[14:15], s[16:17]
	s_xor_b64 s[16:17], s[14:15], -1
	s_and_saveexec_b64 s[18:19], s[16:17]
	s_xor_b64 s[16:17], exec, s[18:19]
; %bb.119:                              ;   in Loop: Header=BB107_2 Depth=1
	ds_read_u8 v54, v52 offset:1
; %bb.120:                              ;   in Loop: Header=BB107_2 Depth=1
	s_or_saveexec_b64 s[16:17], s[16:17]
	v_mov_b32_e32 v56, v57
	s_xor_b64 exec, exec, s[16:17]
	s_cbranch_execz .LBB107_122
; %bb.121:                              ;   in Loop: Header=BB107_2 Depth=1
	ds_read_u8 v56, v55 offset:1
	s_waitcnt lgkmcnt(1)
	v_mov_b32_e32 v54, v53
.LBB107_122:                            ;   in Loop: Header=BB107_2 Depth=1
	s_or_b64 exec, exec, s[16:17]
	v_add_u32_e32 v59, 1, v52
	v_add_u32_e32 v58, 1, v55
	v_cndmask_b32_e64 v61, v59, v52, s[14:15]
	v_cndmask_b32_e64 v60, v55, v58, s[14:15]
	v_cmp_ge_i32_e64 s[18:19], v61, v44
	s_waitcnt lgkmcnt(0)
	v_cmp_lt_u16_sdwa s[20:21], v56, v54 src0_sel:BYTE_0 src1_sel:BYTE_0
	v_cmp_gt_i32_e64 s[16:17], s45, v60
	s_or_b64 s[18:19], s[18:19], s[20:21]
	s_and_b64 s[16:17], s[16:17], s[18:19]
	s_xor_b64 s[18:19], s[16:17], -1
                                        ; implicit-def: $vgpr58
	s_and_saveexec_b64 s[20:21], s[18:19]
	s_xor_b64 s[18:19], exec, s[20:21]
; %bb.123:                              ;   in Loop: Header=BB107_2 Depth=1
	ds_read_u8 v58, v61 offset:1
; %bb.124:                              ;   in Loop: Header=BB107_2 Depth=1
	s_or_saveexec_b64 s[18:19], s[18:19]
	v_mov_b32_e32 v59, v56
	s_xor_b64 exec, exec, s[18:19]
	s_cbranch_execz .LBB107_126
; %bb.125:                              ;   in Loop: Header=BB107_2 Depth=1
	ds_read_u8 v59, v60 offset:1
	s_waitcnt lgkmcnt(1)
	v_mov_b32_e32 v58, v54
.LBB107_126:                            ;   in Loop: Header=BB107_2 Depth=1
	s_or_b64 exec, exec, s[18:19]
	v_add_u32_e32 v63, 1, v61
	v_add_u32_e32 v62, 1, v60
	v_cndmask_b32_e64 v66, v63, v61, s[16:17]
	v_cndmask_b32_e64 v62, v60, v62, s[16:17]
	v_cmp_ge_i32_e64 s[20:21], v66, v44
	s_waitcnt lgkmcnt(0)
	v_cmp_lt_u16_sdwa s[22:23], v59, v58 src0_sel:BYTE_0 src1_sel:BYTE_0
	v_cmp_gt_i32_e64 s[18:19], s45, v62
	s_or_b64 s[20:21], s[20:21], s[22:23]
	s_and_b64 s[18:19], s[18:19], s[20:21]
	s_xor_b64 s[20:21], s[18:19], -1
                                        ; implicit-def: $vgpr65
                                        ; implicit-def: $vgpr64
	s_and_saveexec_b64 s[22:23], s[20:21]
	s_xor_b64 s[20:21], exec, s[22:23]
; %bb.127:                              ;   in Loop: Header=BB107_2 Depth=1
	ds_read_u8 v65, v66 offset:1
	v_add_u32_e32 v64, 1, v66
; %bb.128:                              ;   in Loop: Header=BB107_2 Depth=1
	s_or_saveexec_b64 s[20:21], s[20:21]
	v_mov_b32_e32 v63, v66
	v_mov_b32_e32 v67, v59
	s_xor_b64 exec, exec, s[20:21]
	s_cbranch_execz .LBB107_1
; %bb.129:                              ;   in Loop: Header=BB107_2 Depth=1
	ds_read_u8 v67, v62 offset:1
	s_waitcnt lgkmcnt(1)
	v_add_u32_e32 v65, 1, v62
	v_mov_b32_e32 v63, v62
	v_mov_b32_e32 v64, v66
	;; [unrolled: 1-line block ×4, first 2 shown]
	s_branch .LBB107_1
.LBB107_130:
	s_add_u32 s0, s38, s33
	s_addc_u32 s1, s39, 0
	v_mov_b32_e32 v1, s1
	v_add_co_u32_e32 v0, vcc, s0, v0
	s_waitcnt lgkmcnt(3)
	v_add_u16_e32 v2, v53, v48
	v_addc_co_u32_e32 v1, vcc, 0, v1, vcc
	s_waitcnt lgkmcnt(0)
	v_add_u16_e32 v3, v54, v49
	v_add_u16_e32 v4, v55, v50
	;; [unrolled: 1-line block ×3, first 2 shown]
	global_store_byte v[0:1], v2, off
	global_store_byte v[0:1], v3, off offset:256
	global_store_byte v[0:1], v4, off offset:512
	;; [unrolled: 1-line block ×3, first 2 shown]
	s_endpgm
	.section	.rodata,"a",@progbits
	.p2align	6, 0x0
	.amdhsa_kernel _Z17sort_pairs_kernelIhLj256ELj4EN10test_utils4lessELj10EEvPKT_PS2_T2_
		.amdhsa_group_segment_fixed_size 1025
		.amdhsa_private_segment_fixed_size 0
		.amdhsa_kernarg_size 20
		.amdhsa_user_sgpr_count 6
		.amdhsa_user_sgpr_private_segment_buffer 1
		.amdhsa_user_sgpr_dispatch_ptr 0
		.amdhsa_user_sgpr_queue_ptr 0
		.amdhsa_user_sgpr_kernarg_segment_ptr 1
		.amdhsa_user_sgpr_dispatch_id 0
		.amdhsa_user_sgpr_flat_scratch_init 0
		.amdhsa_user_sgpr_private_segment_size 0
		.amdhsa_uses_dynamic_stack 0
		.amdhsa_system_sgpr_private_segment_wavefront_offset 0
		.amdhsa_system_sgpr_workgroup_id_x 1
		.amdhsa_system_sgpr_workgroup_id_y 0
		.amdhsa_system_sgpr_workgroup_id_z 0
		.amdhsa_system_sgpr_workgroup_info 0
		.amdhsa_system_vgpr_workitem_id 0
		.amdhsa_next_free_vgpr 68
		.amdhsa_next_free_sgpr 48
		.amdhsa_reserve_vcc 1
		.amdhsa_reserve_flat_scratch 0
		.amdhsa_float_round_mode_32 0
		.amdhsa_float_round_mode_16_64 0
		.amdhsa_float_denorm_mode_32 3
		.amdhsa_float_denorm_mode_16_64 3
		.amdhsa_dx10_clamp 1
		.amdhsa_ieee_mode 1
		.amdhsa_fp16_overflow 0
		.amdhsa_exception_fp_ieee_invalid_op 0
		.amdhsa_exception_fp_denorm_src 0
		.amdhsa_exception_fp_ieee_div_zero 0
		.amdhsa_exception_fp_ieee_overflow 0
		.amdhsa_exception_fp_ieee_underflow 0
		.amdhsa_exception_fp_ieee_inexact 0
		.amdhsa_exception_int_div_zero 0
	.end_amdhsa_kernel
	.section	.text._Z17sort_pairs_kernelIhLj256ELj4EN10test_utils4lessELj10EEvPKT_PS2_T2_,"axG",@progbits,_Z17sort_pairs_kernelIhLj256ELj4EN10test_utils4lessELj10EEvPKT_PS2_T2_,comdat
.Lfunc_end107:
	.size	_Z17sort_pairs_kernelIhLj256ELj4EN10test_utils4lessELj10EEvPKT_PS2_T2_, .Lfunc_end107-_Z17sort_pairs_kernelIhLj256ELj4EN10test_utils4lessELj10EEvPKT_PS2_T2_
                                        ; -- End function
	.set _Z17sort_pairs_kernelIhLj256ELj4EN10test_utils4lessELj10EEvPKT_PS2_T2_.num_vgpr, 68
	.set _Z17sort_pairs_kernelIhLj256ELj4EN10test_utils4lessELj10EEvPKT_PS2_T2_.num_agpr, 0
	.set _Z17sort_pairs_kernelIhLj256ELj4EN10test_utils4lessELj10EEvPKT_PS2_T2_.numbered_sgpr, 48
	.set _Z17sort_pairs_kernelIhLj256ELj4EN10test_utils4lessELj10EEvPKT_PS2_T2_.num_named_barrier, 0
	.set _Z17sort_pairs_kernelIhLj256ELj4EN10test_utils4lessELj10EEvPKT_PS2_T2_.private_seg_size, 0
	.set _Z17sort_pairs_kernelIhLj256ELj4EN10test_utils4lessELj10EEvPKT_PS2_T2_.uses_vcc, 1
	.set _Z17sort_pairs_kernelIhLj256ELj4EN10test_utils4lessELj10EEvPKT_PS2_T2_.uses_flat_scratch, 0
	.set _Z17sort_pairs_kernelIhLj256ELj4EN10test_utils4lessELj10EEvPKT_PS2_T2_.has_dyn_sized_stack, 0
	.set _Z17sort_pairs_kernelIhLj256ELj4EN10test_utils4lessELj10EEvPKT_PS2_T2_.has_recursion, 0
	.set _Z17sort_pairs_kernelIhLj256ELj4EN10test_utils4lessELj10EEvPKT_PS2_T2_.has_indirect_call, 0
	.section	.AMDGPU.csdata,"",@progbits
; Kernel info:
; codeLenInByte = 6912
; TotalNumSgprs: 52
; NumVgprs: 68
; ScratchSize: 0
; MemoryBound: 0
; FloatMode: 240
; IeeeMode: 1
; LDSByteSize: 1025 bytes/workgroup (compile time only)
; SGPRBlocks: 6
; VGPRBlocks: 16
; NumSGPRsForWavesPerEU: 52
; NumVGPRsForWavesPerEU: 68
; Occupancy: 3
; WaveLimiterHint : 1
; COMPUTE_PGM_RSRC2:SCRATCH_EN: 0
; COMPUTE_PGM_RSRC2:USER_SGPR: 6
; COMPUTE_PGM_RSRC2:TRAP_HANDLER: 0
; COMPUTE_PGM_RSRC2:TGID_X_EN: 1
; COMPUTE_PGM_RSRC2:TGID_Y_EN: 0
; COMPUTE_PGM_RSRC2:TGID_Z_EN: 0
; COMPUTE_PGM_RSRC2:TIDIG_COMP_CNT: 0
	.section	.text._Z16sort_keys_kernelIhLj256ELj8EN10test_utils4lessELj10EEvPKT_PS2_T2_,"axG",@progbits,_Z16sort_keys_kernelIhLj256ELj8EN10test_utils4lessELj10EEvPKT_PS2_T2_,comdat
	.protected	_Z16sort_keys_kernelIhLj256ELj8EN10test_utils4lessELj10EEvPKT_PS2_T2_ ; -- Begin function _Z16sort_keys_kernelIhLj256ELj8EN10test_utils4lessELj10EEvPKT_PS2_T2_
	.globl	_Z16sort_keys_kernelIhLj256ELj8EN10test_utils4lessELj10EEvPKT_PS2_T2_
	.p2align	8
	.type	_Z16sort_keys_kernelIhLj256ELj8EN10test_utils4lessELj10EEvPKT_PS2_T2_,@function
_Z16sort_keys_kernelIhLj256ELj8EN10test_utils4lessELj10EEvPKT_PS2_T2_: ; @_Z16sort_keys_kernelIhLj256ELj8EN10test_utils4lessELj10EEvPKT_PS2_T2_
; %bb.0:
	s_load_dwordx4 s[28:31], s[4:5], 0x0
	s_lshl_b32 s33, s6, 11
	v_lshlrev_b32_e32 v1, 3, v0
	v_and_b32_e32 v2, 0x7f0, v1
	v_and_b32_e32 v3, 0x7e0, v1
	s_waitcnt lgkmcnt(0)
	s_add_u32 s0, s28, s33
	s_addc_u32 s1, s29, 0
	global_load_ubyte v35, v0, s[0:1] offset:256
	global_load_ubyte v36, v0, s[0:1] offset:512
	;; [unrolled: 1-line block ×5, first 2 shown]
	global_load_ubyte v40, v0, s[0:1]
	global_load_ubyte v41, v0, s[0:1] offset:1024
	global_load_ubyte v42, v0, s[0:1] offset:1536
	v_or_b32_e32 v9, 8, v2
	v_add_u32_e32 v10, 16, v2
	v_and_b32_e32 v31, 8, v1
	v_and_b32_e32 v4, 0x7c0, v1
	v_or_b32_e32 v11, 16, v3
	v_add_u32_e32 v12, 32, v3
	v_sub_u32_e32 v46, v10, v9
	v_and_b32_e32 v32, 24, v1
	v_and_b32_e32 v5, 0x780, v1
	v_or_b32_e32 v13, 32, v4
	v_add_u32_e32 v14, 64, v4
	v_sub_u32_e32 v47, v12, v11
	v_sub_u32_e32 v27, v9, v2
	;; [unrolled: 1-line block ×3, first 2 shown]
	v_cmp_ge_i32_e32 vcc, v31, v46
	v_and_b32_e32 v33, 56, v1
	v_and_b32_e32 v6, 0x700, v1
	v_or_b32_e32 v15, 64, v5
	v_add_u32_e32 v16, 0x80, v5
	v_sub_u32_e32 v48, v14, v13
	v_add_u32_e32 v23, v9, v31
	v_sub_u32_e32 v28, v11, v3
	v_sub_u32_e32 v54, v32, v47
	v_min_i32_e32 v27, v31, v27
	v_cndmask_b32_e32 v31, 0, v53, vcc
	v_cmp_ge_i32_e32 vcc, v32, v47
	v_and_b32_e32 v34, 0x78, v1
	v_and_b32_e32 v7, 0x600, v1
	v_or_b32_e32 v17, 0x80, v6
	v_add_u32_e32 v18, 0x100, v6
	v_sub_u32_e32 v49, v16, v15
	v_add_u32_e32 v24, v11, v32
	v_sub_u32_e32 v29, v13, v4
	v_sub_u32_e32 v55, v33, v48
	v_min_i32_e32 v28, v32, v28
	v_cndmask_b32_e32 v32, 0, v54, vcc
	v_cmp_ge_i32_e32 vcc, v33, v48
	s_mov_b32 s8, 0xc0c0004
	v_and_b32_e32 v43, 0xf8, v1
	v_and_b32_e32 v8, 0x400, v1
	v_or_b32_e32 v19, 0x100, v7
	v_add_u32_e32 v20, 0x200, v7
	v_sub_u32_e32 v50, v18, v17
	v_add_u32_e32 v25, v13, v33
	v_sub_u32_e32 v30, v15, v5
	v_sub_u32_e32 v56, v34, v49
	v_min_i32_e32 v29, v33, v29
	v_cndmask_b32_e32 v33, 0, v55, vcc
	v_cmp_ge_i32_e32 vcc, v34, v49
	v_and_b32_e32 v44, 0x1f8, v1
	v_or_b32_e32 v21, 0x200, v8
	v_add_u32_e32 v22, 0x400, v8
	v_sub_u32_e32 v51, v20, v19
	v_add_u32_e32 v26, v15, v34
	v_sub_u32_e32 v57, v43, v50
	v_min_i32_e32 v30, v34, v30
	v_cndmask_b32_e32 v34, 0, v56, vcc
	v_cmp_ge_i32_e32 vcc, v43, v50
	v_and_b32_e32 v45, 0x3f8, v1
	v_sub_u32_e32 v52, v22, v21
	v_sub_u32_e32 v58, v44, v51
	v_sub_u32_e32 v59, v45, v52
	v_min_i32_e32 v46, 0x400, v1
	s_mov_b32 s34, 0
	v_cmp_lt_i32_e64 s[0:1], v31, v27
	v_cmp_lt_i32_e64 s[2:3], v32, v28
	;; [unrolled: 1-line block ×4, first 2 shown]
	s_mov_b32 s35, 0x7060405
	s_movk_i32 s36, 0xff
	s_mov_b32 s37, 0xc0c0001
	s_mov_b32 s38, 0xffff
	;; [unrolled: 1-line block ×3, first 2 shown]
	s_movk_i32 s40, 0xff00
	s_mov_b32 s41, 0xffff0000
	s_movk_i32 s42, 0x800
	s_waitcnt vmcnt(3)
	v_perm_b32 v36, v36, v39, s8
	s_waitcnt vmcnt(2)
	v_perm_b32 v35, v40, v35, s8
	;; [unrolled: 2-line block ×4, first 2 shown]
	v_lshl_or_b32 v49, v36, 16, v35
	v_cndmask_b32_e32 v35, 0, v57, vcc
	v_cmp_ge_i32_e32 vcc, v44, v51
	v_sub_u32_e32 v39, v19, v7
	v_lshl_or_b32 v48, v37, 16, v38
	v_sub_u32_e32 v36, v17, v6
	v_cndmask_b32_e32 v38, 0, v58, vcc
	v_min_i32_e32 v39, v44, v39
	v_add_u32_e32 v40, v19, v44
	v_cmp_ge_i32_e32 vcc, v45, v52
	v_sub_u32_e32 v42, v21, v8
	v_mov_b32_e32 v44, 0x400
	v_min_i32_e32 v36, v43, v36
	v_add_u32_e32 v37, v17, v43
	v_cndmask_b32_e32 v41, 0, v59, vcc
	v_min_i32_e32 v42, v45, v42
	v_add_u32_e32 v43, v21, v45
	v_sub_u32_e64 v45, v1, v44 clamp
	v_cmp_lt_i32_e64 s[8:9], v35, v36
	v_cmp_lt_i32_e64 s[10:11], v38, v39
	;; [unrolled: 1-line block ×4, first 2 shown]
	v_add_u32_e32 v47, 0x400, v1
	s_branch .LBB108_2
.LBB108_1:                              ;   in Loop: Header=BB108_2 Depth=1
	s_or_b64 exec, exec, s[28:29]
	v_cndmask_b32_e64 v50, v50, v51, s[16:17]
	v_cndmask_b32_e64 v51, v52, v53, s[18:19]
	v_cmp_ge_i32_e64 s[16:17], v64, v44
	s_waitcnt lgkmcnt(0)
	v_cmp_lt_u16_sdwa s[18:19], v66, v63 src0_sel:BYTE_0 src1_sel:BYTE_0
	v_cndmask_b32_e32 v65, v48, v49, vcc
	v_cndmask_b32_e64 v52, v54, v55, s[20:21]
	v_cmp_gt_i32_e32 vcc, s42, v62
	s_or_b64 s[16:17], s[16:17], s[18:19]
	s_and_b64 vcc, vcc, s[16:17]
	v_lshlrev_b16_e32 v48, 8, v50
	v_lshlrev_b16_e32 v49, 8, v52
	v_cndmask_b32_e64 v53, v56, v57, s[22:23]
	v_cndmask_b32_e64 v54, v58, v59, s[24:25]
	v_cndmask_b32_e32 v56, v63, v66, vcc
	v_or_b32_sdwa v48, v65, v48 dst_sel:DWORD dst_unused:UNUSED_PAD src0_sel:BYTE_0 src1_sel:DWORD
	v_or_b32_sdwa v49, v51, v49 dst_sel:WORD_1 dst_unused:UNUSED_PAD src0_sel:BYTE_0 src1_sel:DWORD
	v_cndmask_b32_e64 v55, v60, v61, s[26:27]
	v_or_b32_sdwa v49, v48, v49 dst_sel:DWORD dst_unused:UNUSED_PAD src0_sel:WORD_0 src1_sel:DWORD
	v_lshlrev_b16_e32 v48, 8, v54
	v_lshlrev_b16_e32 v57, 8, v56
	s_add_i32 s34, s34, 1
	v_or_b32_sdwa v48, v53, v48 dst_sel:DWORD dst_unused:UNUSED_PAD src0_sel:BYTE_0 src1_sel:DWORD
	v_or_b32_sdwa v57, v55, v57 dst_sel:WORD_1 dst_unused:UNUSED_PAD src0_sel:BYTE_0 src1_sel:DWORD
	s_cmp_eq_u32 s34, 10
	v_or_b32_sdwa v48, v48, v57 dst_sel:DWORD dst_unused:UNUSED_PAD src0_sel:WORD_0 src1_sel:DWORD
	s_cbranch_scc1 .LBB108_258
.LBB108_2:                              ; =>This Loop Header: Depth=1
                                        ;     Child Loop BB108_4 Depth 2
                                        ;     Child Loop BB108_36 Depth 2
	;; [unrolled: 1-line block ×8, first 2 shown]
	v_lshrrev_b32_e32 v51, 8, v49
	v_perm_b32 v50, v49, v49, s35
	v_cmp_lt_u16_sdwa vcc, v51, v49 src0_sel:BYTE_0 src1_sel:BYTE_0
	v_cndmask_b32_e32 v50, v49, v50, vcc
	v_lshrrev_b32_e32 v52, 16, v50
	v_perm_b32 v53, 0, v52, s37
	v_min_u16_sdwa v54, v51, v49 dst_sel:DWORD dst_unused:UNUSED_PAD src0_sel:BYTE_0 src1_sel:BYTE_0
	v_max_u16_sdwa v49, v51, v49 dst_sel:DWORD dst_unused:UNUSED_PAD src0_sel:BYTE_0 src1_sel:BYTE_0
	v_lshlrev_b32_e32 v51, 16, v53
	v_and_or_b32 v51, v50, s38, v51
	v_cmp_lt_u16_sdwa vcc, v50, v52 src0_sel:BYTE_3 src1_sel:BYTE_0
	v_cndmask_b32_e32 v51, v50, v51, vcc
	v_max_u16_sdwa v55, v50, v52 dst_sel:DWORD dst_unused:UNUSED_PAD src0_sel:BYTE_3 src1_sel:BYTE_0
	v_min_u16_sdwa v50, v50, v52 dst_sel:DWORD dst_unused:UNUSED_PAD src0_sel:BYTE_3 src1_sel:BYTE_0
	v_lshrrev_b32_e32 v52, 8, v48
	v_perm_b32 v53, v48, v48, s35
	v_cmp_lt_u16_sdwa vcc, v52, v48 src0_sel:BYTE_0 src1_sel:BYTE_0
	v_cndmask_b32_e32 v53, v48, v53, vcc
	v_max_u16_sdwa v56, v52, v48 dst_sel:DWORD dst_unused:UNUSED_PAD src0_sel:BYTE_0 src1_sel:BYTE_0
	v_min_u16_sdwa v48, v52, v48 dst_sel:DWORD dst_unused:UNUSED_PAD src0_sel:BYTE_0 src1_sel:BYTE_0
	v_and_b32_sdwa v52, v53, s36 dst_sel:DWORD dst_unused:UNUSED_PAD src0_sel:WORD_1 src1_sel:DWORD
	v_perm_b32 v57, v53, v53, s39
	v_cmp_lt_u16_sdwa vcc, v53, v52 src0_sel:BYTE_3 src1_sel:DWORD
	v_and_b32_sdwa v58, v51, s40 dst_sel:DWORD dst_unused:UNUSED_PAD src0_sel:WORD_1 src1_sel:DWORD
	v_cndmask_b32_e32 v57, v53, v57, vcc
	v_max_u16_sdwa v59, v53, v52 dst_sel:DWORD dst_unused:UNUSED_PAD src0_sel:BYTE_3 src1_sel:DWORD
	v_min_u16_sdwa v52, v53, v52 dst_sel:DWORD dst_unused:UNUSED_PAD src0_sel:BYTE_3 src1_sel:DWORD
	v_lshlrev_b16_e32 v53, 8, v50
	v_or_b32_sdwa v58, v49, v58 dst_sel:WORD_1 dst_unused:UNUSED_PAD src0_sel:DWORD src1_sel:DWORD
	v_or_b32_sdwa v53, v51, v53 dst_sel:DWORD dst_unused:UNUSED_PAD src0_sel:BYTE_0 src1_sel:DWORD
	v_or_b32_sdwa v53, v53, v58 dst_sel:DWORD dst_unused:UNUSED_PAD src0_sel:WORD_0 src1_sel:DWORD
	v_cmp_lt_u16_e32 vcc, v50, v49
	v_cndmask_b32_e32 v51, v51, v53, vcc
	v_and_b32_e32 v58, 0xffffff00, v57
	v_and_b32_sdwa v53, v51, s36 dst_sel:DWORD dst_unused:UNUSED_PAD src0_sel:WORD_1 src1_sel:DWORD
	v_or_b32_e32 v58, v55, v58
	v_lshlrev_b16_e32 v61, 8, v48
	v_and_b32_e32 v58, 0xffff, v58
	v_or_b32_sdwa v53, v53, v61 dst_sel:WORD_1 dst_unused:UNUSED_PAD src0_sel:DWORD src1_sel:DWORD
	v_and_or_b32 v58, v57, s41, v58
	v_and_or_b32 v53, v51, s38, v53
	v_cmp_lt_u16_e32 vcc, v48, v55
	v_cndmask_b32_e32 v51, v51, v53, vcc
	v_cndmask_b32_e32 v53, v57, v58, vcc
	v_and_b32_sdwa v57, v53, s40 dst_sel:DWORD dst_unused:UNUSED_PAD src0_sel:WORD_1 src1_sel:DWORD
	v_max_u16_e32 v58, v48, v55
	v_min_u16_e32 v48, v48, v55
	v_lshlrev_b16_e32 v55, 8, v52
	v_or_b32_sdwa v57, v56, v57 dst_sel:WORD_1 dst_unused:UNUSED_PAD src0_sel:DWORD src1_sel:DWORD
	v_or_b32_sdwa v55, v53, v55 dst_sel:DWORD dst_unused:UNUSED_PAD src0_sel:BYTE_0 src1_sel:DWORD
	v_max_u16_e32 v60, v50, v49
	v_min_u16_e32 v49, v50, v49
	v_or_b32_sdwa v55, v55, v57 dst_sel:DWORD dst_unused:UNUSED_PAD src0_sel:WORD_0 src1_sel:DWORD
	v_lshlrev_b16_e32 v57, 8, v54
	v_or_b32_e32 v57, v49, v57
	v_and_b32_e32 v57, 0xffff, v57
	v_cmp_lt_u16_e32 vcc, v52, v56
	v_and_or_b32 v57, v51, s41, v57
	v_cndmask_b32_e32 v53, v53, v55, vcc
	v_cmp_lt_u16_e32 vcc, v50, v54
	v_cndmask_b32_e32 v50, v51, v57, vcc
	v_cndmask_b32_e32 v51, v54, v49, vcc
	;; [unrolled: 1-line block ×3, first 2 shown]
	v_lshlrev_b16_e32 v54, 8, v60
	v_or_b32_sdwa v54, v48, v54 dst_sel:WORD_1 dst_unused:UNUSED_PAD src0_sel:DWORD src1_sel:DWORD
	v_and_or_b32 v54, v50, s38, v54
	v_cmp_lt_u16_e32 vcc, v48, v60
	v_max_u16_e32 v55, v52, v56
	v_min_u16_e32 v52, v52, v56
	v_cndmask_b32_e32 v50, v50, v54, vcc
	v_lshlrev_b16_e32 v54, 8, v58
	v_or_b32_e32 v54, v52, v54
	v_and_b32_e32 v54, 0xffff, v54
	v_and_or_b32 v54, v53, s41, v54
	v_cmp_lt_u16_e32 vcc, v52, v58
	v_cndmask_b32_e32 v53, v53, v54, vcc
	v_max_u16_e32 v54, v52, v58
	v_min_u16_e32 v52, v52, v58
	v_lshlrev_b16_e32 v58, 8, v55
	v_or_b32_sdwa v58, v59, v58 dst_sel:WORD_1 dst_unused:UNUSED_PAD src0_sel:DWORD src1_sel:DWORD
	v_max_u16_e32 v57, v48, v60
	v_min_u16_e32 v48, v48, v60
	v_and_or_b32 v58, v53, s38, v58
	v_cmp_gt_u16_e32 vcc, v56, v59
	v_and_b32_sdwa v60, v50, s40 dst_sel:DWORD dst_unused:UNUSED_PAD src0_sel:WORD_1 src1_sel:DWORD
	v_cndmask_b32_e32 v53, v53, v58, vcc
	v_lshlrev_b16_e32 v58, 8, v48
	v_or_b32_sdwa v60, v49, v60 dst_sel:WORD_1 dst_unused:UNUSED_PAD src0_sel:DWORD src1_sel:DWORD
	v_or_b32_sdwa v58, v50, v58 dst_sel:DWORD dst_unused:UNUSED_PAD src0_sel:BYTE_0 src1_sel:DWORD
	v_cndmask_b32_e32 v56, v59, v55, vcc
	v_cndmask_b32_e32 v55, v55, v59, vcc
	v_or_b32_sdwa v58, v58, v60 dst_sel:DWORD dst_unused:UNUSED_PAD src0_sel:WORD_0 src1_sel:DWORD
	v_cmp_lt_u16_e32 vcc, v48, v49
	v_cndmask_b32_e32 v50, v50, v58, vcc
	v_and_b32_e32 v59, 0xffffff00, v53
	v_and_b32_sdwa v58, v50, s36 dst_sel:DWORD dst_unused:UNUSED_PAD src0_sel:WORD_1 src1_sel:DWORD
	v_or_b32_e32 v59, v57, v59
	v_max_u16_e32 v60, v48, v49
	v_min_u16_e32 v48, v48, v49
	v_lshlrev_b16_e32 v49, 8, v52
	v_and_b32_e32 v59, 0xffff, v59
	v_or_b32_sdwa v49, v58, v49 dst_sel:WORD_1 dst_unused:UNUSED_PAD src0_sel:DWORD src1_sel:DWORD
	v_and_or_b32 v59, v53, s41, v59
	v_and_or_b32 v49, v50, s38, v49
	v_cmp_lt_u16_e32 vcc, v52, v57
	v_cndmask_b32_e32 v49, v50, v49, vcc
	v_cndmask_b32_e32 v50, v53, v59, vcc
	v_and_b32_sdwa v53, v50, s40 dst_sel:DWORD dst_unused:UNUSED_PAD src0_sel:WORD_1 src1_sel:DWORD
	v_max_u16_e32 v58, v52, v57
	v_min_u16_e32 v52, v52, v57
	v_lshlrev_b16_e32 v57, 8, v55
	v_or_b32_sdwa v53, v54, v53 dst_sel:WORD_1 dst_unused:UNUSED_PAD src0_sel:DWORD src1_sel:DWORD
	v_or_b32_sdwa v57, v50, v57 dst_sel:DWORD dst_unused:UNUSED_PAD src0_sel:BYTE_0 src1_sel:DWORD
	v_or_b32_sdwa v53, v57, v53 dst_sel:DWORD dst_unused:UNUSED_PAD src0_sel:WORD_0 src1_sel:DWORD
	v_lshlrev_b16_e32 v57, 8, v51
	v_or_b32_e32 v57, v48, v57
	v_and_b32_e32 v57, 0xffff, v57
	v_cmp_lt_u16_e32 vcc, v55, v54
	v_and_or_b32 v57, v49, s41, v57
	v_cndmask_b32_e32 v50, v50, v53, vcc
	v_max_u16_e32 v53, v55, v54
	v_min_u16_e32 v54, v55, v54
	v_cmp_lt_u16_e32 vcc, v48, v51
	v_min_u16_e32 v55, v48, v51
	v_max_u16_e32 v48, v48, v51
	v_lshlrev_b16_e32 v51, 8, v60
	v_cndmask_b32_e32 v49, v49, v57, vcc
	v_or_b32_sdwa v51, v52, v51 dst_sel:WORD_1 dst_unused:UNUSED_PAD src0_sel:DWORD src1_sel:DWORD
	v_and_or_b32 v51, v49, s38, v51
	v_cmp_lt_u16_e32 vcc, v52, v60
	v_cndmask_b32_e32 v49, v49, v51, vcc
	v_lshlrev_b16_e32 v51, 8, v58
	v_or_b32_e32 v51, v54, v51
	v_and_b32_e32 v51, 0xffff, v51
	v_and_or_b32 v51, v50, s41, v51
	v_cmp_lt_u16_e32 vcc, v54, v58
	v_cndmask_b32_e32 v50, v50, v51, vcc
	v_max_u16_e32 v51, v54, v58
	v_min_u16_e32 v54, v54, v58
	v_lshlrev_b16_e32 v58, 8, v53
	v_or_b32_sdwa v58, v56, v58 dst_sel:WORD_1 dst_unused:UNUSED_PAD src0_sel:DWORD src1_sel:DWORD
	v_max_u16_e32 v57, v52, v60
	v_min_u16_e32 v52, v52, v60
	v_and_or_b32 v58, v50, s38, v58
	v_cmp_lt_u16_e32 vcc, v56, v53
	v_and_b32_sdwa v59, v49, s40 dst_sel:DWORD dst_unused:UNUSED_PAD src0_sel:WORD_1 src1_sel:DWORD
	v_cndmask_b32_e32 v50, v50, v58, vcc
	v_max_u16_e32 v58, v56, v53
	v_min_u16_e32 v53, v56, v53
	v_lshlrev_b16_e32 v56, 8, v52
	v_or_b32_sdwa v59, v48, v59 dst_sel:WORD_1 dst_unused:UNUSED_PAD src0_sel:DWORD src1_sel:DWORD
	v_or_b32_sdwa v56, v49, v56 dst_sel:DWORD dst_unused:UNUSED_PAD src0_sel:BYTE_0 src1_sel:DWORD
	v_or_b32_sdwa v56, v56, v59 dst_sel:DWORD dst_unused:UNUSED_PAD src0_sel:WORD_0 src1_sel:DWORD
	v_cmp_lt_u16_e32 vcc, v52, v48
	v_and_b32_e32 v59, 0xffffff00, v50
	v_cndmask_b32_e32 v49, v49, v56, vcc
	v_or_b32_e32 v59, v57, v59
	v_and_b32_sdwa v56, v49, s36 dst_sel:DWORD dst_unused:UNUSED_PAD src0_sel:WORD_1 src1_sel:DWORD
	v_and_b32_e32 v59, 0xffff, v59
	v_lshlrev_b16_e32 v61, 8, v54
	v_and_or_b32 v59, v50, s41, v59
	v_or_b32_sdwa v56, v56, v61 dst_sel:WORD_1 dst_unused:UNUSED_PAD src0_sel:DWORD src1_sel:DWORD
	v_cmp_lt_u16_e32 vcc, v54, v57
	v_and_or_b32 v56, v49, s38, v56
	v_cndmask_b32_e32 v50, v50, v59, vcc
	v_cndmask_b32_e32 v49, v49, v56, vcc
	v_and_b32_sdwa v56, v50, s40 dst_sel:DWORD dst_unused:UNUSED_PAD src0_sel:WORD_1 src1_sel:DWORD
	v_max_u16_e32 v59, v54, v57
	v_min_u16_e32 v54, v54, v57
	v_lshlrev_b16_e32 v57, 8, v53
	v_or_b32_sdwa v56, v51, v56 dst_sel:WORD_1 dst_unused:UNUSED_PAD src0_sel:DWORD src1_sel:DWORD
	v_or_b32_sdwa v57, v50, v57 dst_sel:DWORD dst_unused:UNUSED_PAD src0_sel:BYTE_0 src1_sel:DWORD
	v_max_u16_e32 v60, v52, v48
	v_min_u16_e32 v48, v52, v48
	v_or_b32_sdwa v56, v57, v56 dst_sel:DWORD dst_unused:UNUSED_PAD src0_sel:WORD_0 src1_sel:DWORD
	v_lshlrev_b16_e32 v57, 8, v55
	v_or_b32_e32 v57, v48, v57
	v_and_b32_e32 v57, 0xffff, v57
	v_cmp_lt_u16_e32 vcc, v53, v51
	v_and_or_b32 v57, v49, s41, v57
	v_cndmask_b32_e32 v50, v50, v56, vcc
	v_cmp_lt_u16_e32 vcc, v52, v55
	v_lshlrev_b16_e32 v52, 8, v60
	v_cndmask_b32_e32 v49, v49, v57, vcc
	v_or_b32_sdwa v52, v54, v52 dst_sel:WORD_1 dst_unused:UNUSED_PAD src0_sel:DWORD src1_sel:DWORD
	v_cndmask_b32_e32 v48, v48, v55, vcc
	v_and_or_b32 v52, v49, s38, v52
	v_cmp_lt_u16_e32 vcc, v54, v60
	v_max_u16_e32 v56, v53, v51
	v_min_u16_e32 v53, v53, v51
	v_cndmask_b32_e32 v49, v49, v52, vcc
	v_lshlrev_b16_e32 v52, 8, v59
	v_or_b32_e32 v52, v53, v52
	v_and_b32_e32 v52, 0xffff, v52
	v_and_or_b32 v52, v50, s41, v52
	v_cmp_lt_u16_e32 vcc, v53, v59
	v_max_u16_e32 v55, v54, v60
	v_min_u16_e32 v54, v54, v60
	v_cndmask_b32_e32 v50, v50, v52, vcc
	v_lshlrev_b16_e32 v57, 8, v56
	v_cmp_gt_u16_e32 vcc, v51, v58
	v_max_u16_e32 v52, v53, v59
	v_min_u16_e32 v53, v53, v59
	v_or_b32_sdwa v57, v58, v57 dst_sel:WORD_1 dst_unused:UNUSED_PAD src0_sel:DWORD src1_sel:DWORD
	v_and_b32_sdwa v59, v49, s40 dst_sel:DWORD dst_unused:UNUSED_PAD src0_sel:WORD_1 src1_sel:DWORD
	v_cndmask_b32_e32 v51, v56, v58, vcc
	v_lshlrev_b16_e32 v56, 8, v54
	v_and_or_b32 v57, v50, s38, v57
	v_or_b32_sdwa v59, v48, v59 dst_sel:WORD_1 dst_unused:UNUSED_PAD src0_sel:DWORD src1_sel:DWORD
	v_or_b32_sdwa v56, v49, v56 dst_sel:DWORD dst_unused:UNUSED_PAD src0_sel:BYTE_0 src1_sel:DWORD
	v_cndmask_b32_e32 v50, v50, v57, vcc
	v_or_b32_sdwa v56, v56, v59 dst_sel:DWORD dst_unused:UNUSED_PAD src0_sel:WORD_0 src1_sel:DWORD
	v_cmp_lt_u16_e32 vcc, v54, v48
	v_cndmask_b32_e32 v48, v49, v56, vcc
	v_and_b32_e32 v54, 0xffffff00, v50
	v_and_b32_sdwa v49, v48, s36 dst_sel:DWORD dst_unused:UNUSED_PAD src0_sel:WORD_1 src1_sel:DWORD
	v_or_b32_e32 v54, v55, v54
	v_lshlrev_b16_e32 v56, 8, v53
	v_and_b32_e32 v54, 0xffff, v54
	v_or_b32_sdwa v49, v49, v56 dst_sel:WORD_1 dst_unused:UNUSED_PAD src0_sel:DWORD src1_sel:DWORD
	v_and_or_b32 v54, v50, s41, v54
	v_and_or_b32 v49, v48, s38, v49
	v_cmp_lt_u16_e32 vcc, v53, v55
	v_cndmask_b32_e32 v48, v48, v49, vcc
	v_cndmask_b32_e32 v49, v50, v54, vcc
	v_and_b32_sdwa v50, v49, s40 dst_sel:DWORD dst_unused:UNUSED_PAD src0_sel:WORD_1 src1_sel:DWORD
	v_lshlrev_b16_e32 v53, 8, v51
	v_or_b32_sdwa v50, v52, v50 dst_sel:WORD_1 dst_unused:UNUSED_PAD src0_sel:DWORD src1_sel:DWORD
	v_or_b32_sdwa v53, v49, v53 dst_sel:DWORD dst_unused:UNUSED_PAD src0_sel:BYTE_0 src1_sel:DWORD
	v_or_b32_sdwa v50, v53, v50 dst_sel:DWORD dst_unused:UNUSED_PAD src0_sel:WORD_0 src1_sel:DWORD
	v_cmp_lt_u16_e32 vcc, v51, v52
	v_cndmask_b32_e32 v49, v49, v50, vcc
	s_barrier
	ds_write_b64 v1, v[48:49]
	v_mov_b32_e32 v48, v31
	s_waitcnt lgkmcnt(0)
	s_barrier
	s_and_saveexec_b64 s[16:17], s[0:1]
	s_cbranch_execz .LBB108_6
; %bb.3:                                ;   in Loop: Header=BB108_2 Depth=1
	s_mov_b64 s[18:19], 0
	v_mov_b32_e32 v48, v31
	v_mov_b32_e32 v49, v27
.LBB108_4:                              ;   Parent Loop BB108_2 Depth=1
                                        ; =>  This Inner Loop Header: Depth=2
	v_sub_u32_e32 v50, v49, v48
	v_lshrrev_b32_e32 v50, 1, v50
	v_add_u32_e32 v50, v50, v48
	v_add_u32_e32 v51, v2, v50
	v_xad_u32 v52, v50, -1, v23
	ds_read_u8 v51, v51
	ds_read_u8 v52, v52
	v_add_u32_e32 v53, 1, v50
	s_waitcnt lgkmcnt(0)
	v_cmp_lt_u16_e32 vcc, v52, v51
	v_cndmask_b32_e32 v49, v49, v50, vcc
	v_cndmask_b32_e32 v48, v53, v48, vcc
	v_cmp_ge_i32_e32 vcc, v48, v49
	s_or_b64 s[18:19], vcc, s[18:19]
	s_andn2_b64 exec, exec, s[18:19]
	s_cbranch_execnz .LBB108_4
; %bb.5:                                ;   in Loop: Header=BB108_2 Depth=1
	s_or_b64 exec, exec, s[18:19]
.LBB108_6:                              ;   in Loop: Header=BB108_2 Depth=1
	s_or_b64 exec, exec, s[16:17]
	v_add_u32_e32 v52, v48, v2
	v_sub_u32_e32 v53, v23, v48
	ds_read_u8 v48, v52
	ds_read_u8 v49, v53
	v_cmp_le_i32_e64 s[16:17], v9, v52
	v_cmp_gt_i32_e32 vcc, v10, v53
                                        ; implicit-def: $vgpr50
	s_waitcnt lgkmcnt(0)
	v_cmp_lt_u16_sdwa s[18:19], v49, v48 src0_sel:BYTE_0 src1_sel:BYTE_0
	s_or_b64 s[16:17], s[16:17], s[18:19]
	s_and_b64 s[16:17], vcc, s[16:17]
	s_xor_b64 s[18:19], s[16:17], -1
	s_and_saveexec_b64 s[20:21], s[18:19]
	s_xor_b64 s[18:19], exec, s[20:21]
; %bb.7:                                ;   in Loop: Header=BB108_2 Depth=1
	ds_read_u8 v50, v52 offset:1
; %bb.8:                                ;   in Loop: Header=BB108_2 Depth=1
	s_or_saveexec_b64 s[18:19], s[18:19]
	v_mov_b32_e32 v51, v49
	s_xor_b64 exec, exec, s[18:19]
	s_cbranch_execz .LBB108_10
; %bb.9:                                ;   in Loop: Header=BB108_2 Depth=1
	ds_read_u8 v51, v53 offset:1
	s_waitcnt lgkmcnt(1)
	v_mov_b32_e32 v50, v48
.LBB108_10:                             ;   in Loop: Header=BB108_2 Depth=1
	s_or_b64 exec, exec, s[18:19]
	v_add_u32_e32 v55, 1, v52
	v_add_u32_e32 v54, 1, v53
	v_cndmask_b32_e64 v55, v55, v52, s[16:17]
	v_cndmask_b32_e64 v54, v53, v54, s[16:17]
	v_cmp_ge_i32_e64 s[18:19], v55, v9
	s_waitcnt lgkmcnt(0)
	v_cmp_lt_u16_sdwa s[20:21], v51, v50 src0_sel:BYTE_0 src1_sel:BYTE_0
	v_cmp_lt_i32_e32 vcc, v54, v10
	s_or_b64 s[18:19], s[18:19], s[20:21]
	s_and_b64 s[18:19], vcc, s[18:19]
	s_xor_b64 s[20:21], s[18:19], -1
                                        ; implicit-def: $vgpr52
	s_and_saveexec_b64 s[22:23], s[20:21]
	s_xor_b64 s[20:21], exec, s[22:23]
; %bb.11:                               ;   in Loop: Header=BB108_2 Depth=1
	ds_read_u8 v52, v55 offset:1
; %bb.12:                               ;   in Loop: Header=BB108_2 Depth=1
	s_or_saveexec_b64 s[20:21], s[20:21]
	v_mov_b32_e32 v53, v51
	s_xor_b64 exec, exec, s[20:21]
	s_cbranch_execz .LBB108_14
; %bb.13:                               ;   in Loop: Header=BB108_2 Depth=1
	ds_read_u8 v53, v54 offset:1
	s_waitcnt lgkmcnt(1)
	v_mov_b32_e32 v52, v50
.LBB108_14:                             ;   in Loop: Header=BB108_2 Depth=1
	s_or_b64 exec, exec, s[20:21]
	v_add_u32_e32 v57, 1, v55
	v_add_u32_e32 v56, 1, v54
	v_cndmask_b32_e64 v57, v57, v55, s[18:19]
	v_cndmask_b32_e64 v56, v54, v56, s[18:19]
	v_cmp_ge_i32_e64 s[20:21], v57, v9
	s_waitcnt lgkmcnt(0)
	v_cmp_lt_u16_sdwa s[22:23], v53, v52 src0_sel:BYTE_0 src1_sel:BYTE_0
	v_cmp_lt_i32_e32 vcc, v56, v10
	s_or_b64 s[20:21], s[20:21], s[22:23]
	s_and_b64 s[20:21], vcc, s[20:21]
	s_xor_b64 s[22:23], s[20:21], -1
                                        ; implicit-def: $vgpr54
	s_and_saveexec_b64 s[24:25], s[22:23]
	s_xor_b64 s[22:23], exec, s[24:25]
; %bb.15:                               ;   in Loop: Header=BB108_2 Depth=1
	ds_read_u8 v54, v57 offset:1
; %bb.16:                               ;   in Loop: Header=BB108_2 Depth=1
	s_or_saveexec_b64 s[22:23], s[22:23]
	v_mov_b32_e32 v55, v53
	s_xor_b64 exec, exec, s[22:23]
	s_cbranch_execz .LBB108_18
; %bb.17:                               ;   in Loop: Header=BB108_2 Depth=1
	ds_read_u8 v55, v56 offset:1
	s_waitcnt lgkmcnt(1)
	v_mov_b32_e32 v54, v52
.LBB108_18:                             ;   in Loop: Header=BB108_2 Depth=1
	s_or_b64 exec, exec, s[22:23]
	v_add_u32_e32 v59, 1, v57
	v_add_u32_e32 v58, 1, v56
	v_cndmask_b32_e64 v59, v59, v57, s[20:21]
	v_cndmask_b32_e64 v58, v56, v58, s[20:21]
	v_cmp_ge_i32_e64 s[22:23], v59, v9
	s_waitcnt lgkmcnt(0)
	v_cmp_lt_u16_sdwa s[24:25], v55, v54 src0_sel:BYTE_0 src1_sel:BYTE_0
	v_cmp_lt_i32_e32 vcc, v58, v10
	s_or_b64 s[22:23], s[22:23], s[24:25]
	s_and_b64 s[22:23], vcc, s[22:23]
	s_xor_b64 s[24:25], s[22:23], -1
                                        ; implicit-def: $vgpr56
	s_and_saveexec_b64 s[26:27], s[24:25]
	s_xor_b64 s[24:25], exec, s[26:27]
; %bb.19:                               ;   in Loop: Header=BB108_2 Depth=1
	ds_read_u8 v56, v59 offset:1
; %bb.20:                               ;   in Loop: Header=BB108_2 Depth=1
	s_or_saveexec_b64 s[24:25], s[24:25]
	v_mov_b32_e32 v57, v55
	s_xor_b64 exec, exec, s[24:25]
	s_cbranch_execz .LBB108_22
; %bb.21:                               ;   in Loop: Header=BB108_2 Depth=1
	ds_read_u8 v57, v58 offset:1
	s_waitcnt lgkmcnt(1)
	v_mov_b32_e32 v56, v54
.LBB108_22:                             ;   in Loop: Header=BB108_2 Depth=1
	s_or_b64 exec, exec, s[24:25]
	v_add_u32_e32 v61, 1, v59
	v_add_u32_e32 v60, 1, v58
	v_cndmask_b32_e64 v61, v61, v59, s[22:23]
	v_cndmask_b32_e64 v60, v58, v60, s[22:23]
	v_cmp_ge_i32_e64 s[24:25], v61, v9
	s_waitcnt lgkmcnt(0)
	v_cmp_lt_u16_sdwa s[26:27], v57, v56 src0_sel:BYTE_0 src1_sel:BYTE_0
	v_cmp_lt_i32_e32 vcc, v60, v10
	s_or_b64 s[24:25], s[24:25], s[26:27]
	s_and_b64 s[24:25], vcc, s[24:25]
	s_xor_b64 s[26:27], s[24:25], -1
                                        ; implicit-def: $vgpr58
	s_and_saveexec_b64 s[28:29], s[26:27]
	s_xor_b64 s[26:27], exec, s[28:29]
; %bb.23:                               ;   in Loop: Header=BB108_2 Depth=1
	ds_read_u8 v58, v61 offset:1
; %bb.24:                               ;   in Loop: Header=BB108_2 Depth=1
	s_or_saveexec_b64 s[26:27], s[26:27]
	v_mov_b32_e32 v59, v57
	s_xor_b64 exec, exec, s[26:27]
	s_cbranch_execz .LBB108_26
; %bb.25:                               ;   in Loop: Header=BB108_2 Depth=1
	ds_read_u8 v59, v60 offset:1
	s_waitcnt lgkmcnt(1)
	v_mov_b32_e32 v58, v56
.LBB108_26:                             ;   in Loop: Header=BB108_2 Depth=1
	s_or_b64 exec, exec, s[26:27]
	v_add_u32_e32 v63, 1, v61
	v_add_u32_e32 v62, 1, v60
	v_cndmask_b32_e64 v64, v63, v61, s[24:25]
	v_cndmask_b32_e64 v62, v60, v62, s[24:25]
	v_cmp_ge_i32_e64 s[26:27], v64, v9
	s_waitcnt lgkmcnt(0)
	v_cmp_lt_u16_sdwa s[28:29], v59, v58 src0_sel:BYTE_0 src1_sel:BYTE_0
	v_cmp_lt_i32_e32 vcc, v62, v10
	s_or_b64 s[26:27], s[26:27], s[28:29]
	s_and_b64 vcc, vcc, s[26:27]
	s_xor_b64 s[26:27], vcc, -1
                                        ; implicit-def: $vgpr60
	s_and_saveexec_b64 s[28:29], s[26:27]
	s_xor_b64 s[26:27], exec, s[28:29]
; %bb.27:                               ;   in Loop: Header=BB108_2 Depth=1
	ds_read_u8 v60, v64 offset:1
; %bb.28:                               ;   in Loop: Header=BB108_2 Depth=1
	s_or_saveexec_b64 s[26:27], s[26:27]
	v_mov_b32_e32 v61, v59
	s_xor_b64 exec, exec, s[26:27]
	s_cbranch_execz .LBB108_30
; %bb.29:                               ;   in Loop: Header=BB108_2 Depth=1
	ds_read_u8 v61, v62 offset:1
	s_waitcnt lgkmcnt(1)
	v_mov_b32_e32 v60, v58
.LBB108_30:                             ;   in Loop: Header=BB108_2 Depth=1
	s_or_b64 exec, exec, s[26:27]
	v_add_u32_e32 v65, 1, v64
	v_add_u32_e32 v63, 1, v62
	v_cndmask_b32_e32 v64, v65, v64, vcc
	v_cndmask_b32_e32 v63, v62, v63, vcc
	v_cmp_ge_i32_e64 s[28:29], v64, v9
	s_waitcnt lgkmcnt(0)
	v_cmp_lt_u16_sdwa s[44:45], v61, v60 src0_sel:BYTE_0 src1_sel:BYTE_0
	v_cmp_lt_i32_e64 s[26:27], v63, v10
	s_or_b64 s[28:29], s[28:29], s[44:45]
	s_and_b64 s[26:27], s[26:27], s[28:29]
	s_xor_b64 s[28:29], s[26:27], -1
                                        ; implicit-def: $vgpr62
	s_and_saveexec_b64 s[44:45], s[28:29]
	s_xor_b64 s[28:29], exec, s[44:45]
; %bb.31:                               ;   in Loop: Header=BB108_2 Depth=1
	ds_read_u8 v62, v64 offset:1
; %bb.32:                               ;   in Loop: Header=BB108_2 Depth=1
	s_or_saveexec_b64 s[28:29], s[28:29]
	v_mov_b32_e32 v65, v61
	s_xor_b64 exec, exec, s[28:29]
	s_cbranch_execz .LBB108_34
; %bb.33:                               ;   in Loop: Header=BB108_2 Depth=1
	ds_read_u8 v65, v63 offset:1
	s_waitcnt lgkmcnt(1)
	v_mov_b32_e32 v62, v60
.LBB108_34:                             ;   in Loop: Header=BB108_2 Depth=1
	s_or_b64 exec, exec, s[28:29]
	v_cndmask_b32_e64 v60, v60, v61, s[26:27]
	v_add_u32_e32 v61, 1, v63
	v_add_u32_e32 v66, 1, v64
	v_cndmask_b32_e64 v61, v63, v61, s[26:27]
	v_cndmask_b32_e64 v63, v66, v64, s[26:27]
	v_cndmask_b32_sdwa v58, v58, v59, vcc dst_sel:BYTE_1 dst_unused:UNUSED_PAD src0_sel:DWORD src1_sel:DWORD
	s_mov_b64 vcc, s[22:23]
	v_cndmask_b32_e64 v50, v50, v51, s[18:19]
	v_cndmask_b32_e64 v48, v48, v49, s[16:17]
	v_cmp_ge_i32_e64 s[16:17], v63, v9
	s_waitcnt lgkmcnt(0)
	v_cmp_lt_u16_sdwa s[18:19], v65, v62 src0_sel:BYTE_0 src1_sel:BYTE_0
	v_cndmask_b32_sdwa v54, v54, v55, vcc dst_sel:BYTE_1 dst_unused:UNUSED_PAD src0_sel:DWORD src1_sel:DWORD
	v_cmp_lt_i32_e32 vcc, v61, v10
	s_or_b64 s[16:17], s[16:17], s[18:19]
	s_and_b64 vcc, vcc, s[16:17]
	v_cndmask_b32_e64 v52, v52, v53, s[20:21]
	v_cndmask_b32_e32 v49, v62, v65, vcc
	v_lshlrev_b16_e32 v50, 8, v50
	v_cndmask_b32_e64 v56, v56, v57, s[24:25]
	v_or_b32_sdwa v48, v48, v50 dst_sel:DWORD dst_unused:UNUSED_PAD src0_sel:BYTE_0 src1_sel:DWORD
	v_or_b32_sdwa v50, v52, v54 dst_sel:WORD_1 dst_unused:UNUSED_PAD src0_sel:BYTE_0 src1_sel:DWORD
	v_lshlrev_b16_e32 v49, 8, v49
	v_or_b32_sdwa v48, v48, v50 dst_sel:DWORD dst_unused:UNUSED_PAD src0_sel:WORD_0 src1_sel:DWORD
	v_or_b32_sdwa v50, v56, v58 dst_sel:DWORD dst_unused:UNUSED_PAD src0_sel:BYTE_0 src1_sel:DWORD
	v_or_b32_sdwa v49, v60, v49 dst_sel:WORD_1 dst_unused:UNUSED_PAD src0_sel:BYTE_0 src1_sel:DWORD
	v_or_b32_sdwa v49, v50, v49 dst_sel:DWORD dst_unused:UNUSED_PAD src0_sel:WORD_0 src1_sel:DWORD
	s_barrier
	ds_write_b64 v1, v[48:49]
	v_mov_b32_e32 v48, v32
	s_waitcnt lgkmcnt(0)
	s_barrier
	s_and_saveexec_b64 s[16:17], s[2:3]
	s_cbranch_execz .LBB108_38
; %bb.35:                               ;   in Loop: Header=BB108_2 Depth=1
	s_mov_b64 s[18:19], 0
	v_mov_b32_e32 v48, v32
	v_mov_b32_e32 v49, v28
.LBB108_36:                             ;   Parent Loop BB108_2 Depth=1
                                        ; =>  This Inner Loop Header: Depth=2
	v_sub_u32_e32 v50, v49, v48
	v_lshrrev_b32_e32 v50, 1, v50
	v_add_u32_e32 v50, v50, v48
	v_add_u32_e32 v51, v3, v50
	v_xad_u32 v52, v50, -1, v24
	ds_read_u8 v51, v51
	ds_read_u8 v52, v52
	v_add_u32_e32 v53, 1, v50
	s_waitcnt lgkmcnt(0)
	v_cmp_lt_u16_e32 vcc, v52, v51
	v_cndmask_b32_e32 v49, v49, v50, vcc
	v_cndmask_b32_e32 v48, v53, v48, vcc
	v_cmp_ge_i32_e32 vcc, v48, v49
	s_or_b64 s[18:19], vcc, s[18:19]
	s_andn2_b64 exec, exec, s[18:19]
	s_cbranch_execnz .LBB108_36
; %bb.37:                               ;   in Loop: Header=BB108_2 Depth=1
	s_or_b64 exec, exec, s[18:19]
.LBB108_38:                             ;   in Loop: Header=BB108_2 Depth=1
	s_or_b64 exec, exec, s[16:17]
	v_add_u32_e32 v52, v48, v3
	v_sub_u32_e32 v53, v24, v48
	ds_read_u8 v48, v52
	ds_read_u8 v49, v53
	v_cmp_le_i32_e64 s[16:17], v11, v52
	v_cmp_gt_i32_e32 vcc, v12, v53
                                        ; implicit-def: $vgpr50
	s_waitcnt lgkmcnt(0)
	v_cmp_lt_u16_sdwa s[18:19], v49, v48 src0_sel:BYTE_0 src1_sel:BYTE_0
	s_or_b64 s[16:17], s[16:17], s[18:19]
	s_and_b64 s[16:17], vcc, s[16:17]
	s_xor_b64 s[18:19], s[16:17], -1
	s_and_saveexec_b64 s[20:21], s[18:19]
	s_xor_b64 s[18:19], exec, s[20:21]
; %bb.39:                               ;   in Loop: Header=BB108_2 Depth=1
	ds_read_u8 v50, v52 offset:1
; %bb.40:                               ;   in Loop: Header=BB108_2 Depth=1
	s_or_saveexec_b64 s[18:19], s[18:19]
	v_mov_b32_e32 v51, v49
	s_xor_b64 exec, exec, s[18:19]
	s_cbranch_execz .LBB108_42
; %bb.41:                               ;   in Loop: Header=BB108_2 Depth=1
	ds_read_u8 v51, v53 offset:1
	s_waitcnt lgkmcnt(1)
	v_mov_b32_e32 v50, v48
.LBB108_42:                             ;   in Loop: Header=BB108_2 Depth=1
	s_or_b64 exec, exec, s[18:19]
	v_add_u32_e32 v55, 1, v52
	v_add_u32_e32 v54, 1, v53
	v_cndmask_b32_e64 v55, v55, v52, s[16:17]
	v_cndmask_b32_e64 v54, v53, v54, s[16:17]
	v_cmp_ge_i32_e64 s[18:19], v55, v11
	s_waitcnt lgkmcnt(0)
	v_cmp_lt_u16_sdwa s[20:21], v51, v50 src0_sel:BYTE_0 src1_sel:BYTE_0
	v_cmp_lt_i32_e32 vcc, v54, v12
	s_or_b64 s[18:19], s[18:19], s[20:21]
	s_and_b64 s[18:19], vcc, s[18:19]
	s_xor_b64 s[20:21], s[18:19], -1
                                        ; implicit-def: $vgpr52
	s_and_saveexec_b64 s[22:23], s[20:21]
	s_xor_b64 s[20:21], exec, s[22:23]
; %bb.43:                               ;   in Loop: Header=BB108_2 Depth=1
	ds_read_u8 v52, v55 offset:1
; %bb.44:                               ;   in Loop: Header=BB108_2 Depth=1
	s_or_saveexec_b64 s[20:21], s[20:21]
	v_mov_b32_e32 v53, v51
	s_xor_b64 exec, exec, s[20:21]
	s_cbranch_execz .LBB108_46
; %bb.45:                               ;   in Loop: Header=BB108_2 Depth=1
	ds_read_u8 v53, v54 offset:1
	s_waitcnt lgkmcnt(1)
	v_mov_b32_e32 v52, v50
.LBB108_46:                             ;   in Loop: Header=BB108_2 Depth=1
	s_or_b64 exec, exec, s[20:21]
	v_add_u32_e32 v57, 1, v55
	v_add_u32_e32 v56, 1, v54
	v_cndmask_b32_e64 v57, v57, v55, s[18:19]
	v_cndmask_b32_e64 v56, v54, v56, s[18:19]
	v_cmp_ge_i32_e64 s[20:21], v57, v11
	s_waitcnt lgkmcnt(0)
	v_cmp_lt_u16_sdwa s[22:23], v53, v52 src0_sel:BYTE_0 src1_sel:BYTE_0
	v_cmp_lt_i32_e32 vcc, v56, v12
	s_or_b64 s[20:21], s[20:21], s[22:23]
	s_and_b64 s[20:21], vcc, s[20:21]
	s_xor_b64 s[22:23], s[20:21], -1
                                        ; implicit-def: $vgpr54
	s_and_saveexec_b64 s[24:25], s[22:23]
	s_xor_b64 s[22:23], exec, s[24:25]
; %bb.47:                               ;   in Loop: Header=BB108_2 Depth=1
	ds_read_u8 v54, v57 offset:1
; %bb.48:                               ;   in Loop: Header=BB108_2 Depth=1
	s_or_saveexec_b64 s[22:23], s[22:23]
	v_mov_b32_e32 v55, v53
	s_xor_b64 exec, exec, s[22:23]
	s_cbranch_execz .LBB108_50
; %bb.49:                               ;   in Loop: Header=BB108_2 Depth=1
	ds_read_u8 v55, v56 offset:1
	s_waitcnt lgkmcnt(1)
	v_mov_b32_e32 v54, v52
.LBB108_50:                             ;   in Loop: Header=BB108_2 Depth=1
	s_or_b64 exec, exec, s[22:23]
	v_add_u32_e32 v59, 1, v57
	v_add_u32_e32 v58, 1, v56
	v_cndmask_b32_e64 v59, v59, v57, s[20:21]
	v_cndmask_b32_e64 v58, v56, v58, s[20:21]
	v_cmp_ge_i32_e64 s[22:23], v59, v11
	s_waitcnt lgkmcnt(0)
	v_cmp_lt_u16_sdwa s[24:25], v55, v54 src0_sel:BYTE_0 src1_sel:BYTE_0
	v_cmp_lt_i32_e32 vcc, v58, v12
	s_or_b64 s[22:23], s[22:23], s[24:25]
	s_and_b64 s[22:23], vcc, s[22:23]
	s_xor_b64 s[24:25], s[22:23], -1
                                        ; implicit-def: $vgpr56
	s_and_saveexec_b64 s[26:27], s[24:25]
	s_xor_b64 s[24:25], exec, s[26:27]
; %bb.51:                               ;   in Loop: Header=BB108_2 Depth=1
	ds_read_u8 v56, v59 offset:1
; %bb.52:                               ;   in Loop: Header=BB108_2 Depth=1
	s_or_saveexec_b64 s[24:25], s[24:25]
	v_mov_b32_e32 v57, v55
	s_xor_b64 exec, exec, s[24:25]
	s_cbranch_execz .LBB108_54
; %bb.53:                               ;   in Loop: Header=BB108_2 Depth=1
	ds_read_u8 v57, v58 offset:1
	s_waitcnt lgkmcnt(1)
	v_mov_b32_e32 v56, v54
.LBB108_54:                             ;   in Loop: Header=BB108_2 Depth=1
	s_or_b64 exec, exec, s[24:25]
	v_add_u32_e32 v61, 1, v59
	v_add_u32_e32 v60, 1, v58
	v_cndmask_b32_e64 v61, v61, v59, s[22:23]
	v_cndmask_b32_e64 v60, v58, v60, s[22:23]
	v_cmp_ge_i32_e64 s[24:25], v61, v11
	s_waitcnt lgkmcnt(0)
	v_cmp_lt_u16_sdwa s[26:27], v57, v56 src0_sel:BYTE_0 src1_sel:BYTE_0
	v_cmp_lt_i32_e32 vcc, v60, v12
	s_or_b64 s[24:25], s[24:25], s[26:27]
	s_and_b64 s[24:25], vcc, s[24:25]
	s_xor_b64 s[26:27], s[24:25], -1
                                        ; implicit-def: $vgpr58
	s_and_saveexec_b64 s[28:29], s[26:27]
	s_xor_b64 s[26:27], exec, s[28:29]
; %bb.55:                               ;   in Loop: Header=BB108_2 Depth=1
	ds_read_u8 v58, v61 offset:1
; %bb.56:                               ;   in Loop: Header=BB108_2 Depth=1
	s_or_saveexec_b64 s[26:27], s[26:27]
	v_mov_b32_e32 v59, v57
	s_xor_b64 exec, exec, s[26:27]
	s_cbranch_execz .LBB108_58
; %bb.57:                               ;   in Loop: Header=BB108_2 Depth=1
	ds_read_u8 v59, v60 offset:1
	s_waitcnt lgkmcnt(1)
	v_mov_b32_e32 v58, v56
.LBB108_58:                             ;   in Loop: Header=BB108_2 Depth=1
	s_or_b64 exec, exec, s[26:27]
	v_add_u32_e32 v63, 1, v61
	v_add_u32_e32 v62, 1, v60
	v_cndmask_b32_e64 v64, v63, v61, s[24:25]
	v_cndmask_b32_e64 v62, v60, v62, s[24:25]
	v_cmp_ge_i32_e64 s[26:27], v64, v11
	s_waitcnt lgkmcnt(0)
	v_cmp_lt_u16_sdwa s[28:29], v59, v58 src0_sel:BYTE_0 src1_sel:BYTE_0
	v_cmp_lt_i32_e32 vcc, v62, v12
	s_or_b64 s[26:27], s[26:27], s[28:29]
	s_and_b64 vcc, vcc, s[26:27]
	s_xor_b64 s[26:27], vcc, -1
                                        ; implicit-def: $vgpr60
	s_and_saveexec_b64 s[28:29], s[26:27]
	s_xor_b64 s[26:27], exec, s[28:29]
; %bb.59:                               ;   in Loop: Header=BB108_2 Depth=1
	ds_read_u8 v60, v64 offset:1
; %bb.60:                               ;   in Loop: Header=BB108_2 Depth=1
	s_or_saveexec_b64 s[26:27], s[26:27]
	v_mov_b32_e32 v61, v59
	s_xor_b64 exec, exec, s[26:27]
	s_cbranch_execz .LBB108_62
; %bb.61:                               ;   in Loop: Header=BB108_2 Depth=1
	ds_read_u8 v61, v62 offset:1
	s_waitcnt lgkmcnt(1)
	v_mov_b32_e32 v60, v58
.LBB108_62:                             ;   in Loop: Header=BB108_2 Depth=1
	s_or_b64 exec, exec, s[26:27]
	v_add_u32_e32 v65, 1, v64
	v_add_u32_e32 v63, 1, v62
	v_cndmask_b32_e32 v64, v65, v64, vcc
	v_cndmask_b32_e32 v63, v62, v63, vcc
	v_cmp_ge_i32_e64 s[28:29], v64, v11
	s_waitcnt lgkmcnt(0)
	v_cmp_lt_u16_sdwa s[44:45], v61, v60 src0_sel:BYTE_0 src1_sel:BYTE_0
	v_cmp_lt_i32_e64 s[26:27], v63, v12
	s_or_b64 s[28:29], s[28:29], s[44:45]
	s_and_b64 s[26:27], s[26:27], s[28:29]
	s_xor_b64 s[28:29], s[26:27], -1
                                        ; implicit-def: $vgpr62
	s_and_saveexec_b64 s[44:45], s[28:29]
	s_xor_b64 s[28:29], exec, s[44:45]
; %bb.63:                               ;   in Loop: Header=BB108_2 Depth=1
	ds_read_u8 v62, v64 offset:1
; %bb.64:                               ;   in Loop: Header=BB108_2 Depth=1
	s_or_saveexec_b64 s[28:29], s[28:29]
	v_mov_b32_e32 v65, v61
	s_xor_b64 exec, exec, s[28:29]
	s_cbranch_execz .LBB108_66
; %bb.65:                               ;   in Loop: Header=BB108_2 Depth=1
	ds_read_u8 v65, v63 offset:1
	s_waitcnt lgkmcnt(1)
	v_mov_b32_e32 v62, v60
.LBB108_66:                             ;   in Loop: Header=BB108_2 Depth=1
	s_or_b64 exec, exec, s[28:29]
	v_cndmask_b32_e64 v60, v60, v61, s[26:27]
	v_add_u32_e32 v61, 1, v63
	v_add_u32_e32 v66, 1, v64
	v_cndmask_b32_e64 v61, v63, v61, s[26:27]
	v_cndmask_b32_e64 v63, v66, v64, s[26:27]
	v_cndmask_b32_sdwa v58, v58, v59, vcc dst_sel:BYTE_1 dst_unused:UNUSED_PAD src0_sel:DWORD src1_sel:DWORD
	s_mov_b64 vcc, s[22:23]
	v_cndmask_b32_e64 v50, v50, v51, s[18:19]
	v_cndmask_b32_e64 v48, v48, v49, s[16:17]
	v_cmp_ge_i32_e64 s[16:17], v63, v11
	s_waitcnt lgkmcnt(0)
	v_cmp_lt_u16_sdwa s[18:19], v65, v62 src0_sel:BYTE_0 src1_sel:BYTE_0
	v_cndmask_b32_sdwa v54, v54, v55, vcc dst_sel:BYTE_1 dst_unused:UNUSED_PAD src0_sel:DWORD src1_sel:DWORD
	v_cmp_lt_i32_e32 vcc, v61, v12
	s_or_b64 s[16:17], s[16:17], s[18:19]
	s_and_b64 vcc, vcc, s[16:17]
	v_cndmask_b32_e64 v52, v52, v53, s[20:21]
	v_cndmask_b32_e32 v49, v62, v65, vcc
	v_lshlrev_b16_e32 v50, 8, v50
	v_cndmask_b32_e64 v56, v56, v57, s[24:25]
	v_or_b32_sdwa v48, v48, v50 dst_sel:DWORD dst_unused:UNUSED_PAD src0_sel:BYTE_0 src1_sel:DWORD
	v_or_b32_sdwa v50, v52, v54 dst_sel:WORD_1 dst_unused:UNUSED_PAD src0_sel:BYTE_0 src1_sel:DWORD
	v_lshlrev_b16_e32 v49, 8, v49
	v_or_b32_sdwa v48, v48, v50 dst_sel:DWORD dst_unused:UNUSED_PAD src0_sel:WORD_0 src1_sel:DWORD
	v_or_b32_sdwa v50, v56, v58 dst_sel:DWORD dst_unused:UNUSED_PAD src0_sel:BYTE_0 src1_sel:DWORD
	v_or_b32_sdwa v49, v60, v49 dst_sel:WORD_1 dst_unused:UNUSED_PAD src0_sel:BYTE_0 src1_sel:DWORD
	v_or_b32_sdwa v49, v50, v49 dst_sel:DWORD dst_unused:UNUSED_PAD src0_sel:WORD_0 src1_sel:DWORD
	s_barrier
	ds_write_b64 v1, v[48:49]
	v_mov_b32_e32 v48, v33
	s_waitcnt lgkmcnt(0)
	s_barrier
	s_and_saveexec_b64 s[16:17], s[4:5]
	s_cbranch_execz .LBB108_70
; %bb.67:                               ;   in Loop: Header=BB108_2 Depth=1
	s_mov_b64 s[18:19], 0
	v_mov_b32_e32 v48, v33
	v_mov_b32_e32 v49, v29
.LBB108_68:                             ;   Parent Loop BB108_2 Depth=1
                                        ; =>  This Inner Loop Header: Depth=2
	v_sub_u32_e32 v50, v49, v48
	v_lshrrev_b32_e32 v50, 1, v50
	v_add_u32_e32 v50, v50, v48
	v_add_u32_e32 v51, v4, v50
	v_xad_u32 v52, v50, -1, v25
	ds_read_u8 v51, v51
	ds_read_u8 v52, v52
	v_add_u32_e32 v53, 1, v50
	s_waitcnt lgkmcnt(0)
	v_cmp_lt_u16_e32 vcc, v52, v51
	v_cndmask_b32_e32 v49, v49, v50, vcc
	v_cndmask_b32_e32 v48, v53, v48, vcc
	v_cmp_ge_i32_e32 vcc, v48, v49
	s_or_b64 s[18:19], vcc, s[18:19]
	s_andn2_b64 exec, exec, s[18:19]
	s_cbranch_execnz .LBB108_68
; %bb.69:                               ;   in Loop: Header=BB108_2 Depth=1
	s_or_b64 exec, exec, s[18:19]
.LBB108_70:                             ;   in Loop: Header=BB108_2 Depth=1
	s_or_b64 exec, exec, s[16:17]
	v_add_u32_e32 v52, v48, v4
	v_sub_u32_e32 v53, v25, v48
	ds_read_u8 v48, v52
	ds_read_u8 v49, v53
	v_cmp_le_i32_e64 s[16:17], v13, v52
	v_cmp_gt_i32_e32 vcc, v14, v53
                                        ; implicit-def: $vgpr50
	s_waitcnt lgkmcnt(0)
	v_cmp_lt_u16_sdwa s[18:19], v49, v48 src0_sel:BYTE_0 src1_sel:BYTE_0
	s_or_b64 s[16:17], s[16:17], s[18:19]
	s_and_b64 s[16:17], vcc, s[16:17]
	s_xor_b64 s[18:19], s[16:17], -1
	s_and_saveexec_b64 s[20:21], s[18:19]
	s_xor_b64 s[18:19], exec, s[20:21]
; %bb.71:                               ;   in Loop: Header=BB108_2 Depth=1
	ds_read_u8 v50, v52 offset:1
; %bb.72:                               ;   in Loop: Header=BB108_2 Depth=1
	s_or_saveexec_b64 s[18:19], s[18:19]
	v_mov_b32_e32 v51, v49
	s_xor_b64 exec, exec, s[18:19]
	s_cbranch_execz .LBB108_74
; %bb.73:                               ;   in Loop: Header=BB108_2 Depth=1
	ds_read_u8 v51, v53 offset:1
	s_waitcnt lgkmcnt(1)
	v_mov_b32_e32 v50, v48
.LBB108_74:                             ;   in Loop: Header=BB108_2 Depth=1
	s_or_b64 exec, exec, s[18:19]
	v_add_u32_e32 v55, 1, v52
	v_add_u32_e32 v54, 1, v53
	v_cndmask_b32_e64 v55, v55, v52, s[16:17]
	v_cndmask_b32_e64 v54, v53, v54, s[16:17]
	v_cmp_ge_i32_e64 s[18:19], v55, v13
	s_waitcnt lgkmcnt(0)
	v_cmp_lt_u16_sdwa s[20:21], v51, v50 src0_sel:BYTE_0 src1_sel:BYTE_0
	v_cmp_lt_i32_e32 vcc, v54, v14
	s_or_b64 s[18:19], s[18:19], s[20:21]
	s_and_b64 s[18:19], vcc, s[18:19]
	s_xor_b64 s[20:21], s[18:19], -1
                                        ; implicit-def: $vgpr52
	s_and_saveexec_b64 s[22:23], s[20:21]
	s_xor_b64 s[20:21], exec, s[22:23]
; %bb.75:                               ;   in Loop: Header=BB108_2 Depth=1
	ds_read_u8 v52, v55 offset:1
; %bb.76:                               ;   in Loop: Header=BB108_2 Depth=1
	s_or_saveexec_b64 s[20:21], s[20:21]
	v_mov_b32_e32 v53, v51
	s_xor_b64 exec, exec, s[20:21]
	s_cbranch_execz .LBB108_78
; %bb.77:                               ;   in Loop: Header=BB108_2 Depth=1
	ds_read_u8 v53, v54 offset:1
	s_waitcnt lgkmcnt(1)
	v_mov_b32_e32 v52, v50
.LBB108_78:                             ;   in Loop: Header=BB108_2 Depth=1
	s_or_b64 exec, exec, s[20:21]
	v_add_u32_e32 v57, 1, v55
	v_add_u32_e32 v56, 1, v54
	v_cndmask_b32_e64 v57, v57, v55, s[18:19]
	v_cndmask_b32_e64 v56, v54, v56, s[18:19]
	v_cmp_ge_i32_e64 s[20:21], v57, v13
	s_waitcnt lgkmcnt(0)
	v_cmp_lt_u16_sdwa s[22:23], v53, v52 src0_sel:BYTE_0 src1_sel:BYTE_0
	v_cmp_lt_i32_e32 vcc, v56, v14
	s_or_b64 s[20:21], s[20:21], s[22:23]
	s_and_b64 s[20:21], vcc, s[20:21]
	s_xor_b64 s[22:23], s[20:21], -1
                                        ; implicit-def: $vgpr54
	s_and_saveexec_b64 s[24:25], s[22:23]
	s_xor_b64 s[22:23], exec, s[24:25]
; %bb.79:                               ;   in Loop: Header=BB108_2 Depth=1
	ds_read_u8 v54, v57 offset:1
; %bb.80:                               ;   in Loop: Header=BB108_2 Depth=1
	s_or_saveexec_b64 s[22:23], s[22:23]
	v_mov_b32_e32 v55, v53
	s_xor_b64 exec, exec, s[22:23]
	s_cbranch_execz .LBB108_82
; %bb.81:                               ;   in Loop: Header=BB108_2 Depth=1
	ds_read_u8 v55, v56 offset:1
	s_waitcnt lgkmcnt(1)
	v_mov_b32_e32 v54, v52
.LBB108_82:                             ;   in Loop: Header=BB108_2 Depth=1
	s_or_b64 exec, exec, s[22:23]
	v_add_u32_e32 v59, 1, v57
	v_add_u32_e32 v58, 1, v56
	v_cndmask_b32_e64 v59, v59, v57, s[20:21]
	v_cndmask_b32_e64 v58, v56, v58, s[20:21]
	v_cmp_ge_i32_e64 s[22:23], v59, v13
	s_waitcnt lgkmcnt(0)
	v_cmp_lt_u16_sdwa s[24:25], v55, v54 src0_sel:BYTE_0 src1_sel:BYTE_0
	v_cmp_lt_i32_e32 vcc, v58, v14
	s_or_b64 s[22:23], s[22:23], s[24:25]
	s_and_b64 s[22:23], vcc, s[22:23]
	s_xor_b64 s[24:25], s[22:23], -1
                                        ; implicit-def: $vgpr56
	s_and_saveexec_b64 s[26:27], s[24:25]
	s_xor_b64 s[24:25], exec, s[26:27]
; %bb.83:                               ;   in Loop: Header=BB108_2 Depth=1
	ds_read_u8 v56, v59 offset:1
; %bb.84:                               ;   in Loop: Header=BB108_2 Depth=1
	s_or_saveexec_b64 s[24:25], s[24:25]
	v_mov_b32_e32 v57, v55
	s_xor_b64 exec, exec, s[24:25]
	s_cbranch_execz .LBB108_86
; %bb.85:                               ;   in Loop: Header=BB108_2 Depth=1
	ds_read_u8 v57, v58 offset:1
	s_waitcnt lgkmcnt(1)
	v_mov_b32_e32 v56, v54
.LBB108_86:                             ;   in Loop: Header=BB108_2 Depth=1
	s_or_b64 exec, exec, s[24:25]
	v_add_u32_e32 v61, 1, v59
	v_add_u32_e32 v60, 1, v58
	v_cndmask_b32_e64 v61, v61, v59, s[22:23]
	v_cndmask_b32_e64 v60, v58, v60, s[22:23]
	v_cmp_ge_i32_e64 s[24:25], v61, v13
	s_waitcnt lgkmcnt(0)
	v_cmp_lt_u16_sdwa s[26:27], v57, v56 src0_sel:BYTE_0 src1_sel:BYTE_0
	v_cmp_lt_i32_e32 vcc, v60, v14
	s_or_b64 s[24:25], s[24:25], s[26:27]
	s_and_b64 s[24:25], vcc, s[24:25]
	s_xor_b64 s[26:27], s[24:25], -1
                                        ; implicit-def: $vgpr58
	s_and_saveexec_b64 s[28:29], s[26:27]
	s_xor_b64 s[26:27], exec, s[28:29]
; %bb.87:                               ;   in Loop: Header=BB108_2 Depth=1
	ds_read_u8 v58, v61 offset:1
; %bb.88:                               ;   in Loop: Header=BB108_2 Depth=1
	s_or_saveexec_b64 s[26:27], s[26:27]
	v_mov_b32_e32 v59, v57
	s_xor_b64 exec, exec, s[26:27]
	s_cbranch_execz .LBB108_90
; %bb.89:                               ;   in Loop: Header=BB108_2 Depth=1
	ds_read_u8 v59, v60 offset:1
	s_waitcnt lgkmcnt(1)
	v_mov_b32_e32 v58, v56
.LBB108_90:                             ;   in Loop: Header=BB108_2 Depth=1
	s_or_b64 exec, exec, s[26:27]
	v_add_u32_e32 v63, 1, v61
	v_add_u32_e32 v62, 1, v60
	v_cndmask_b32_e64 v64, v63, v61, s[24:25]
	v_cndmask_b32_e64 v62, v60, v62, s[24:25]
	v_cmp_ge_i32_e64 s[26:27], v64, v13
	s_waitcnt lgkmcnt(0)
	v_cmp_lt_u16_sdwa s[28:29], v59, v58 src0_sel:BYTE_0 src1_sel:BYTE_0
	v_cmp_lt_i32_e32 vcc, v62, v14
	s_or_b64 s[26:27], s[26:27], s[28:29]
	s_and_b64 vcc, vcc, s[26:27]
	s_xor_b64 s[26:27], vcc, -1
                                        ; implicit-def: $vgpr60
	s_and_saveexec_b64 s[28:29], s[26:27]
	s_xor_b64 s[26:27], exec, s[28:29]
; %bb.91:                               ;   in Loop: Header=BB108_2 Depth=1
	ds_read_u8 v60, v64 offset:1
; %bb.92:                               ;   in Loop: Header=BB108_2 Depth=1
	s_or_saveexec_b64 s[26:27], s[26:27]
	v_mov_b32_e32 v61, v59
	s_xor_b64 exec, exec, s[26:27]
	s_cbranch_execz .LBB108_94
; %bb.93:                               ;   in Loop: Header=BB108_2 Depth=1
	ds_read_u8 v61, v62 offset:1
	s_waitcnt lgkmcnt(1)
	v_mov_b32_e32 v60, v58
.LBB108_94:                             ;   in Loop: Header=BB108_2 Depth=1
	s_or_b64 exec, exec, s[26:27]
	v_add_u32_e32 v65, 1, v64
	v_add_u32_e32 v63, 1, v62
	v_cndmask_b32_e32 v64, v65, v64, vcc
	v_cndmask_b32_e32 v63, v62, v63, vcc
	v_cmp_ge_i32_e64 s[28:29], v64, v13
	s_waitcnt lgkmcnt(0)
	v_cmp_lt_u16_sdwa s[44:45], v61, v60 src0_sel:BYTE_0 src1_sel:BYTE_0
	v_cmp_lt_i32_e64 s[26:27], v63, v14
	s_or_b64 s[28:29], s[28:29], s[44:45]
	s_and_b64 s[26:27], s[26:27], s[28:29]
	s_xor_b64 s[28:29], s[26:27], -1
                                        ; implicit-def: $vgpr62
	s_and_saveexec_b64 s[44:45], s[28:29]
	s_xor_b64 s[28:29], exec, s[44:45]
; %bb.95:                               ;   in Loop: Header=BB108_2 Depth=1
	ds_read_u8 v62, v64 offset:1
; %bb.96:                               ;   in Loop: Header=BB108_2 Depth=1
	s_or_saveexec_b64 s[28:29], s[28:29]
	v_mov_b32_e32 v65, v61
	s_xor_b64 exec, exec, s[28:29]
	s_cbranch_execz .LBB108_98
; %bb.97:                               ;   in Loop: Header=BB108_2 Depth=1
	ds_read_u8 v65, v63 offset:1
	s_waitcnt lgkmcnt(1)
	v_mov_b32_e32 v62, v60
.LBB108_98:                             ;   in Loop: Header=BB108_2 Depth=1
	s_or_b64 exec, exec, s[28:29]
	v_cndmask_b32_e64 v60, v60, v61, s[26:27]
	v_add_u32_e32 v61, 1, v63
	v_add_u32_e32 v66, 1, v64
	v_cndmask_b32_e64 v61, v63, v61, s[26:27]
	v_cndmask_b32_e64 v63, v66, v64, s[26:27]
	v_cndmask_b32_sdwa v58, v58, v59, vcc dst_sel:BYTE_1 dst_unused:UNUSED_PAD src0_sel:DWORD src1_sel:DWORD
	s_mov_b64 vcc, s[22:23]
	v_cndmask_b32_e64 v50, v50, v51, s[18:19]
	v_cndmask_b32_e64 v48, v48, v49, s[16:17]
	v_cmp_ge_i32_e64 s[16:17], v63, v13
	s_waitcnt lgkmcnt(0)
	v_cmp_lt_u16_sdwa s[18:19], v65, v62 src0_sel:BYTE_0 src1_sel:BYTE_0
	v_cndmask_b32_sdwa v54, v54, v55, vcc dst_sel:BYTE_1 dst_unused:UNUSED_PAD src0_sel:DWORD src1_sel:DWORD
	v_cmp_lt_i32_e32 vcc, v61, v14
	s_or_b64 s[16:17], s[16:17], s[18:19]
	s_and_b64 vcc, vcc, s[16:17]
	v_cndmask_b32_e64 v52, v52, v53, s[20:21]
	v_cndmask_b32_e32 v49, v62, v65, vcc
	v_lshlrev_b16_e32 v50, 8, v50
	v_cndmask_b32_e64 v56, v56, v57, s[24:25]
	v_or_b32_sdwa v48, v48, v50 dst_sel:DWORD dst_unused:UNUSED_PAD src0_sel:BYTE_0 src1_sel:DWORD
	v_or_b32_sdwa v50, v52, v54 dst_sel:WORD_1 dst_unused:UNUSED_PAD src0_sel:BYTE_0 src1_sel:DWORD
	v_lshlrev_b16_e32 v49, 8, v49
	v_or_b32_sdwa v48, v48, v50 dst_sel:DWORD dst_unused:UNUSED_PAD src0_sel:WORD_0 src1_sel:DWORD
	v_or_b32_sdwa v50, v56, v58 dst_sel:DWORD dst_unused:UNUSED_PAD src0_sel:BYTE_0 src1_sel:DWORD
	v_or_b32_sdwa v49, v60, v49 dst_sel:WORD_1 dst_unused:UNUSED_PAD src0_sel:BYTE_0 src1_sel:DWORD
	v_or_b32_sdwa v49, v50, v49 dst_sel:DWORD dst_unused:UNUSED_PAD src0_sel:WORD_0 src1_sel:DWORD
	s_barrier
	ds_write_b64 v1, v[48:49]
	v_mov_b32_e32 v48, v34
	s_waitcnt lgkmcnt(0)
	s_barrier
	s_and_saveexec_b64 s[16:17], s[6:7]
	s_cbranch_execz .LBB108_102
; %bb.99:                               ;   in Loop: Header=BB108_2 Depth=1
	s_mov_b64 s[18:19], 0
	v_mov_b32_e32 v48, v34
	v_mov_b32_e32 v49, v30
.LBB108_100:                            ;   Parent Loop BB108_2 Depth=1
                                        ; =>  This Inner Loop Header: Depth=2
	v_sub_u32_e32 v50, v49, v48
	v_lshrrev_b32_e32 v50, 1, v50
	v_add_u32_e32 v50, v50, v48
	v_add_u32_e32 v51, v5, v50
	v_xad_u32 v52, v50, -1, v26
	ds_read_u8 v51, v51
	ds_read_u8 v52, v52
	v_add_u32_e32 v53, 1, v50
	s_waitcnt lgkmcnt(0)
	v_cmp_lt_u16_e32 vcc, v52, v51
	v_cndmask_b32_e32 v49, v49, v50, vcc
	v_cndmask_b32_e32 v48, v53, v48, vcc
	v_cmp_ge_i32_e32 vcc, v48, v49
	s_or_b64 s[18:19], vcc, s[18:19]
	s_andn2_b64 exec, exec, s[18:19]
	s_cbranch_execnz .LBB108_100
; %bb.101:                              ;   in Loop: Header=BB108_2 Depth=1
	s_or_b64 exec, exec, s[18:19]
.LBB108_102:                            ;   in Loop: Header=BB108_2 Depth=1
	s_or_b64 exec, exec, s[16:17]
	v_add_u32_e32 v52, v48, v5
	v_sub_u32_e32 v53, v26, v48
	ds_read_u8 v48, v52
	ds_read_u8 v49, v53
	v_cmp_le_i32_e64 s[16:17], v15, v52
	v_cmp_gt_i32_e32 vcc, v16, v53
                                        ; implicit-def: $vgpr50
	s_waitcnt lgkmcnt(0)
	v_cmp_lt_u16_sdwa s[18:19], v49, v48 src0_sel:BYTE_0 src1_sel:BYTE_0
	s_or_b64 s[16:17], s[16:17], s[18:19]
	s_and_b64 s[16:17], vcc, s[16:17]
	s_xor_b64 s[18:19], s[16:17], -1
	s_and_saveexec_b64 s[20:21], s[18:19]
	s_xor_b64 s[18:19], exec, s[20:21]
; %bb.103:                              ;   in Loop: Header=BB108_2 Depth=1
	ds_read_u8 v50, v52 offset:1
; %bb.104:                              ;   in Loop: Header=BB108_2 Depth=1
	s_or_saveexec_b64 s[18:19], s[18:19]
	v_mov_b32_e32 v51, v49
	s_xor_b64 exec, exec, s[18:19]
	s_cbranch_execz .LBB108_106
; %bb.105:                              ;   in Loop: Header=BB108_2 Depth=1
	ds_read_u8 v51, v53 offset:1
	s_waitcnt lgkmcnt(1)
	v_mov_b32_e32 v50, v48
.LBB108_106:                            ;   in Loop: Header=BB108_2 Depth=1
	s_or_b64 exec, exec, s[18:19]
	v_add_u32_e32 v55, 1, v52
	v_add_u32_e32 v54, 1, v53
	v_cndmask_b32_e64 v55, v55, v52, s[16:17]
	v_cndmask_b32_e64 v54, v53, v54, s[16:17]
	v_cmp_ge_i32_e64 s[18:19], v55, v15
	s_waitcnt lgkmcnt(0)
	v_cmp_lt_u16_sdwa s[20:21], v51, v50 src0_sel:BYTE_0 src1_sel:BYTE_0
	v_cmp_lt_i32_e32 vcc, v54, v16
	s_or_b64 s[18:19], s[18:19], s[20:21]
	s_and_b64 s[18:19], vcc, s[18:19]
	s_xor_b64 s[20:21], s[18:19], -1
                                        ; implicit-def: $vgpr52
	s_and_saveexec_b64 s[22:23], s[20:21]
	s_xor_b64 s[20:21], exec, s[22:23]
; %bb.107:                              ;   in Loop: Header=BB108_2 Depth=1
	ds_read_u8 v52, v55 offset:1
; %bb.108:                              ;   in Loop: Header=BB108_2 Depth=1
	s_or_saveexec_b64 s[20:21], s[20:21]
	v_mov_b32_e32 v53, v51
	s_xor_b64 exec, exec, s[20:21]
	s_cbranch_execz .LBB108_110
; %bb.109:                              ;   in Loop: Header=BB108_2 Depth=1
	ds_read_u8 v53, v54 offset:1
	s_waitcnt lgkmcnt(1)
	v_mov_b32_e32 v52, v50
.LBB108_110:                            ;   in Loop: Header=BB108_2 Depth=1
	s_or_b64 exec, exec, s[20:21]
	v_add_u32_e32 v57, 1, v55
	v_add_u32_e32 v56, 1, v54
	v_cndmask_b32_e64 v57, v57, v55, s[18:19]
	v_cndmask_b32_e64 v56, v54, v56, s[18:19]
	v_cmp_ge_i32_e64 s[20:21], v57, v15
	s_waitcnt lgkmcnt(0)
	v_cmp_lt_u16_sdwa s[22:23], v53, v52 src0_sel:BYTE_0 src1_sel:BYTE_0
	v_cmp_lt_i32_e32 vcc, v56, v16
	s_or_b64 s[20:21], s[20:21], s[22:23]
	s_and_b64 s[20:21], vcc, s[20:21]
	s_xor_b64 s[22:23], s[20:21], -1
                                        ; implicit-def: $vgpr54
	s_and_saveexec_b64 s[24:25], s[22:23]
	s_xor_b64 s[22:23], exec, s[24:25]
; %bb.111:                              ;   in Loop: Header=BB108_2 Depth=1
	ds_read_u8 v54, v57 offset:1
; %bb.112:                              ;   in Loop: Header=BB108_2 Depth=1
	s_or_saveexec_b64 s[22:23], s[22:23]
	v_mov_b32_e32 v55, v53
	s_xor_b64 exec, exec, s[22:23]
	s_cbranch_execz .LBB108_114
; %bb.113:                              ;   in Loop: Header=BB108_2 Depth=1
	ds_read_u8 v55, v56 offset:1
	s_waitcnt lgkmcnt(1)
	v_mov_b32_e32 v54, v52
.LBB108_114:                            ;   in Loop: Header=BB108_2 Depth=1
	s_or_b64 exec, exec, s[22:23]
	v_add_u32_e32 v59, 1, v57
	v_add_u32_e32 v58, 1, v56
	v_cndmask_b32_e64 v59, v59, v57, s[20:21]
	v_cndmask_b32_e64 v58, v56, v58, s[20:21]
	v_cmp_ge_i32_e64 s[22:23], v59, v15
	s_waitcnt lgkmcnt(0)
	v_cmp_lt_u16_sdwa s[24:25], v55, v54 src0_sel:BYTE_0 src1_sel:BYTE_0
	v_cmp_lt_i32_e32 vcc, v58, v16
	s_or_b64 s[22:23], s[22:23], s[24:25]
	s_and_b64 s[22:23], vcc, s[22:23]
	s_xor_b64 s[24:25], s[22:23], -1
                                        ; implicit-def: $vgpr56
	s_and_saveexec_b64 s[26:27], s[24:25]
	s_xor_b64 s[24:25], exec, s[26:27]
; %bb.115:                              ;   in Loop: Header=BB108_2 Depth=1
	ds_read_u8 v56, v59 offset:1
; %bb.116:                              ;   in Loop: Header=BB108_2 Depth=1
	s_or_saveexec_b64 s[24:25], s[24:25]
	v_mov_b32_e32 v57, v55
	s_xor_b64 exec, exec, s[24:25]
	s_cbranch_execz .LBB108_118
; %bb.117:                              ;   in Loop: Header=BB108_2 Depth=1
	ds_read_u8 v57, v58 offset:1
	s_waitcnt lgkmcnt(1)
	v_mov_b32_e32 v56, v54
.LBB108_118:                            ;   in Loop: Header=BB108_2 Depth=1
	s_or_b64 exec, exec, s[24:25]
	v_add_u32_e32 v61, 1, v59
	v_add_u32_e32 v60, 1, v58
	v_cndmask_b32_e64 v61, v61, v59, s[22:23]
	v_cndmask_b32_e64 v60, v58, v60, s[22:23]
	v_cmp_ge_i32_e64 s[24:25], v61, v15
	s_waitcnt lgkmcnt(0)
	v_cmp_lt_u16_sdwa s[26:27], v57, v56 src0_sel:BYTE_0 src1_sel:BYTE_0
	v_cmp_lt_i32_e32 vcc, v60, v16
	s_or_b64 s[24:25], s[24:25], s[26:27]
	s_and_b64 s[24:25], vcc, s[24:25]
	s_xor_b64 s[26:27], s[24:25], -1
                                        ; implicit-def: $vgpr58
	s_and_saveexec_b64 s[28:29], s[26:27]
	s_xor_b64 s[26:27], exec, s[28:29]
; %bb.119:                              ;   in Loop: Header=BB108_2 Depth=1
	ds_read_u8 v58, v61 offset:1
; %bb.120:                              ;   in Loop: Header=BB108_2 Depth=1
	s_or_saveexec_b64 s[26:27], s[26:27]
	v_mov_b32_e32 v59, v57
	s_xor_b64 exec, exec, s[26:27]
	s_cbranch_execz .LBB108_122
; %bb.121:                              ;   in Loop: Header=BB108_2 Depth=1
	ds_read_u8 v59, v60 offset:1
	s_waitcnt lgkmcnt(1)
	v_mov_b32_e32 v58, v56
.LBB108_122:                            ;   in Loop: Header=BB108_2 Depth=1
	s_or_b64 exec, exec, s[26:27]
	v_add_u32_e32 v63, 1, v61
	v_add_u32_e32 v62, 1, v60
	v_cndmask_b32_e64 v64, v63, v61, s[24:25]
	v_cndmask_b32_e64 v62, v60, v62, s[24:25]
	v_cmp_ge_i32_e64 s[26:27], v64, v15
	s_waitcnt lgkmcnt(0)
	v_cmp_lt_u16_sdwa s[28:29], v59, v58 src0_sel:BYTE_0 src1_sel:BYTE_0
	v_cmp_lt_i32_e32 vcc, v62, v16
	s_or_b64 s[26:27], s[26:27], s[28:29]
	s_and_b64 vcc, vcc, s[26:27]
	s_xor_b64 s[26:27], vcc, -1
                                        ; implicit-def: $vgpr60
	s_and_saveexec_b64 s[28:29], s[26:27]
	s_xor_b64 s[26:27], exec, s[28:29]
; %bb.123:                              ;   in Loop: Header=BB108_2 Depth=1
	ds_read_u8 v60, v64 offset:1
; %bb.124:                              ;   in Loop: Header=BB108_2 Depth=1
	s_or_saveexec_b64 s[26:27], s[26:27]
	v_mov_b32_e32 v61, v59
	s_xor_b64 exec, exec, s[26:27]
	s_cbranch_execz .LBB108_126
; %bb.125:                              ;   in Loop: Header=BB108_2 Depth=1
	ds_read_u8 v61, v62 offset:1
	s_waitcnt lgkmcnt(1)
	v_mov_b32_e32 v60, v58
.LBB108_126:                            ;   in Loop: Header=BB108_2 Depth=1
	s_or_b64 exec, exec, s[26:27]
	v_add_u32_e32 v65, 1, v64
	v_add_u32_e32 v63, 1, v62
	v_cndmask_b32_e32 v64, v65, v64, vcc
	v_cndmask_b32_e32 v63, v62, v63, vcc
	v_cmp_ge_i32_e64 s[28:29], v64, v15
	s_waitcnt lgkmcnt(0)
	v_cmp_lt_u16_sdwa s[44:45], v61, v60 src0_sel:BYTE_0 src1_sel:BYTE_0
	v_cmp_lt_i32_e64 s[26:27], v63, v16
	s_or_b64 s[28:29], s[28:29], s[44:45]
	s_and_b64 s[26:27], s[26:27], s[28:29]
	s_xor_b64 s[28:29], s[26:27], -1
                                        ; implicit-def: $vgpr62
	s_and_saveexec_b64 s[44:45], s[28:29]
	s_xor_b64 s[28:29], exec, s[44:45]
; %bb.127:                              ;   in Loop: Header=BB108_2 Depth=1
	ds_read_u8 v62, v64 offset:1
; %bb.128:                              ;   in Loop: Header=BB108_2 Depth=1
	s_or_saveexec_b64 s[28:29], s[28:29]
	v_mov_b32_e32 v65, v61
	s_xor_b64 exec, exec, s[28:29]
	s_cbranch_execz .LBB108_130
; %bb.129:                              ;   in Loop: Header=BB108_2 Depth=1
	ds_read_u8 v65, v63 offset:1
	s_waitcnt lgkmcnt(1)
	v_mov_b32_e32 v62, v60
.LBB108_130:                            ;   in Loop: Header=BB108_2 Depth=1
	s_or_b64 exec, exec, s[28:29]
	v_cndmask_b32_e64 v60, v60, v61, s[26:27]
	v_add_u32_e32 v61, 1, v63
	v_add_u32_e32 v66, 1, v64
	v_cndmask_b32_e64 v61, v63, v61, s[26:27]
	v_cndmask_b32_e64 v63, v66, v64, s[26:27]
	v_cndmask_b32_sdwa v58, v58, v59, vcc dst_sel:BYTE_1 dst_unused:UNUSED_PAD src0_sel:DWORD src1_sel:DWORD
	s_mov_b64 vcc, s[22:23]
	v_cndmask_b32_e64 v50, v50, v51, s[18:19]
	v_cndmask_b32_e64 v48, v48, v49, s[16:17]
	v_cmp_ge_i32_e64 s[16:17], v63, v15
	s_waitcnt lgkmcnt(0)
	v_cmp_lt_u16_sdwa s[18:19], v65, v62 src0_sel:BYTE_0 src1_sel:BYTE_0
	v_cndmask_b32_sdwa v54, v54, v55, vcc dst_sel:BYTE_1 dst_unused:UNUSED_PAD src0_sel:DWORD src1_sel:DWORD
	v_cmp_lt_i32_e32 vcc, v61, v16
	s_or_b64 s[16:17], s[16:17], s[18:19]
	s_and_b64 vcc, vcc, s[16:17]
	v_cndmask_b32_e64 v52, v52, v53, s[20:21]
	v_cndmask_b32_e32 v49, v62, v65, vcc
	v_lshlrev_b16_e32 v50, 8, v50
	v_cndmask_b32_e64 v56, v56, v57, s[24:25]
	v_or_b32_sdwa v48, v48, v50 dst_sel:DWORD dst_unused:UNUSED_PAD src0_sel:BYTE_0 src1_sel:DWORD
	v_or_b32_sdwa v50, v52, v54 dst_sel:WORD_1 dst_unused:UNUSED_PAD src0_sel:BYTE_0 src1_sel:DWORD
	v_lshlrev_b16_e32 v49, 8, v49
	v_or_b32_sdwa v48, v48, v50 dst_sel:DWORD dst_unused:UNUSED_PAD src0_sel:WORD_0 src1_sel:DWORD
	v_or_b32_sdwa v50, v56, v58 dst_sel:DWORD dst_unused:UNUSED_PAD src0_sel:BYTE_0 src1_sel:DWORD
	v_or_b32_sdwa v49, v60, v49 dst_sel:WORD_1 dst_unused:UNUSED_PAD src0_sel:BYTE_0 src1_sel:DWORD
	v_or_b32_sdwa v49, v50, v49 dst_sel:DWORD dst_unused:UNUSED_PAD src0_sel:WORD_0 src1_sel:DWORD
	s_barrier
	ds_write_b64 v1, v[48:49]
	v_mov_b32_e32 v48, v35
	s_waitcnt lgkmcnt(0)
	s_barrier
	s_and_saveexec_b64 s[16:17], s[8:9]
	s_cbranch_execz .LBB108_134
; %bb.131:                              ;   in Loop: Header=BB108_2 Depth=1
	s_mov_b64 s[18:19], 0
	v_mov_b32_e32 v48, v35
	v_mov_b32_e32 v49, v36
.LBB108_132:                            ;   Parent Loop BB108_2 Depth=1
                                        ; =>  This Inner Loop Header: Depth=2
	v_sub_u32_e32 v50, v49, v48
	v_lshrrev_b32_e32 v50, 1, v50
	v_add_u32_e32 v50, v50, v48
	v_add_u32_e32 v51, v6, v50
	v_xad_u32 v52, v50, -1, v37
	ds_read_u8 v51, v51
	ds_read_u8 v52, v52
	v_add_u32_e32 v53, 1, v50
	s_waitcnt lgkmcnt(0)
	v_cmp_lt_u16_e32 vcc, v52, v51
	v_cndmask_b32_e32 v49, v49, v50, vcc
	v_cndmask_b32_e32 v48, v53, v48, vcc
	v_cmp_ge_i32_e32 vcc, v48, v49
	s_or_b64 s[18:19], vcc, s[18:19]
	s_andn2_b64 exec, exec, s[18:19]
	s_cbranch_execnz .LBB108_132
; %bb.133:                              ;   in Loop: Header=BB108_2 Depth=1
	s_or_b64 exec, exec, s[18:19]
.LBB108_134:                            ;   in Loop: Header=BB108_2 Depth=1
	s_or_b64 exec, exec, s[16:17]
	v_add_u32_e32 v52, v48, v6
	v_sub_u32_e32 v53, v37, v48
	ds_read_u8 v48, v52
	ds_read_u8 v49, v53
	v_cmp_le_i32_e64 s[16:17], v17, v52
	v_cmp_gt_i32_e32 vcc, v18, v53
                                        ; implicit-def: $vgpr50
	s_waitcnt lgkmcnt(0)
	v_cmp_lt_u16_sdwa s[18:19], v49, v48 src0_sel:BYTE_0 src1_sel:BYTE_0
	s_or_b64 s[16:17], s[16:17], s[18:19]
	s_and_b64 s[16:17], vcc, s[16:17]
	s_xor_b64 s[18:19], s[16:17], -1
	s_and_saveexec_b64 s[20:21], s[18:19]
	s_xor_b64 s[18:19], exec, s[20:21]
; %bb.135:                              ;   in Loop: Header=BB108_2 Depth=1
	ds_read_u8 v50, v52 offset:1
; %bb.136:                              ;   in Loop: Header=BB108_2 Depth=1
	s_or_saveexec_b64 s[18:19], s[18:19]
	v_mov_b32_e32 v51, v49
	s_xor_b64 exec, exec, s[18:19]
	s_cbranch_execz .LBB108_138
; %bb.137:                              ;   in Loop: Header=BB108_2 Depth=1
	ds_read_u8 v51, v53 offset:1
	s_waitcnt lgkmcnt(1)
	v_mov_b32_e32 v50, v48
.LBB108_138:                            ;   in Loop: Header=BB108_2 Depth=1
	s_or_b64 exec, exec, s[18:19]
	v_add_u32_e32 v55, 1, v52
	v_add_u32_e32 v54, 1, v53
	v_cndmask_b32_e64 v55, v55, v52, s[16:17]
	v_cndmask_b32_e64 v54, v53, v54, s[16:17]
	v_cmp_ge_i32_e64 s[18:19], v55, v17
	s_waitcnt lgkmcnt(0)
	v_cmp_lt_u16_sdwa s[20:21], v51, v50 src0_sel:BYTE_0 src1_sel:BYTE_0
	v_cmp_lt_i32_e32 vcc, v54, v18
	s_or_b64 s[18:19], s[18:19], s[20:21]
	s_and_b64 s[18:19], vcc, s[18:19]
	s_xor_b64 s[20:21], s[18:19], -1
                                        ; implicit-def: $vgpr52
	s_and_saveexec_b64 s[22:23], s[20:21]
	s_xor_b64 s[20:21], exec, s[22:23]
; %bb.139:                              ;   in Loop: Header=BB108_2 Depth=1
	ds_read_u8 v52, v55 offset:1
; %bb.140:                              ;   in Loop: Header=BB108_2 Depth=1
	s_or_saveexec_b64 s[20:21], s[20:21]
	v_mov_b32_e32 v53, v51
	s_xor_b64 exec, exec, s[20:21]
	s_cbranch_execz .LBB108_142
; %bb.141:                              ;   in Loop: Header=BB108_2 Depth=1
	ds_read_u8 v53, v54 offset:1
	s_waitcnt lgkmcnt(1)
	v_mov_b32_e32 v52, v50
.LBB108_142:                            ;   in Loop: Header=BB108_2 Depth=1
	s_or_b64 exec, exec, s[20:21]
	v_add_u32_e32 v57, 1, v55
	v_add_u32_e32 v56, 1, v54
	v_cndmask_b32_e64 v57, v57, v55, s[18:19]
	v_cndmask_b32_e64 v56, v54, v56, s[18:19]
	v_cmp_ge_i32_e64 s[20:21], v57, v17
	s_waitcnt lgkmcnt(0)
	v_cmp_lt_u16_sdwa s[22:23], v53, v52 src0_sel:BYTE_0 src1_sel:BYTE_0
	v_cmp_lt_i32_e32 vcc, v56, v18
	s_or_b64 s[20:21], s[20:21], s[22:23]
	s_and_b64 s[20:21], vcc, s[20:21]
	s_xor_b64 s[22:23], s[20:21], -1
                                        ; implicit-def: $vgpr54
	s_and_saveexec_b64 s[24:25], s[22:23]
	s_xor_b64 s[22:23], exec, s[24:25]
; %bb.143:                              ;   in Loop: Header=BB108_2 Depth=1
	ds_read_u8 v54, v57 offset:1
; %bb.144:                              ;   in Loop: Header=BB108_2 Depth=1
	s_or_saveexec_b64 s[22:23], s[22:23]
	v_mov_b32_e32 v55, v53
	s_xor_b64 exec, exec, s[22:23]
	s_cbranch_execz .LBB108_146
; %bb.145:                              ;   in Loop: Header=BB108_2 Depth=1
	ds_read_u8 v55, v56 offset:1
	s_waitcnt lgkmcnt(1)
	v_mov_b32_e32 v54, v52
.LBB108_146:                            ;   in Loop: Header=BB108_2 Depth=1
	s_or_b64 exec, exec, s[22:23]
	v_add_u32_e32 v59, 1, v57
	v_add_u32_e32 v58, 1, v56
	v_cndmask_b32_e64 v59, v59, v57, s[20:21]
	v_cndmask_b32_e64 v58, v56, v58, s[20:21]
	v_cmp_ge_i32_e64 s[22:23], v59, v17
	s_waitcnt lgkmcnt(0)
	v_cmp_lt_u16_sdwa s[24:25], v55, v54 src0_sel:BYTE_0 src1_sel:BYTE_0
	v_cmp_lt_i32_e32 vcc, v58, v18
	s_or_b64 s[22:23], s[22:23], s[24:25]
	s_and_b64 s[22:23], vcc, s[22:23]
	s_xor_b64 s[24:25], s[22:23], -1
                                        ; implicit-def: $vgpr56
	s_and_saveexec_b64 s[26:27], s[24:25]
	s_xor_b64 s[24:25], exec, s[26:27]
; %bb.147:                              ;   in Loop: Header=BB108_2 Depth=1
	ds_read_u8 v56, v59 offset:1
; %bb.148:                              ;   in Loop: Header=BB108_2 Depth=1
	s_or_saveexec_b64 s[24:25], s[24:25]
	v_mov_b32_e32 v57, v55
	s_xor_b64 exec, exec, s[24:25]
	s_cbranch_execz .LBB108_150
; %bb.149:                              ;   in Loop: Header=BB108_2 Depth=1
	ds_read_u8 v57, v58 offset:1
	s_waitcnt lgkmcnt(1)
	v_mov_b32_e32 v56, v54
.LBB108_150:                            ;   in Loop: Header=BB108_2 Depth=1
	s_or_b64 exec, exec, s[24:25]
	v_add_u32_e32 v61, 1, v59
	v_add_u32_e32 v60, 1, v58
	v_cndmask_b32_e64 v61, v61, v59, s[22:23]
	v_cndmask_b32_e64 v60, v58, v60, s[22:23]
	v_cmp_ge_i32_e64 s[24:25], v61, v17
	s_waitcnt lgkmcnt(0)
	v_cmp_lt_u16_sdwa s[26:27], v57, v56 src0_sel:BYTE_0 src1_sel:BYTE_0
	v_cmp_lt_i32_e32 vcc, v60, v18
	s_or_b64 s[24:25], s[24:25], s[26:27]
	s_and_b64 s[24:25], vcc, s[24:25]
	s_xor_b64 s[26:27], s[24:25], -1
                                        ; implicit-def: $vgpr58
	s_and_saveexec_b64 s[28:29], s[26:27]
	s_xor_b64 s[26:27], exec, s[28:29]
; %bb.151:                              ;   in Loop: Header=BB108_2 Depth=1
	ds_read_u8 v58, v61 offset:1
; %bb.152:                              ;   in Loop: Header=BB108_2 Depth=1
	s_or_saveexec_b64 s[26:27], s[26:27]
	v_mov_b32_e32 v59, v57
	s_xor_b64 exec, exec, s[26:27]
	s_cbranch_execz .LBB108_154
; %bb.153:                              ;   in Loop: Header=BB108_2 Depth=1
	ds_read_u8 v59, v60 offset:1
	s_waitcnt lgkmcnt(1)
	v_mov_b32_e32 v58, v56
.LBB108_154:                            ;   in Loop: Header=BB108_2 Depth=1
	s_or_b64 exec, exec, s[26:27]
	v_add_u32_e32 v63, 1, v61
	v_add_u32_e32 v62, 1, v60
	v_cndmask_b32_e64 v64, v63, v61, s[24:25]
	v_cndmask_b32_e64 v62, v60, v62, s[24:25]
	v_cmp_ge_i32_e64 s[26:27], v64, v17
	s_waitcnt lgkmcnt(0)
	v_cmp_lt_u16_sdwa s[28:29], v59, v58 src0_sel:BYTE_0 src1_sel:BYTE_0
	v_cmp_lt_i32_e32 vcc, v62, v18
	s_or_b64 s[26:27], s[26:27], s[28:29]
	s_and_b64 vcc, vcc, s[26:27]
	s_xor_b64 s[26:27], vcc, -1
                                        ; implicit-def: $vgpr60
	s_and_saveexec_b64 s[28:29], s[26:27]
	s_xor_b64 s[26:27], exec, s[28:29]
; %bb.155:                              ;   in Loop: Header=BB108_2 Depth=1
	ds_read_u8 v60, v64 offset:1
; %bb.156:                              ;   in Loop: Header=BB108_2 Depth=1
	s_or_saveexec_b64 s[26:27], s[26:27]
	v_mov_b32_e32 v61, v59
	s_xor_b64 exec, exec, s[26:27]
	s_cbranch_execz .LBB108_158
; %bb.157:                              ;   in Loop: Header=BB108_2 Depth=1
	ds_read_u8 v61, v62 offset:1
	s_waitcnt lgkmcnt(1)
	v_mov_b32_e32 v60, v58
.LBB108_158:                            ;   in Loop: Header=BB108_2 Depth=1
	s_or_b64 exec, exec, s[26:27]
	v_add_u32_e32 v65, 1, v64
	v_add_u32_e32 v63, 1, v62
	v_cndmask_b32_e32 v64, v65, v64, vcc
	v_cndmask_b32_e32 v63, v62, v63, vcc
	v_cmp_ge_i32_e64 s[28:29], v64, v17
	s_waitcnt lgkmcnt(0)
	v_cmp_lt_u16_sdwa s[44:45], v61, v60 src0_sel:BYTE_0 src1_sel:BYTE_0
	v_cmp_lt_i32_e64 s[26:27], v63, v18
	s_or_b64 s[28:29], s[28:29], s[44:45]
	s_and_b64 s[26:27], s[26:27], s[28:29]
	s_xor_b64 s[28:29], s[26:27], -1
                                        ; implicit-def: $vgpr62
	s_and_saveexec_b64 s[44:45], s[28:29]
	s_xor_b64 s[28:29], exec, s[44:45]
; %bb.159:                              ;   in Loop: Header=BB108_2 Depth=1
	ds_read_u8 v62, v64 offset:1
; %bb.160:                              ;   in Loop: Header=BB108_2 Depth=1
	s_or_saveexec_b64 s[28:29], s[28:29]
	v_mov_b32_e32 v65, v61
	s_xor_b64 exec, exec, s[28:29]
	s_cbranch_execz .LBB108_162
; %bb.161:                              ;   in Loop: Header=BB108_2 Depth=1
	ds_read_u8 v65, v63 offset:1
	s_waitcnt lgkmcnt(1)
	v_mov_b32_e32 v62, v60
.LBB108_162:                            ;   in Loop: Header=BB108_2 Depth=1
	s_or_b64 exec, exec, s[28:29]
	v_cndmask_b32_e64 v60, v60, v61, s[26:27]
	v_add_u32_e32 v61, 1, v63
	v_add_u32_e32 v66, 1, v64
	v_cndmask_b32_e64 v61, v63, v61, s[26:27]
	v_cndmask_b32_e64 v63, v66, v64, s[26:27]
	v_cndmask_b32_sdwa v58, v58, v59, vcc dst_sel:BYTE_1 dst_unused:UNUSED_PAD src0_sel:DWORD src1_sel:DWORD
	s_mov_b64 vcc, s[22:23]
	v_cndmask_b32_e64 v50, v50, v51, s[18:19]
	v_cndmask_b32_e64 v48, v48, v49, s[16:17]
	v_cmp_ge_i32_e64 s[16:17], v63, v17
	s_waitcnt lgkmcnt(0)
	v_cmp_lt_u16_sdwa s[18:19], v65, v62 src0_sel:BYTE_0 src1_sel:BYTE_0
	v_cndmask_b32_sdwa v54, v54, v55, vcc dst_sel:BYTE_1 dst_unused:UNUSED_PAD src0_sel:DWORD src1_sel:DWORD
	v_cmp_lt_i32_e32 vcc, v61, v18
	s_or_b64 s[16:17], s[16:17], s[18:19]
	s_and_b64 vcc, vcc, s[16:17]
	v_cndmask_b32_e64 v52, v52, v53, s[20:21]
	v_cndmask_b32_e32 v49, v62, v65, vcc
	v_lshlrev_b16_e32 v50, 8, v50
	v_cndmask_b32_e64 v56, v56, v57, s[24:25]
	v_or_b32_sdwa v48, v48, v50 dst_sel:DWORD dst_unused:UNUSED_PAD src0_sel:BYTE_0 src1_sel:DWORD
	v_or_b32_sdwa v50, v52, v54 dst_sel:WORD_1 dst_unused:UNUSED_PAD src0_sel:BYTE_0 src1_sel:DWORD
	v_lshlrev_b16_e32 v49, 8, v49
	v_or_b32_sdwa v48, v48, v50 dst_sel:DWORD dst_unused:UNUSED_PAD src0_sel:WORD_0 src1_sel:DWORD
	v_or_b32_sdwa v50, v56, v58 dst_sel:DWORD dst_unused:UNUSED_PAD src0_sel:BYTE_0 src1_sel:DWORD
	v_or_b32_sdwa v49, v60, v49 dst_sel:WORD_1 dst_unused:UNUSED_PAD src0_sel:BYTE_0 src1_sel:DWORD
	v_or_b32_sdwa v49, v50, v49 dst_sel:DWORD dst_unused:UNUSED_PAD src0_sel:WORD_0 src1_sel:DWORD
	s_barrier
	ds_write_b64 v1, v[48:49]
	v_mov_b32_e32 v48, v38
	s_waitcnt lgkmcnt(0)
	s_barrier
	s_and_saveexec_b64 s[16:17], s[10:11]
	s_cbranch_execz .LBB108_166
; %bb.163:                              ;   in Loop: Header=BB108_2 Depth=1
	s_mov_b64 s[18:19], 0
	v_mov_b32_e32 v48, v38
	v_mov_b32_e32 v49, v39
.LBB108_164:                            ;   Parent Loop BB108_2 Depth=1
                                        ; =>  This Inner Loop Header: Depth=2
	v_sub_u32_e32 v50, v49, v48
	v_lshrrev_b32_e32 v50, 1, v50
	v_add_u32_e32 v50, v50, v48
	v_add_u32_e32 v51, v7, v50
	v_xad_u32 v52, v50, -1, v40
	ds_read_u8 v51, v51
	ds_read_u8 v52, v52
	v_add_u32_e32 v53, 1, v50
	s_waitcnt lgkmcnt(0)
	v_cmp_lt_u16_e32 vcc, v52, v51
	v_cndmask_b32_e32 v49, v49, v50, vcc
	v_cndmask_b32_e32 v48, v53, v48, vcc
	v_cmp_ge_i32_e32 vcc, v48, v49
	s_or_b64 s[18:19], vcc, s[18:19]
	s_andn2_b64 exec, exec, s[18:19]
	s_cbranch_execnz .LBB108_164
; %bb.165:                              ;   in Loop: Header=BB108_2 Depth=1
	s_or_b64 exec, exec, s[18:19]
.LBB108_166:                            ;   in Loop: Header=BB108_2 Depth=1
	s_or_b64 exec, exec, s[16:17]
	v_add_u32_e32 v52, v48, v7
	v_sub_u32_e32 v53, v40, v48
	ds_read_u8 v48, v52
	ds_read_u8 v49, v53
	v_cmp_le_i32_e64 s[16:17], v19, v52
	v_cmp_gt_i32_e32 vcc, v20, v53
                                        ; implicit-def: $vgpr50
	s_waitcnt lgkmcnt(0)
	v_cmp_lt_u16_sdwa s[18:19], v49, v48 src0_sel:BYTE_0 src1_sel:BYTE_0
	s_or_b64 s[16:17], s[16:17], s[18:19]
	s_and_b64 s[16:17], vcc, s[16:17]
	s_xor_b64 s[18:19], s[16:17], -1
	s_and_saveexec_b64 s[20:21], s[18:19]
	s_xor_b64 s[18:19], exec, s[20:21]
; %bb.167:                              ;   in Loop: Header=BB108_2 Depth=1
	ds_read_u8 v50, v52 offset:1
; %bb.168:                              ;   in Loop: Header=BB108_2 Depth=1
	s_or_saveexec_b64 s[18:19], s[18:19]
	v_mov_b32_e32 v51, v49
	s_xor_b64 exec, exec, s[18:19]
	s_cbranch_execz .LBB108_170
; %bb.169:                              ;   in Loop: Header=BB108_2 Depth=1
	ds_read_u8 v51, v53 offset:1
	s_waitcnt lgkmcnt(1)
	v_mov_b32_e32 v50, v48
.LBB108_170:                            ;   in Loop: Header=BB108_2 Depth=1
	s_or_b64 exec, exec, s[18:19]
	v_add_u32_e32 v55, 1, v52
	v_add_u32_e32 v54, 1, v53
	v_cndmask_b32_e64 v55, v55, v52, s[16:17]
	v_cndmask_b32_e64 v54, v53, v54, s[16:17]
	v_cmp_ge_i32_e64 s[18:19], v55, v19
	s_waitcnt lgkmcnt(0)
	v_cmp_lt_u16_sdwa s[20:21], v51, v50 src0_sel:BYTE_0 src1_sel:BYTE_0
	v_cmp_lt_i32_e32 vcc, v54, v20
	s_or_b64 s[18:19], s[18:19], s[20:21]
	s_and_b64 s[18:19], vcc, s[18:19]
	s_xor_b64 s[20:21], s[18:19], -1
                                        ; implicit-def: $vgpr52
	s_and_saveexec_b64 s[22:23], s[20:21]
	s_xor_b64 s[20:21], exec, s[22:23]
; %bb.171:                              ;   in Loop: Header=BB108_2 Depth=1
	ds_read_u8 v52, v55 offset:1
; %bb.172:                              ;   in Loop: Header=BB108_2 Depth=1
	s_or_saveexec_b64 s[20:21], s[20:21]
	v_mov_b32_e32 v53, v51
	s_xor_b64 exec, exec, s[20:21]
	s_cbranch_execz .LBB108_174
; %bb.173:                              ;   in Loop: Header=BB108_2 Depth=1
	ds_read_u8 v53, v54 offset:1
	s_waitcnt lgkmcnt(1)
	v_mov_b32_e32 v52, v50
.LBB108_174:                            ;   in Loop: Header=BB108_2 Depth=1
	s_or_b64 exec, exec, s[20:21]
	v_add_u32_e32 v57, 1, v55
	v_add_u32_e32 v56, 1, v54
	v_cndmask_b32_e64 v57, v57, v55, s[18:19]
	v_cndmask_b32_e64 v56, v54, v56, s[18:19]
	v_cmp_ge_i32_e64 s[20:21], v57, v19
	s_waitcnt lgkmcnt(0)
	v_cmp_lt_u16_sdwa s[22:23], v53, v52 src0_sel:BYTE_0 src1_sel:BYTE_0
	v_cmp_lt_i32_e32 vcc, v56, v20
	s_or_b64 s[20:21], s[20:21], s[22:23]
	s_and_b64 s[20:21], vcc, s[20:21]
	s_xor_b64 s[22:23], s[20:21], -1
                                        ; implicit-def: $vgpr54
	s_and_saveexec_b64 s[24:25], s[22:23]
	s_xor_b64 s[22:23], exec, s[24:25]
; %bb.175:                              ;   in Loop: Header=BB108_2 Depth=1
	ds_read_u8 v54, v57 offset:1
; %bb.176:                              ;   in Loop: Header=BB108_2 Depth=1
	s_or_saveexec_b64 s[22:23], s[22:23]
	v_mov_b32_e32 v55, v53
	s_xor_b64 exec, exec, s[22:23]
	s_cbranch_execz .LBB108_178
; %bb.177:                              ;   in Loop: Header=BB108_2 Depth=1
	ds_read_u8 v55, v56 offset:1
	s_waitcnt lgkmcnt(1)
	v_mov_b32_e32 v54, v52
.LBB108_178:                            ;   in Loop: Header=BB108_2 Depth=1
	s_or_b64 exec, exec, s[22:23]
	v_add_u32_e32 v59, 1, v57
	v_add_u32_e32 v58, 1, v56
	v_cndmask_b32_e64 v59, v59, v57, s[20:21]
	v_cndmask_b32_e64 v58, v56, v58, s[20:21]
	v_cmp_ge_i32_e64 s[22:23], v59, v19
	s_waitcnt lgkmcnt(0)
	v_cmp_lt_u16_sdwa s[24:25], v55, v54 src0_sel:BYTE_0 src1_sel:BYTE_0
	v_cmp_lt_i32_e32 vcc, v58, v20
	s_or_b64 s[22:23], s[22:23], s[24:25]
	s_and_b64 s[22:23], vcc, s[22:23]
	s_xor_b64 s[24:25], s[22:23], -1
                                        ; implicit-def: $vgpr56
	s_and_saveexec_b64 s[26:27], s[24:25]
	s_xor_b64 s[24:25], exec, s[26:27]
; %bb.179:                              ;   in Loop: Header=BB108_2 Depth=1
	ds_read_u8 v56, v59 offset:1
; %bb.180:                              ;   in Loop: Header=BB108_2 Depth=1
	s_or_saveexec_b64 s[24:25], s[24:25]
	v_mov_b32_e32 v57, v55
	s_xor_b64 exec, exec, s[24:25]
	s_cbranch_execz .LBB108_182
; %bb.181:                              ;   in Loop: Header=BB108_2 Depth=1
	ds_read_u8 v57, v58 offset:1
	s_waitcnt lgkmcnt(1)
	v_mov_b32_e32 v56, v54
.LBB108_182:                            ;   in Loop: Header=BB108_2 Depth=1
	s_or_b64 exec, exec, s[24:25]
	v_add_u32_e32 v61, 1, v59
	v_add_u32_e32 v60, 1, v58
	v_cndmask_b32_e64 v61, v61, v59, s[22:23]
	v_cndmask_b32_e64 v60, v58, v60, s[22:23]
	v_cmp_ge_i32_e64 s[24:25], v61, v19
	s_waitcnt lgkmcnt(0)
	v_cmp_lt_u16_sdwa s[26:27], v57, v56 src0_sel:BYTE_0 src1_sel:BYTE_0
	v_cmp_lt_i32_e32 vcc, v60, v20
	s_or_b64 s[24:25], s[24:25], s[26:27]
	s_and_b64 s[24:25], vcc, s[24:25]
	s_xor_b64 s[26:27], s[24:25], -1
                                        ; implicit-def: $vgpr58
	s_and_saveexec_b64 s[28:29], s[26:27]
	s_xor_b64 s[26:27], exec, s[28:29]
; %bb.183:                              ;   in Loop: Header=BB108_2 Depth=1
	ds_read_u8 v58, v61 offset:1
; %bb.184:                              ;   in Loop: Header=BB108_2 Depth=1
	s_or_saveexec_b64 s[26:27], s[26:27]
	v_mov_b32_e32 v59, v57
	s_xor_b64 exec, exec, s[26:27]
	s_cbranch_execz .LBB108_186
; %bb.185:                              ;   in Loop: Header=BB108_2 Depth=1
	ds_read_u8 v59, v60 offset:1
	s_waitcnt lgkmcnt(1)
	v_mov_b32_e32 v58, v56
.LBB108_186:                            ;   in Loop: Header=BB108_2 Depth=1
	s_or_b64 exec, exec, s[26:27]
	v_add_u32_e32 v63, 1, v61
	v_add_u32_e32 v62, 1, v60
	v_cndmask_b32_e64 v64, v63, v61, s[24:25]
	v_cndmask_b32_e64 v62, v60, v62, s[24:25]
	v_cmp_ge_i32_e64 s[26:27], v64, v19
	s_waitcnt lgkmcnt(0)
	v_cmp_lt_u16_sdwa s[28:29], v59, v58 src0_sel:BYTE_0 src1_sel:BYTE_0
	v_cmp_lt_i32_e32 vcc, v62, v20
	s_or_b64 s[26:27], s[26:27], s[28:29]
	s_and_b64 vcc, vcc, s[26:27]
	s_xor_b64 s[26:27], vcc, -1
                                        ; implicit-def: $vgpr60
	s_and_saveexec_b64 s[28:29], s[26:27]
	s_xor_b64 s[26:27], exec, s[28:29]
; %bb.187:                              ;   in Loop: Header=BB108_2 Depth=1
	ds_read_u8 v60, v64 offset:1
; %bb.188:                              ;   in Loop: Header=BB108_2 Depth=1
	s_or_saveexec_b64 s[26:27], s[26:27]
	v_mov_b32_e32 v61, v59
	s_xor_b64 exec, exec, s[26:27]
	s_cbranch_execz .LBB108_190
; %bb.189:                              ;   in Loop: Header=BB108_2 Depth=1
	ds_read_u8 v61, v62 offset:1
	s_waitcnt lgkmcnt(1)
	v_mov_b32_e32 v60, v58
.LBB108_190:                            ;   in Loop: Header=BB108_2 Depth=1
	s_or_b64 exec, exec, s[26:27]
	v_add_u32_e32 v65, 1, v64
	v_add_u32_e32 v63, 1, v62
	v_cndmask_b32_e32 v64, v65, v64, vcc
	v_cndmask_b32_e32 v63, v62, v63, vcc
	v_cmp_ge_i32_e64 s[28:29], v64, v19
	s_waitcnt lgkmcnt(0)
	v_cmp_lt_u16_sdwa s[44:45], v61, v60 src0_sel:BYTE_0 src1_sel:BYTE_0
	v_cmp_lt_i32_e64 s[26:27], v63, v20
	s_or_b64 s[28:29], s[28:29], s[44:45]
	s_and_b64 s[26:27], s[26:27], s[28:29]
	s_xor_b64 s[28:29], s[26:27], -1
                                        ; implicit-def: $vgpr62
	s_and_saveexec_b64 s[44:45], s[28:29]
	s_xor_b64 s[28:29], exec, s[44:45]
; %bb.191:                              ;   in Loop: Header=BB108_2 Depth=1
	ds_read_u8 v62, v64 offset:1
; %bb.192:                              ;   in Loop: Header=BB108_2 Depth=1
	s_or_saveexec_b64 s[28:29], s[28:29]
	v_mov_b32_e32 v65, v61
	s_xor_b64 exec, exec, s[28:29]
	s_cbranch_execz .LBB108_194
; %bb.193:                              ;   in Loop: Header=BB108_2 Depth=1
	ds_read_u8 v65, v63 offset:1
	s_waitcnt lgkmcnt(1)
	v_mov_b32_e32 v62, v60
.LBB108_194:                            ;   in Loop: Header=BB108_2 Depth=1
	s_or_b64 exec, exec, s[28:29]
	v_cndmask_b32_e64 v60, v60, v61, s[26:27]
	v_add_u32_e32 v61, 1, v63
	v_add_u32_e32 v66, 1, v64
	v_cndmask_b32_e64 v61, v63, v61, s[26:27]
	v_cndmask_b32_e64 v63, v66, v64, s[26:27]
	v_cndmask_b32_sdwa v58, v58, v59, vcc dst_sel:BYTE_1 dst_unused:UNUSED_PAD src0_sel:DWORD src1_sel:DWORD
	s_mov_b64 vcc, s[22:23]
	v_cndmask_b32_e64 v50, v50, v51, s[18:19]
	v_cndmask_b32_e64 v48, v48, v49, s[16:17]
	v_cmp_ge_i32_e64 s[16:17], v63, v19
	s_waitcnt lgkmcnt(0)
	v_cmp_lt_u16_sdwa s[18:19], v65, v62 src0_sel:BYTE_0 src1_sel:BYTE_0
	v_cndmask_b32_sdwa v54, v54, v55, vcc dst_sel:BYTE_1 dst_unused:UNUSED_PAD src0_sel:DWORD src1_sel:DWORD
	v_cmp_lt_i32_e32 vcc, v61, v20
	s_or_b64 s[16:17], s[16:17], s[18:19]
	s_and_b64 vcc, vcc, s[16:17]
	v_cndmask_b32_e64 v52, v52, v53, s[20:21]
	v_cndmask_b32_e32 v49, v62, v65, vcc
	v_lshlrev_b16_e32 v50, 8, v50
	v_cndmask_b32_e64 v56, v56, v57, s[24:25]
	v_or_b32_sdwa v48, v48, v50 dst_sel:DWORD dst_unused:UNUSED_PAD src0_sel:BYTE_0 src1_sel:DWORD
	v_or_b32_sdwa v50, v52, v54 dst_sel:WORD_1 dst_unused:UNUSED_PAD src0_sel:BYTE_0 src1_sel:DWORD
	v_lshlrev_b16_e32 v49, 8, v49
	v_or_b32_sdwa v48, v48, v50 dst_sel:DWORD dst_unused:UNUSED_PAD src0_sel:WORD_0 src1_sel:DWORD
	v_or_b32_sdwa v50, v56, v58 dst_sel:DWORD dst_unused:UNUSED_PAD src0_sel:BYTE_0 src1_sel:DWORD
	v_or_b32_sdwa v49, v60, v49 dst_sel:WORD_1 dst_unused:UNUSED_PAD src0_sel:BYTE_0 src1_sel:DWORD
	v_or_b32_sdwa v49, v50, v49 dst_sel:DWORD dst_unused:UNUSED_PAD src0_sel:WORD_0 src1_sel:DWORD
	s_barrier
	ds_write_b64 v1, v[48:49]
	v_mov_b32_e32 v48, v41
	s_waitcnt lgkmcnt(0)
	s_barrier
	s_and_saveexec_b64 s[16:17], s[12:13]
	s_cbranch_execz .LBB108_198
; %bb.195:                              ;   in Loop: Header=BB108_2 Depth=1
	s_mov_b64 s[18:19], 0
	v_mov_b32_e32 v48, v41
	v_mov_b32_e32 v49, v42
.LBB108_196:                            ;   Parent Loop BB108_2 Depth=1
                                        ; =>  This Inner Loop Header: Depth=2
	v_sub_u32_e32 v50, v49, v48
	v_lshrrev_b32_e32 v50, 1, v50
	v_add_u32_e32 v50, v50, v48
	v_add_u32_e32 v51, v8, v50
	v_xad_u32 v52, v50, -1, v43
	ds_read_u8 v51, v51
	ds_read_u8 v52, v52
	v_add_u32_e32 v53, 1, v50
	s_waitcnt lgkmcnt(0)
	v_cmp_lt_u16_e32 vcc, v52, v51
	v_cndmask_b32_e32 v49, v49, v50, vcc
	v_cndmask_b32_e32 v48, v53, v48, vcc
	v_cmp_ge_i32_e32 vcc, v48, v49
	s_or_b64 s[18:19], vcc, s[18:19]
	s_andn2_b64 exec, exec, s[18:19]
	s_cbranch_execnz .LBB108_196
; %bb.197:                              ;   in Loop: Header=BB108_2 Depth=1
	s_or_b64 exec, exec, s[18:19]
.LBB108_198:                            ;   in Loop: Header=BB108_2 Depth=1
	s_or_b64 exec, exec, s[16:17]
	v_add_u32_e32 v52, v48, v8
	v_sub_u32_e32 v53, v43, v48
	ds_read_u8 v48, v52
	ds_read_u8 v49, v53
	v_cmp_le_i32_e64 s[16:17], v21, v52
	v_cmp_gt_i32_e32 vcc, v22, v53
                                        ; implicit-def: $vgpr50
	s_waitcnt lgkmcnt(0)
	v_cmp_lt_u16_sdwa s[18:19], v49, v48 src0_sel:BYTE_0 src1_sel:BYTE_0
	s_or_b64 s[16:17], s[16:17], s[18:19]
	s_and_b64 s[16:17], vcc, s[16:17]
	s_xor_b64 s[18:19], s[16:17], -1
	s_and_saveexec_b64 s[20:21], s[18:19]
	s_xor_b64 s[18:19], exec, s[20:21]
; %bb.199:                              ;   in Loop: Header=BB108_2 Depth=1
	ds_read_u8 v50, v52 offset:1
; %bb.200:                              ;   in Loop: Header=BB108_2 Depth=1
	s_or_saveexec_b64 s[18:19], s[18:19]
	v_mov_b32_e32 v51, v49
	s_xor_b64 exec, exec, s[18:19]
	s_cbranch_execz .LBB108_202
; %bb.201:                              ;   in Loop: Header=BB108_2 Depth=1
	ds_read_u8 v51, v53 offset:1
	s_waitcnt lgkmcnt(1)
	v_mov_b32_e32 v50, v48
.LBB108_202:                            ;   in Loop: Header=BB108_2 Depth=1
	s_or_b64 exec, exec, s[18:19]
	v_add_u32_e32 v55, 1, v52
	v_add_u32_e32 v54, 1, v53
	v_cndmask_b32_e64 v55, v55, v52, s[16:17]
	v_cndmask_b32_e64 v54, v53, v54, s[16:17]
	v_cmp_ge_i32_e64 s[18:19], v55, v21
	s_waitcnt lgkmcnt(0)
	v_cmp_lt_u16_sdwa s[20:21], v51, v50 src0_sel:BYTE_0 src1_sel:BYTE_0
	v_cmp_lt_i32_e32 vcc, v54, v22
	s_or_b64 s[18:19], s[18:19], s[20:21]
	s_and_b64 s[18:19], vcc, s[18:19]
	s_xor_b64 s[20:21], s[18:19], -1
                                        ; implicit-def: $vgpr52
	s_and_saveexec_b64 s[22:23], s[20:21]
	s_xor_b64 s[20:21], exec, s[22:23]
; %bb.203:                              ;   in Loop: Header=BB108_2 Depth=1
	ds_read_u8 v52, v55 offset:1
; %bb.204:                              ;   in Loop: Header=BB108_2 Depth=1
	s_or_saveexec_b64 s[20:21], s[20:21]
	v_mov_b32_e32 v53, v51
	s_xor_b64 exec, exec, s[20:21]
	s_cbranch_execz .LBB108_206
; %bb.205:                              ;   in Loop: Header=BB108_2 Depth=1
	ds_read_u8 v53, v54 offset:1
	s_waitcnt lgkmcnt(1)
	v_mov_b32_e32 v52, v50
.LBB108_206:                            ;   in Loop: Header=BB108_2 Depth=1
	s_or_b64 exec, exec, s[20:21]
	v_add_u32_e32 v57, 1, v55
	v_add_u32_e32 v56, 1, v54
	v_cndmask_b32_e64 v57, v57, v55, s[18:19]
	v_cndmask_b32_e64 v56, v54, v56, s[18:19]
	v_cmp_ge_i32_e64 s[20:21], v57, v21
	s_waitcnt lgkmcnt(0)
	v_cmp_lt_u16_sdwa s[22:23], v53, v52 src0_sel:BYTE_0 src1_sel:BYTE_0
	v_cmp_lt_i32_e32 vcc, v56, v22
	s_or_b64 s[20:21], s[20:21], s[22:23]
	s_and_b64 s[20:21], vcc, s[20:21]
	s_xor_b64 s[22:23], s[20:21], -1
                                        ; implicit-def: $vgpr54
	s_and_saveexec_b64 s[24:25], s[22:23]
	s_xor_b64 s[22:23], exec, s[24:25]
; %bb.207:                              ;   in Loop: Header=BB108_2 Depth=1
	ds_read_u8 v54, v57 offset:1
; %bb.208:                              ;   in Loop: Header=BB108_2 Depth=1
	s_or_saveexec_b64 s[22:23], s[22:23]
	v_mov_b32_e32 v55, v53
	s_xor_b64 exec, exec, s[22:23]
	s_cbranch_execz .LBB108_210
; %bb.209:                              ;   in Loop: Header=BB108_2 Depth=1
	ds_read_u8 v55, v56 offset:1
	s_waitcnt lgkmcnt(1)
	v_mov_b32_e32 v54, v52
.LBB108_210:                            ;   in Loop: Header=BB108_2 Depth=1
	s_or_b64 exec, exec, s[22:23]
	v_add_u32_e32 v59, 1, v57
	v_add_u32_e32 v58, 1, v56
	v_cndmask_b32_e64 v59, v59, v57, s[20:21]
	v_cndmask_b32_e64 v58, v56, v58, s[20:21]
	v_cmp_ge_i32_e64 s[22:23], v59, v21
	s_waitcnt lgkmcnt(0)
	v_cmp_lt_u16_sdwa s[24:25], v55, v54 src0_sel:BYTE_0 src1_sel:BYTE_0
	v_cmp_lt_i32_e32 vcc, v58, v22
	s_or_b64 s[22:23], s[22:23], s[24:25]
	s_and_b64 s[22:23], vcc, s[22:23]
	s_xor_b64 s[24:25], s[22:23], -1
                                        ; implicit-def: $vgpr56
	s_and_saveexec_b64 s[26:27], s[24:25]
	s_xor_b64 s[24:25], exec, s[26:27]
; %bb.211:                              ;   in Loop: Header=BB108_2 Depth=1
	ds_read_u8 v56, v59 offset:1
; %bb.212:                              ;   in Loop: Header=BB108_2 Depth=1
	s_or_saveexec_b64 s[24:25], s[24:25]
	v_mov_b32_e32 v57, v55
	s_xor_b64 exec, exec, s[24:25]
	s_cbranch_execz .LBB108_214
; %bb.213:                              ;   in Loop: Header=BB108_2 Depth=1
	ds_read_u8 v57, v58 offset:1
	s_waitcnt lgkmcnt(1)
	v_mov_b32_e32 v56, v54
.LBB108_214:                            ;   in Loop: Header=BB108_2 Depth=1
	s_or_b64 exec, exec, s[24:25]
	v_add_u32_e32 v61, 1, v59
	v_add_u32_e32 v60, 1, v58
	v_cndmask_b32_e64 v61, v61, v59, s[22:23]
	v_cndmask_b32_e64 v60, v58, v60, s[22:23]
	v_cmp_ge_i32_e64 s[24:25], v61, v21
	s_waitcnt lgkmcnt(0)
	v_cmp_lt_u16_sdwa s[26:27], v57, v56 src0_sel:BYTE_0 src1_sel:BYTE_0
	v_cmp_lt_i32_e32 vcc, v60, v22
	s_or_b64 s[24:25], s[24:25], s[26:27]
	s_and_b64 s[24:25], vcc, s[24:25]
	s_xor_b64 s[26:27], s[24:25], -1
                                        ; implicit-def: $vgpr58
	s_and_saveexec_b64 s[28:29], s[26:27]
	s_xor_b64 s[26:27], exec, s[28:29]
; %bb.215:                              ;   in Loop: Header=BB108_2 Depth=1
	ds_read_u8 v58, v61 offset:1
; %bb.216:                              ;   in Loop: Header=BB108_2 Depth=1
	s_or_saveexec_b64 s[26:27], s[26:27]
	v_mov_b32_e32 v59, v57
	s_xor_b64 exec, exec, s[26:27]
	s_cbranch_execz .LBB108_218
; %bb.217:                              ;   in Loop: Header=BB108_2 Depth=1
	ds_read_u8 v59, v60 offset:1
	s_waitcnt lgkmcnt(1)
	v_mov_b32_e32 v58, v56
.LBB108_218:                            ;   in Loop: Header=BB108_2 Depth=1
	s_or_b64 exec, exec, s[26:27]
	v_add_u32_e32 v63, 1, v61
	v_add_u32_e32 v62, 1, v60
	v_cndmask_b32_e64 v64, v63, v61, s[24:25]
	v_cndmask_b32_e64 v62, v60, v62, s[24:25]
	v_cmp_ge_i32_e64 s[26:27], v64, v21
	s_waitcnt lgkmcnt(0)
	v_cmp_lt_u16_sdwa s[28:29], v59, v58 src0_sel:BYTE_0 src1_sel:BYTE_0
	v_cmp_lt_i32_e32 vcc, v62, v22
	s_or_b64 s[26:27], s[26:27], s[28:29]
	s_and_b64 vcc, vcc, s[26:27]
	s_xor_b64 s[26:27], vcc, -1
                                        ; implicit-def: $vgpr60
	s_and_saveexec_b64 s[28:29], s[26:27]
	s_xor_b64 s[26:27], exec, s[28:29]
; %bb.219:                              ;   in Loop: Header=BB108_2 Depth=1
	ds_read_u8 v60, v64 offset:1
; %bb.220:                              ;   in Loop: Header=BB108_2 Depth=1
	s_or_saveexec_b64 s[26:27], s[26:27]
	v_mov_b32_e32 v61, v59
	s_xor_b64 exec, exec, s[26:27]
	s_cbranch_execz .LBB108_222
; %bb.221:                              ;   in Loop: Header=BB108_2 Depth=1
	ds_read_u8 v61, v62 offset:1
	s_waitcnt lgkmcnt(1)
	v_mov_b32_e32 v60, v58
.LBB108_222:                            ;   in Loop: Header=BB108_2 Depth=1
	s_or_b64 exec, exec, s[26:27]
	v_add_u32_e32 v65, 1, v64
	v_add_u32_e32 v63, 1, v62
	v_cndmask_b32_e32 v64, v65, v64, vcc
	v_cndmask_b32_e32 v63, v62, v63, vcc
	v_cmp_ge_i32_e64 s[28:29], v64, v21
	s_waitcnt lgkmcnt(0)
	v_cmp_lt_u16_sdwa s[44:45], v61, v60 src0_sel:BYTE_0 src1_sel:BYTE_0
	v_cmp_lt_i32_e64 s[26:27], v63, v22
	s_or_b64 s[28:29], s[28:29], s[44:45]
	s_and_b64 s[26:27], s[26:27], s[28:29]
	s_xor_b64 s[28:29], s[26:27], -1
                                        ; implicit-def: $vgpr62
	s_and_saveexec_b64 s[44:45], s[28:29]
	s_xor_b64 s[28:29], exec, s[44:45]
; %bb.223:                              ;   in Loop: Header=BB108_2 Depth=1
	ds_read_u8 v62, v64 offset:1
; %bb.224:                              ;   in Loop: Header=BB108_2 Depth=1
	s_or_saveexec_b64 s[28:29], s[28:29]
	v_mov_b32_e32 v65, v61
	s_xor_b64 exec, exec, s[28:29]
	s_cbranch_execz .LBB108_226
; %bb.225:                              ;   in Loop: Header=BB108_2 Depth=1
	ds_read_u8 v65, v63 offset:1
	s_waitcnt lgkmcnt(1)
	v_mov_b32_e32 v62, v60
.LBB108_226:                            ;   in Loop: Header=BB108_2 Depth=1
	s_or_b64 exec, exec, s[28:29]
	v_cndmask_b32_e64 v60, v60, v61, s[26:27]
	v_add_u32_e32 v61, 1, v63
	v_add_u32_e32 v66, 1, v64
	v_cndmask_b32_e64 v61, v63, v61, s[26:27]
	v_cndmask_b32_e64 v63, v66, v64, s[26:27]
	v_cndmask_b32_sdwa v58, v58, v59, vcc dst_sel:BYTE_1 dst_unused:UNUSED_PAD src0_sel:DWORD src1_sel:DWORD
	s_mov_b64 vcc, s[22:23]
	v_cndmask_b32_e64 v50, v50, v51, s[18:19]
	v_cndmask_b32_e64 v48, v48, v49, s[16:17]
	v_cmp_ge_i32_e64 s[16:17], v63, v21
	s_waitcnt lgkmcnt(0)
	v_cmp_lt_u16_sdwa s[18:19], v65, v62 src0_sel:BYTE_0 src1_sel:BYTE_0
	v_cndmask_b32_sdwa v54, v54, v55, vcc dst_sel:BYTE_1 dst_unused:UNUSED_PAD src0_sel:DWORD src1_sel:DWORD
	v_cmp_lt_i32_e32 vcc, v61, v22
	s_or_b64 s[16:17], s[16:17], s[18:19]
	s_and_b64 vcc, vcc, s[16:17]
	v_cndmask_b32_e64 v52, v52, v53, s[20:21]
	v_cndmask_b32_e32 v49, v62, v65, vcc
	v_lshlrev_b16_e32 v50, 8, v50
	v_cndmask_b32_e64 v56, v56, v57, s[24:25]
	v_or_b32_sdwa v48, v48, v50 dst_sel:DWORD dst_unused:UNUSED_PAD src0_sel:BYTE_0 src1_sel:DWORD
	v_or_b32_sdwa v50, v52, v54 dst_sel:WORD_1 dst_unused:UNUSED_PAD src0_sel:BYTE_0 src1_sel:DWORD
	v_lshlrev_b16_e32 v49, 8, v49
	v_or_b32_sdwa v48, v48, v50 dst_sel:DWORD dst_unused:UNUSED_PAD src0_sel:WORD_0 src1_sel:DWORD
	v_or_b32_sdwa v50, v56, v58 dst_sel:DWORD dst_unused:UNUSED_PAD src0_sel:BYTE_0 src1_sel:DWORD
	v_or_b32_sdwa v49, v60, v49 dst_sel:WORD_1 dst_unused:UNUSED_PAD src0_sel:BYTE_0 src1_sel:DWORD
	v_or_b32_sdwa v49, v50, v49 dst_sel:DWORD dst_unused:UNUSED_PAD src0_sel:WORD_0 src1_sel:DWORD
	v_mov_b32_e32 v52, v45
	s_barrier
	ds_write_b64 v1, v[48:49]
	s_waitcnt lgkmcnt(0)
	s_barrier
	s_and_saveexec_b64 s[16:17], s[14:15]
	s_cbranch_execz .LBB108_230
; %bb.227:                              ;   in Loop: Header=BB108_2 Depth=1
	s_mov_b64 s[18:19], 0
	v_mov_b32_e32 v52, v45
	v_mov_b32_e32 v48, v46
.LBB108_228:                            ;   Parent Loop BB108_2 Depth=1
                                        ; =>  This Inner Loop Header: Depth=2
	v_sub_u32_e32 v49, v48, v52
	v_lshrrev_b32_e32 v49, 1, v49
	v_add_u32_e32 v49, v49, v52
	v_xad_u32 v50, v49, -1, v47
	ds_read_u8 v51, v49
	ds_read_u8 v50, v50
	v_add_u32_e32 v53, 1, v49
	s_waitcnt lgkmcnt(0)
	v_cmp_lt_u16_e32 vcc, v50, v51
	v_cndmask_b32_e32 v48, v48, v49, vcc
	v_cndmask_b32_e32 v52, v53, v52, vcc
	v_cmp_ge_i32_e32 vcc, v52, v48
	s_or_b64 s[18:19], vcc, s[18:19]
	s_andn2_b64 exec, exec, s[18:19]
	s_cbranch_execnz .LBB108_228
; %bb.229:                              ;   in Loop: Header=BB108_2 Depth=1
	s_or_b64 exec, exec, s[18:19]
.LBB108_230:                            ;   in Loop: Header=BB108_2 Depth=1
	s_or_b64 exec, exec, s[16:17]
	v_sub_u32_e32 v53, v47, v52
	ds_read_u8 v48, v52
	ds_read_u8 v49, v53
	v_cmp_le_i32_e64 s[16:17], v44, v52
	v_cmp_gt_i32_e32 vcc, s42, v53
                                        ; implicit-def: $vgpr50
	s_waitcnt lgkmcnt(0)
	v_cmp_lt_u16_sdwa s[18:19], v49, v48 src0_sel:BYTE_0 src1_sel:BYTE_0
	s_or_b64 s[16:17], s[16:17], s[18:19]
	s_and_b64 vcc, vcc, s[16:17]
	s_xor_b64 s[16:17], vcc, -1
	s_and_saveexec_b64 s[18:19], s[16:17]
	s_xor_b64 s[16:17], exec, s[18:19]
; %bb.231:                              ;   in Loop: Header=BB108_2 Depth=1
	ds_read_u8 v50, v52 offset:1
; %bb.232:                              ;   in Loop: Header=BB108_2 Depth=1
	s_or_saveexec_b64 s[16:17], s[16:17]
	v_mov_b32_e32 v51, v49
	s_xor_b64 exec, exec, s[16:17]
	s_cbranch_execz .LBB108_234
; %bb.233:                              ;   in Loop: Header=BB108_2 Depth=1
	ds_read_u8 v51, v53 offset:1
	s_waitcnt lgkmcnt(1)
	v_mov_b32_e32 v50, v48
.LBB108_234:                            ;   in Loop: Header=BB108_2 Depth=1
	s_or_b64 exec, exec, s[16:17]
	v_add_u32_e32 v55, 1, v52
	v_add_u32_e32 v54, 1, v53
	v_cndmask_b32_e32 v55, v55, v52, vcc
	v_cndmask_b32_e32 v54, v53, v54, vcc
	v_cmp_ge_i32_e64 s[18:19], v55, v44
	s_waitcnt lgkmcnt(0)
	v_cmp_lt_u16_sdwa s[20:21], v51, v50 src0_sel:BYTE_0 src1_sel:BYTE_0
	v_cmp_gt_i32_e64 s[16:17], s42, v54
	s_or_b64 s[18:19], s[18:19], s[20:21]
	s_and_b64 s[16:17], s[16:17], s[18:19]
	s_xor_b64 s[18:19], s[16:17], -1
                                        ; implicit-def: $vgpr52
	s_and_saveexec_b64 s[20:21], s[18:19]
	s_xor_b64 s[18:19], exec, s[20:21]
; %bb.235:                              ;   in Loop: Header=BB108_2 Depth=1
	ds_read_u8 v52, v55 offset:1
; %bb.236:                              ;   in Loop: Header=BB108_2 Depth=1
	s_or_saveexec_b64 s[18:19], s[18:19]
	v_mov_b32_e32 v53, v51
	s_xor_b64 exec, exec, s[18:19]
	s_cbranch_execz .LBB108_238
; %bb.237:                              ;   in Loop: Header=BB108_2 Depth=1
	ds_read_u8 v53, v54 offset:1
	s_waitcnt lgkmcnt(1)
	v_mov_b32_e32 v52, v50
.LBB108_238:                            ;   in Loop: Header=BB108_2 Depth=1
	s_or_b64 exec, exec, s[18:19]
	v_add_u32_e32 v57, 1, v55
	v_add_u32_e32 v56, 1, v54
	v_cndmask_b32_e64 v57, v57, v55, s[16:17]
	v_cndmask_b32_e64 v56, v54, v56, s[16:17]
	v_cmp_ge_i32_e64 s[20:21], v57, v44
	s_waitcnt lgkmcnt(0)
	v_cmp_lt_u16_sdwa s[22:23], v53, v52 src0_sel:BYTE_0 src1_sel:BYTE_0
	v_cmp_gt_i32_e64 s[18:19], s42, v56
	s_or_b64 s[20:21], s[20:21], s[22:23]
	s_and_b64 s[18:19], s[18:19], s[20:21]
	s_xor_b64 s[20:21], s[18:19], -1
                                        ; implicit-def: $vgpr54
	s_and_saveexec_b64 s[22:23], s[20:21]
	s_xor_b64 s[20:21], exec, s[22:23]
; %bb.239:                              ;   in Loop: Header=BB108_2 Depth=1
	ds_read_u8 v54, v57 offset:1
; %bb.240:                              ;   in Loop: Header=BB108_2 Depth=1
	s_or_saveexec_b64 s[20:21], s[20:21]
	v_mov_b32_e32 v55, v53
	s_xor_b64 exec, exec, s[20:21]
	s_cbranch_execz .LBB108_242
; %bb.241:                              ;   in Loop: Header=BB108_2 Depth=1
	ds_read_u8 v55, v56 offset:1
	s_waitcnt lgkmcnt(1)
	v_mov_b32_e32 v54, v52
.LBB108_242:                            ;   in Loop: Header=BB108_2 Depth=1
	s_or_b64 exec, exec, s[20:21]
	v_add_u32_e32 v59, 1, v57
	v_add_u32_e32 v58, 1, v56
	v_cndmask_b32_e64 v59, v59, v57, s[18:19]
	v_cndmask_b32_e64 v58, v56, v58, s[18:19]
	v_cmp_ge_i32_e64 s[22:23], v59, v44
	s_waitcnt lgkmcnt(0)
	v_cmp_lt_u16_sdwa s[24:25], v55, v54 src0_sel:BYTE_0 src1_sel:BYTE_0
	v_cmp_gt_i32_e64 s[20:21], s42, v58
	s_or_b64 s[22:23], s[22:23], s[24:25]
	s_and_b64 s[20:21], s[20:21], s[22:23]
	s_xor_b64 s[22:23], s[20:21], -1
                                        ; implicit-def: $vgpr56
	s_and_saveexec_b64 s[24:25], s[22:23]
	s_xor_b64 s[22:23], exec, s[24:25]
; %bb.243:                              ;   in Loop: Header=BB108_2 Depth=1
	ds_read_u8 v56, v59 offset:1
; %bb.244:                              ;   in Loop: Header=BB108_2 Depth=1
	s_or_saveexec_b64 s[22:23], s[22:23]
	v_mov_b32_e32 v57, v55
	s_xor_b64 exec, exec, s[22:23]
	s_cbranch_execz .LBB108_246
; %bb.245:                              ;   in Loop: Header=BB108_2 Depth=1
	ds_read_u8 v57, v58 offset:1
	s_waitcnt lgkmcnt(1)
	v_mov_b32_e32 v56, v54
.LBB108_246:                            ;   in Loop: Header=BB108_2 Depth=1
	s_or_b64 exec, exec, s[22:23]
	v_add_u32_e32 v61, 1, v59
	v_add_u32_e32 v60, 1, v58
	v_cndmask_b32_e64 v61, v61, v59, s[20:21]
	v_cndmask_b32_e64 v60, v58, v60, s[20:21]
	v_cmp_ge_i32_e64 s[24:25], v61, v44
	s_waitcnt lgkmcnt(0)
	v_cmp_lt_u16_sdwa s[26:27], v57, v56 src0_sel:BYTE_0 src1_sel:BYTE_0
	v_cmp_gt_i32_e64 s[22:23], s42, v60
	s_or_b64 s[24:25], s[24:25], s[26:27]
	s_and_b64 s[22:23], s[22:23], s[24:25]
	s_xor_b64 s[24:25], s[22:23], -1
                                        ; implicit-def: $vgpr58
	s_and_saveexec_b64 s[26:27], s[24:25]
	s_xor_b64 s[24:25], exec, s[26:27]
; %bb.247:                              ;   in Loop: Header=BB108_2 Depth=1
	ds_read_u8 v58, v61 offset:1
; %bb.248:                              ;   in Loop: Header=BB108_2 Depth=1
	s_or_saveexec_b64 s[24:25], s[24:25]
	v_mov_b32_e32 v59, v57
	s_xor_b64 exec, exec, s[24:25]
	s_cbranch_execz .LBB108_250
; %bb.249:                              ;   in Loop: Header=BB108_2 Depth=1
	ds_read_u8 v59, v60 offset:1
	s_waitcnt lgkmcnt(1)
	v_mov_b32_e32 v58, v56
.LBB108_250:                            ;   in Loop: Header=BB108_2 Depth=1
	s_or_b64 exec, exec, s[24:25]
	v_add_u32_e32 v63, 1, v61
	v_add_u32_e32 v62, 1, v60
	v_cndmask_b32_e64 v63, v63, v61, s[22:23]
	v_cndmask_b32_e64 v62, v60, v62, s[22:23]
	v_cmp_ge_i32_e64 s[26:27], v63, v44
	s_waitcnt lgkmcnt(0)
	v_cmp_lt_u16_sdwa s[28:29], v59, v58 src0_sel:BYTE_0 src1_sel:BYTE_0
	v_cmp_gt_i32_e64 s[24:25], s42, v62
	s_or_b64 s[26:27], s[26:27], s[28:29]
	s_and_b64 s[24:25], s[24:25], s[26:27]
	s_xor_b64 s[26:27], s[24:25], -1
                                        ; implicit-def: $vgpr60
	s_and_saveexec_b64 s[28:29], s[26:27]
	s_xor_b64 s[26:27], exec, s[28:29]
; %bb.251:                              ;   in Loop: Header=BB108_2 Depth=1
	ds_read_u8 v60, v63 offset:1
; %bb.252:                              ;   in Loop: Header=BB108_2 Depth=1
	s_or_saveexec_b64 s[26:27], s[26:27]
	v_mov_b32_e32 v61, v59
	s_xor_b64 exec, exec, s[26:27]
	s_cbranch_execz .LBB108_254
; %bb.253:                              ;   in Loop: Header=BB108_2 Depth=1
	ds_read_u8 v61, v62 offset:1
	s_waitcnt lgkmcnt(1)
	v_mov_b32_e32 v60, v58
.LBB108_254:                            ;   in Loop: Header=BB108_2 Depth=1
	s_or_b64 exec, exec, s[26:27]
	v_add_u32_e32 v65, 1, v63
	v_add_u32_e32 v64, 1, v62
	v_cndmask_b32_e64 v65, v65, v63, s[24:25]
	v_cndmask_b32_e64 v62, v62, v64, s[24:25]
	v_cmp_ge_i32_e64 s[28:29], v65, v44
	s_waitcnt lgkmcnt(0)
	v_cmp_lt_u16_sdwa s[44:45], v61, v60 src0_sel:BYTE_0 src1_sel:BYTE_0
	v_cmp_gt_i32_e64 s[26:27], s42, v62
	s_or_b64 s[28:29], s[28:29], s[44:45]
	s_and_b64 s[26:27], s[26:27], s[28:29]
	s_xor_b64 s[28:29], s[26:27], -1
                                        ; implicit-def: $vgpr63
                                        ; implicit-def: $vgpr64
	s_and_saveexec_b64 s[44:45], s[28:29]
	s_xor_b64 s[28:29], exec, s[44:45]
; %bb.255:                              ;   in Loop: Header=BB108_2 Depth=1
	ds_read_u8 v63, v65 offset:1
	v_add_u32_e32 v64, 1, v65
                                        ; implicit-def: $vgpr65
; %bb.256:                              ;   in Loop: Header=BB108_2 Depth=1
	s_or_saveexec_b64 s[28:29], s[28:29]
	v_mov_b32_e32 v66, v61
	s_xor_b64 exec, exec, s[28:29]
	s_cbranch_execz .LBB108_1
; %bb.257:                              ;   in Loop: Header=BB108_2 Depth=1
	ds_read_u8 v66, v62 offset:1
	v_add_u32_e32 v62, 1, v62
	v_mov_b32_e32 v64, v65
	s_waitcnt lgkmcnt(1)
	v_mov_b32_e32 v63, v60
	s_branch .LBB108_1
.LBB108_258:
	s_add_u32 s0, s30, s33
	s_addc_u32 s1, s31, 0
	v_mov_b32_e32 v1, s1
	v_add_co_u32_e32 v0, vcc, s0, v0
	v_addc_co_u32_e32 v1, vcc, 0, v1, vcc
	global_store_byte v[0:1], v65, off
	global_store_byte v[0:1], v50, off offset:256
	global_store_byte v[0:1], v51, off offset:512
	;; [unrolled: 1-line block ×7, first 2 shown]
	s_endpgm
	.section	.rodata,"a",@progbits
	.p2align	6, 0x0
	.amdhsa_kernel _Z16sort_keys_kernelIhLj256ELj8EN10test_utils4lessELj10EEvPKT_PS2_T2_
		.amdhsa_group_segment_fixed_size 2049
		.amdhsa_private_segment_fixed_size 0
		.amdhsa_kernarg_size 20
		.amdhsa_user_sgpr_count 6
		.amdhsa_user_sgpr_private_segment_buffer 1
		.amdhsa_user_sgpr_dispatch_ptr 0
		.amdhsa_user_sgpr_queue_ptr 0
		.amdhsa_user_sgpr_kernarg_segment_ptr 1
		.amdhsa_user_sgpr_dispatch_id 0
		.amdhsa_user_sgpr_flat_scratch_init 0
		.amdhsa_user_sgpr_private_segment_size 0
		.amdhsa_uses_dynamic_stack 0
		.amdhsa_system_sgpr_private_segment_wavefront_offset 0
		.amdhsa_system_sgpr_workgroup_id_x 1
		.amdhsa_system_sgpr_workgroup_id_y 0
		.amdhsa_system_sgpr_workgroup_id_z 0
		.amdhsa_system_sgpr_workgroup_info 0
		.amdhsa_system_vgpr_workitem_id 0
		.amdhsa_next_free_vgpr 67
		.amdhsa_next_free_sgpr 46
		.amdhsa_reserve_vcc 1
		.amdhsa_reserve_flat_scratch 0
		.amdhsa_float_round_mode_32 0
		.amdhsa_float_round_mode_16_64 0
		.amdhsa_float_denorm_mode_32 3
		.amdhsa_float_denorm_mode_16_64 3
		.amdhsa_dx10_clamp 1
		.amdhsa_ieee_mode 1
		.amdhsa_fp16_overflow 0
		.amdhsa_exception_fp_ieee_invalid_op 0
		.amdhsa_exception_fp_denorm_src 0
		.amdhsa_exception_fp_ieee_div_zero 0
		.amdhsa_exception_fp_ieee_overflow 0
		.amdhsa_exception_fp_ieee_underflow 0
		.amdhsa_exception_fp_ieee_inexact 0
		.amdhsa_exception_int_div_zero 0
	.end_amdhsa_kernel
	.section	.text._Z16sort_keys_kernelIhLj256ELj8EN10test_utils4lessELj10EEvPKT_PS2_T2_,"axG",@progbits,_Z16sort_keys_kernelIhLj256ELj8EN10test_utils4lessELj10EEvPKT_PS2_T2_,comdat
.Lfunc_end108:
	.size	_Z16sort_keys_kernelIhLj256ELj8EN10test_utils4lessELj10EEvPKT_PS2_T2_, .Lfunc_end108-_Z16sort_keys_kernelIhLj256ELj8EN10test_utils4lessELj10EEvPKT_PS2_T2_
                                        ; -- End function
	.set _Z16sort_keys_kernelIhLj256ELj8EN10test_utils4lessELj10EEvPKT_PS2_T2_.num_vgpr, 67
	.set _Z16sort_keys_kernelIhLj256ELj8EN10test_utils4lessELj10EEvPKT_PS2_T2_.num_agpr, 0
	.set _Z16sort_keys_kernelIhLj256ELj8EN10test_utils4lessELj10EEvPKT_PS2_T2_.numbered_sgpr, 46
	.set _Z16sort_keys_kernelIhLj256ELj8EN10test_utils4lessELj10EEvPKT_PS2_T2_.num_named_barrier, 0
	.set _Z16sort_keys_kernelIhLj256ELj8EN10test_utils4lessELj10EEvPKT_PS2_T2_.private_seg_size, 0
	.set _Z16sort_keys_kernelIhLj256ELj8EN10test_utils4lessELj10EEvPKT_PS2_T2_.uses_vcc, 1
	.set _Z16sort_keys_kernelIhLj256ELj8EN10test_utils4lessELj10EEvPKT_PS2_T2_.uses_flat_scratch, 0
	.set _Z16sort_keys_kernelIhLj256ELj8EN10test_utils4lessELj10EEvPKT_PS2_T2_.has_dyn_sized_stack, 0
	.set _Z16sort_keys_kernelIhLj256ELj8EN10test_utils4lessELj10EEvPKT_PS2_T2_.has_recursion, 0
	.set _Z16sort_keys_kernelIhLj256ELj8EN10test_utils4lessELj10EEvPKT_PS2_T2_.has_indirect_call, 0
	.section	.AMDGPU.csdata,"",@progbits
; Kernel info:
; codeLenInByte = 10796
; TotalNumSgprs: 50
; NumVgprs: 67
; ScratchSize: 0
; MemoryBound: 0
; FloatMode: 240
; IeeeMode: 1
; LDSByteSize: 2049 bytes/workgroup (compile time only)
; SGPRBlocks: 6
; VGPRBlocks: 16
; NumSGPRsForWavesPerEU: 50
; NumVGPRsForWavesPerEU: 67
; Occupancy: 3
; WaveLimiterHint : 1
; COMPUTE_PGM_RSRC2:SCRATCH_EN: 0
; COMPUTE_PGM_RSRC2:USER_SGPR: 6
; COMPUTE_PGM_RSRC2:TRAP_HANDLER: 0
; COMPUTE_PGM_RSRC2:TGID_X_EN: 1
; COMPUTE_PGM_RSRC2:TGID_Y_EN: 0
; COMPUTE_PGM_RSRC2:TGID_Z_EN: 0
; COMPUTE_PGM_RSRC2:TIDIG_COMP_CNT: 0
	.section	.text._Z17sort_pairs_kernelIhLj256ELj8EN10test_utils4lessELj10EEvPKT_PS2_T2_,"axG",@progbits,_Z17sort_pairs_kernelIhLj256ELj8EN10test_utils4lessELj10EEvPKT_PS2_T2_,comdat
	.protected	_Z17sort_pairs_kernelIhLj256ELj8EN10test_utils4lessELj10EEvPKT_PS2_T2_ ; -- Begin function _Z17sort_pairs_kernelIhLj256ELj8EN10test_utils4lessELj10EEvPKT_PS2_T2_
	.globl	_Z17sort_pairs_kernelIhLj256ELj8EN10test_utils4lessELj10EEvPKT_PS2_T2_
	.p2align	8
	.type	_Z17sort_pairs_kernelIhLj256ELj8EN10test_utils4lessELj10EEvPKT_PS2_T2_,@function
_Z17sort_pairs_kernelIhLj256ELj8EN10test_utils4lessELj10EEvPKT_PS2_T2_: ; @_Z17sort_pairs_kernelIhLj256ELj8EN10test_utils4lessELj10EEvPKT_PS2_T2_
; %bb.0:
	s_load_dwordx4 s[0:3], s[4:5], 0x0
	s_lshl_b32 s4, s6, 11
                                        ; implicit-def: $vgpr88 : SGPR spill to VGPR lane
	v_lshlrev_b32_e32 v5, 3, v0
	v_writelane_b32 v88, s4, 0
	v_and_b32_e32 v6, 0x7f0, v5
	s_waitcnt lgkmcnt(0)
	s_add_u32 s0, s0, s4
	v_writelane_b32 v88, s0, 1
	v_writelane_b32 v88, s1, 2
	;; [unrolled: 1-line block ×4, first 2 shown]
	s_addc_u32 s1, s1, 0
	s_nop 0
	global_load_ubyte v1, v0, s[0:1]
	global_load_ubyte v2, v0, s[0:1] offset:512
	global_load_ubyte v3, v0, s[0:1] offset:1024
	global_load_ubyte v4, v0, s[0:1] offset:1536
	global_load_ubyte v30, v0, s[0:1] offset:1792
	global_load_ubyte v31, v0, s[0:1] offset:1280
	global_load_ubyte v32, v0, s[0:1] offset:768
	global_load_ubyte v33, v0, s[0:1] offset:256
	v_or_b32_e32 v13, 8, v6
	v_add_u32_e32 v14, 16, v6
	v_and_b32_e32 v29, 8, v5
	v_sub_u32_e32 v36, v14, v13
	v_and_b32_e32 v7, 0x7e0, v5
	v_sub_u32_e32 v28, v13, v6
	v_sub_u32_e32 v46, v29, v36
	v_cmp_ge_i32_e32 vcc, v29, v36
	s_mov_b32 s88, 0xc0c0004
	v_and_b32_e32 v8, 0x7c0, v5
	v_or_b32_e32 v15, 16, v7
	v_add_u32_e32 v16, 32, v7
	v_add_u32_e32 v27, v13, v29
	v_min_i32_e32 v28, v29, v28
	v_cndmask_b32_e32 v29, 0, v46, vcc
	s_movk_i32 s0, 0x100
	v_and_b32_e32 v34, 24, v5
	v_and_b32_e32 v9, 0x780, v5
	v_or_b32_e32 v17, 32, v8
	v_add_u32_e32 v18, 64, v8
	v_sub_u32_e32 v37, v16, v15
	v_and_b32_e32 v35, 56, v5
	v_and_b32_e32 v10, 0x700, v5
	v_or_b32_e32 v19, 64, v9
	v_add_u32_e32 v20, 0x80, v9
	v_sub_u32_e32 v39, v18, v17
	v_sub_u32_e32 v48, v34, v37
	v_cmp_ge_i32_e32 vcc, v34, v37
	v_and_b32_e32 v38, 0x78, v5
	v_and_b32_e32 v11, 0x600, v5
	v_or_b32_e32 v21, 0x80, v10
	v_add_u32_e32 v22, 0x100, v10
	v_sub_u32_e32 v40, v20, v19
	v_sub_u32_e32 v49, v35, v39
	v_and_b32_e32 v41, 0xf8, v5
	v_and_b32_e32 v12, 0x400, v5
	v_or_b32_e32 v23, 0x100, v11
	v_add_u32_e32 v24, 0x200, v11
	v_sub_u32_e32 v42, v22, v21
	v_sub_u32_e32 v50, v38, v40
	v_and_b32_e32 v44, 0x1f8, v5
	v_or_b32_e32 v25, 0x200, v12
	v_add_u32_e32 v26, 0x400, v12
	v_sub_u32_e32 v43, v24, v23
	v_sub_u32_e32 v51, v41, v42
	v_cmp_lt_i32_e64 s[2:3], v29, v28
	v_and_b32_e32 v47, 0x3f8, v5
	v_sub_u32_e32 v45, v26, v25
	v_sub_u32_e32 v52, v44, v43
	v_writelane_b32 v88, s2, 5
	v_sub_u32_e32 v53, v47, v45
	v_writelane_b32 v88, s3, 6
	v_sub_u32_e32 v37, v19, v9
	v_min_i32_e32 v37, v38, v37
	s_mov_b32 s89, 0
	s_movk_i32 s92, 0xff
	s_mov_b32 s93, 0x7060405
	s_mov_b32 s94, 0xc0c0001
	;; [unrolled: 1-line block ×6, first 2 shown]
	s_waitcnt vmcnt(7)
	v_add_u16_e32 v36, 1, v1
	s_waitcnt vmcnt(6)
	v_add_u16_e32 v46, 1, v2
	;; [unrolled: 2-line block ×4, first 2 shown]
	s_waitcnt vmcnt(3)
	v_lshlrev_b16_e32 v59, 8, v30
	s_waitcnt vmcnt(2)
	v_lshlrev_b16_e32 v58, 8, v31
	;; [unrolled: 2-line block ×4, first 2 shown]
	v_perm_b32 v1, v1, v33, s88
	v_perm_b32 v2, v2, v32, s88
	;; [unrolled: 1-line block ×4, first 2 shown]
	v_or_b32_sdwa v31, v56, v36 dst_sel:DWORD dst_unused:UNUSED_PAD src0_sel:DWORD src1_sel:BYTE_0
	v_or_b32_sdwa v32, v57, v46 dst_sel:DWORD dst_unused:UNUSED_PAD src0_sel:DWORD src1_sel:BYTE_0
	;; [unrolled: 1-line block ×4, first 2 shown]
	v_lshl_or_b32 v4, v2, 16, v1
	v_lshl_or_b32 v3, v30, 16, v3
	v_add_u16_e32 v1, 0x100, v31
	v_add_u16_sdwa v2, v32, s0 dst_sel:WORD_1 dst_unused:UNUSED_PAD src0_sel:DWORD src1_sel:DWORD
	v_add_u16_e32 v30, 0x100, v33
	v_add_u16_sdwa v31, v36, s0 dst_sel:WORD_1 dst_unused:UNUSED_PAD src0_sel:DWORD src1_sel:DWORD
	v_or_b32_e32 v1, v1, v2
	v_or_b32_e32 v2, v30, v31
	v_cndmask_b32_e32 v30, 0, v48, vcc
	v_cmp_ge_i32_e32 vcc, v35, v39
	v_cndmask_b32_e32 v33, 0, v49, vcc
	v_cmp_ge_i32_e32 vcc, v38, v40
	v_sub_u32_e32 v31, v15, v7
	v_cndmask_b32_e32 v36, 0, v50, vcc
	v_cmp_ge_i32_e32 vcc, v41, v42
	v_min_i32_e32 v31, v34, v31
	v_cndmask_b32_e32 v39, 0, v51, vcc
	v_cmp_ge_i32_e32 vcc, v44, v43
	v_cmp_lt_i32_e64 s[0:1], v30, v31
	v_add_u32_e32 v32, v15, v34
	v_sub_u32_e32 v34, v17, v8
	v_sub_u32_e32 v40, v21, v10
	v_cndmask_b32_e32 v42, 0, v52, vcc
	v_sub_u32_e32 v43, v23, v11
	v_cmp_ge_i32_e32 vcc, v47, v45
	v_sub_u32_e32 v46, v25, v12
	v_mov_b32_e32 v48, 0x400
	v_writelane_b32 v88, s0, 7
	v_min_i32_e32 v34, v35, v34
	v_min_i32_e32 v40, v41, v40
	;; [unrolled: 1-line block ×3, first 2 shown]
	v_cndmask_b32_e32 v45, 0, v53, vcc
	v_min_i32_e32 v46, v47, v46
	v_sub_u32_e64 v49, v5, v48 clamp
	v_min_i32_e32 v50, 0x400, v5
	v_writelane_b32 v88, s1, 8
	v_cmp_lt_i32_e64 s[4:5], v33, v34
	v_add_u32_e32 v35, v17, v35
	v_cmp_lt_i32_e64 s[6:7], v36, v37
	v_add_u32_e32 v38, v19, v38
	;; [unrolled: 2-line block ×5, first 2 shown]
	v_cmp_lt_i32_e64 s[14:15], v49, v50
	s_mov_b32 s0, 0xffff0000
	s_movk_i32 s1, 0x800
	v_add_u32_e32 v51, 0x400, v5
	s_branch .LBB109_2
.LBB109_1:                              ;   in Loop: Header=BB109_2 Depth=1
	s_or_b64 exec, exec, s[28:29]
	v_cndmask_b32_e32 v58, v58, v59, vcc
	v_cndmask_b32_e64 v59, v60, v61, s[16:17]
	v_cndmask_b32_e64 v62, v63, v62, s[16:17]
	v_cmp_ge_i32_e64 s[16:17], v84, v48
	s_waitcnt lgkmcnt(0)
	v_cmp_lt_u16_sdwa s[2:3], v87, v85 src0_sel:BYTE_0 src1_sel:BYTE_0
	v_cndmask_b32_e32 v57, v56, v57, vcc
	v_cmp_gt_i32_e32 vcc, s1, v82
	s_or_b64 s[2:3], s[16:17], s[2:3]
	s_and_b64 vcc, vcc, s[2:3]
	v_perm_b32 v53, v53, v54, s88
	v_perm_b32 v52, v55, v52, s88
	;; [unrolled: 1-line block ×4, first 2 shown]
	v_cndmask_b32_e64 v61, v68, v69, s[20:21]
	v_cndmask_b32_e64 v66, v67, v66, s[18:19]
	v_cndmask_b32_e32 v63, v84, v82, vcc
	v_lshl_or_b32 v53, v52, 16, v53
	v_lshl_or_b32 v52, v2, 16, v1
	v_cndmask_b32_e64 v60, v64, v65, s[18:19]
	v_cndmask_b32_e64 v64, v72, v73, s[22:23]
	;; [unrolled: 1-line block ×5, first 2 shown]
	s_barrier
	ds_write_b64 v5, v[52:53]
	s_waitcnt lgkmcnt(0)
	s_barrier
	ds_read_u8 v52, v57
	ds_read_u8 v53, v83
	;; [unrolled: 1-line block ×8, first 2 shown]
	v_lshlrev_b16_e32 v1, 8, v59
	v_lshlrev_b16_e32 v2, 8, v61
	v_cndmask_b32_e64 v65, v76, v77, s[24:25]
	v_cndmask_b32_e32 v56, v85, v87, vcc
	v_or_b32_sdwa v1, v58, v1 dst_sel:DWORD dst_unused:UNUSED_PAD src0_sel:BYTE_0 src1_sel:DWORD
	v_or_b32_sdwa v2, v60, v2 dst_sel:WORD_1 dst_unused:UNUSED_PAD src0_sel:BYTE_0 src1_sel:DWORD
	v_cndmask_b32_e64 v68, v80, v81, s[26:27]
	v_or_b32_sdwa v4, v1, v2 dst_sel:DWORD dst_unused:UNUSED_PAD src0_sel:WORD_0 src1_sel:DWORD
	v_lshlrev_b16_e32 v1, 8, v65
	v_lshlrev_b16_e32 v2, 8, v56
	v_or_b32_sdwa v1, v64, v1 dst_sel:DWORD dst_unused:UNUSED_PAD src0_sel:BYTE_0 src1_sel:DWORD
	v_or_b32_sdwa v2, v68, v2 dst_sel:WORD_1 dst_unused:UNUSED_PAD src0_sel:BYTE_0 src1_sel:DWORD
	v_or_b32_sdwa v3, v1, v2 dst_sel:DWORD dst_unused:UNUSED_PAD src0_sel:WORD_0 src1_sel:DWORD
	s_waitcnt lgkmcnt(4)
	v_perm_b32 v1, v52, v55, s88
	s_waitcnt lgkmcnt(2)
	v_perm_b32 v2, v57, v62, s88
	s_add_i32 s89, s89, 1
	v_lshl_or_b32 v1, v2, 16, v1
	s_waitcnt lgkmcnt(0)
	v_perm_b32 v2, v63, v66, s88
	v_perm_b32 v67, v53, v54, s88
	s_cmp_eq_u32 s89, 10
	v_lshl_or_b32 v2, v67, 16, v2
	s_cbranch_scc1 .LBB109_258
.LBB109_2:                              ; =>This Loop Header: Depth=1
                                        ;     Child Loop BB109_4 Depth 2
                                        ;     Child Loop BB109_36 Depth 2
	;; [unrolled: 1-line block ×8, first 2 shown]
	v_lshrrev_b32_e32 v53, 8, v4
	v_perm_b32 v52, v4, v4, s93
	v_cmp_lt_u16_sdwa s[16:17], v53, v4 src0_sel:BYTE_0 src1_sel:BYTE_0
	v_cndmask_b32_e64 v4, v4, v52, s[16:17]
	v_lshrrev_b32_e32 v52, 16, v4
	v_perm_b32 v53, 0, v52, s94
	v_lshlrev_b32_e32 v53, 16, v53
	v_and_or_b32 v53, v4, s95, v53
	v_cmp_lt_u16_sdwa s[18:19], v4, v52 src0_sel:BYTE_3 src1_sel:BYTE_0
	v_cndmask_b32_e64 v4, v4, v53, s[18:19]
	v_lshrrev_b32_e32 v53, 8, v3
	v_perm_b32 v52, v3, v3, s93
	v_cmp_lt_u16_sdwa s[20:21], v53, v3 src0_sel:BYTE_0 src1_sel:BYTE_0
	v_cndmask_b32_e64 v3, v3, v52, s[20:21]
	v_and_b32_sdwa v52, v3, s92 dst_sel:DWORD dst_unused:UNUSED_PAD src0_sel:WORD_1 src1_sel:DWORD
	v_perm_b32 v53, v3, v3, s33
	v_cmp_lt_u16_sdwa s[22:23], v3, v52 src0_sel:BYTE_3 src1_sel:DWORD
	v_cndmask_b32_e64 v3, v3, v53, s[22:23]
	v_and_b32_sdwa v52, v4, s92 dst_sel:DWORD dst_unused:UNUSED_PAD src0_sel:WORD_1 src1_sel:DWORD
	v_lshrrev_b32_e32 v53, 8, v4
	v_perm_b32 v54, v4, v4, s90
	v_cmp_lt_u16_sdwa s[24:25], v52, v53 src0_sel:DWORD src1_sel:BYTE_0
	v_cndmask_b32_e64 v4, v4, v54, s[24:25]
	v_and_b32_sdwa v53, v4, s92 dst_sel:DWORD dst_unused:UNUSED_PAD src0_sel:WORD_1 src1_sel:DWORD
	v_lshlrev_b16_e32 v54, 8, v3
	v_perm_b32 v52, v4, v3, s91
	v_or_b32_sdwa v53, v53, v54 dst_sel:WORD_1 dst_unused:UNUSED_PAD src0_sel:DWORD src1_sel:DWORD
	v_cmp_lt_u16_sdwa s[26:27], v3, v4 src0_sel:BYTE_0 src1_sel:BYTE_3
	v_and_or_b32 v53, v4, s95, v53
	v_cndmask_b32_e64 v3, v3, v52, s[26:27]
	v_cndmask_b32_e64 v4, v4, v53, s[26:27]
	v_and_b32_sdwa v52, v3, s92 dst_sel:DWORD dst_unused:UNUSED_PAD src0_sel:WORD_1 src1_sel:DWORD
	v_lshrrev_b32_e32 v53, 8, v3
	v_cmp_lt_u16_sdwa s[28:29], v52, v53 src0_sel:DWORD src1_sel:BYTE_0
	v_perm_b32 v52, 0, v4, s94
	v_lshrrev_b32_e32 v53, 8, v4
	v_and_or_b32 v52, v4, s0, v52
	v_cmp_lt_u16_sdwa s[30:31], v53, v4 src0_sel:BYTE_0 src1_sel:BYTE_0
	v_cndmask_b32_e64 v4, v4, v52, s[30:31]
	v_lshrrev_b32_e32 v52, 16, v4
	v_perm_b32 v53, 0, v52, s94
	v_perm_b32 v54, v3, v3, s90
	v_lshlrev_b32_e32 v53, 16, v53
	v_cndmask_b32_e64 v3, v3, v54, s[28:29]
	v_and_or_b32 v53, v4, s95, v53
	v_cmp_lt_u16_sdwa s[34:35], v4, v52 src0_sel:BYTE_3 src1_sel:BYTE_0
	v_cndmask_b32_e64 v4, v4, v53, s[34:35]
	v_lshrrev_b32_e32 v53, 8, v3
	v_perm_b32 v52, v3, v3, s93
	v_cmp_lt_u16_sdwa s[36:37], v53, v3 src0_sel:BYTE_0 src1_sel:BYTE_0
	v_cndmask_b32_e64 v3, v3, v52, s[36:37]
	v_and_b32_sdwa v52, v3, s92 dst_sel:DWORD dst_unused:UNUSED_PAD src0_sel:WORD_1 src1_sel:DWORD
	v_perm_b32 v53, v3, v3, s33
	v_cmp_lt_u16_sdwa s[38:39], v3, v52 src0_sel:BYTE_3 src1_sel:DWORD
	v_cndmask_b32_e64 v3, v3, v53, s[38:39]
	v_and_b32_sdwa v52, v4, s92 dst_sel:DWORD dst_unused:UNUSED_PAD src0_sel:WORD_1 src1_sel:DWORD
	v_lshrrev_b32_e32 v53, 8, v4
	v_perm_b32 v54, v4, v4, s90
	v_cmp_lt_u16_sdwa s[40:41], v52, v53 src0_sel:DWORD src1_sel:BYTE_0
	v_cndmask_b32_e64 v4, v4, v54, s[40:41]
	v_and_b32_sdwa v53, v4, s92 dst_sel:DWORD dst_unused:UNUSED_PAD src0_sel:WORD_1 src1_sel:DWORD
	v_lshlrev_b16_e32 v54, 8, v3
	v_perm_b32 v52, v4, v3, s91
	v_or_b32_sdwa v53, v53, v54 dst_sel:WORD_1 dst_unused:UNUSED_PAD src0_sel:DWORD src1_sel:DWORD
	v_cmp_lt_u16_sdwa s[42:43], v3, v4 src0_sel:BYTE_0 src1_sel:BYTE_3
	v_and_or_b32 v53, v4, s95, v53
	v_cndmask_b32_e64 v3, v3, v52, s[42:43]
	v_cndmask_b32_e64 v4, v4, v53, s[42:43]
	v_and_b32_sdwa v52, v3, s92 dst_sel:DWORD dst_unused:UNUSED_PAD src0_sel:WORD_1 src1_sel:DWORD
	v_lshrrev_b32_e32 v53, 8, v3
	v_cmp_lt_u16_sdwa s[44:45], v52, v53 src0_sel:DWORD src1_sel:BYTE_0
	v_perm_b32 v52, 0, v4, s94
	v_lshrrev_b32_e32 v53, 8, v4
	v_and_or_b32 v52, v4, s0, v52
	v_cmp_lt_u16_sdwa s[46:47], v53, v4 src0_sel:BYTE_0 src1_sel:BYTE_0
	v_cndmask_b32_e64 v4, v4, v52, s[46:47]
	v_lshrrev_b32_e32 v52, 16, v4
	v_perm_b32 v53, 0, v52, s94
	v_perm_b32 v54, v3, v3, s90
	v_lshlrev_b32_e32 v53, 16, v53
	v_cndmask_b32_e64 v3, v3, v54, s[44:45]
	;; [unrolled: 37-line block ×3, first 2 shown]
	v_and_or_b32 v53, v4, s95, v53
	v_cmp_lt_u16_sdwa s[62:63], v4, v52 src0_sel:BYTE_3 src1_sel:BYTE_0
	v_cndmask_b32_e64 v4, v4, v53, s[62:63]
	v_lshrrev_b32_e32 v53, 8, v3
	v_perm_b32 v52, v3, v3, s93
	v_cmp_lt_u16_sdwa s[64:65], v53, v3 src0_sel:BYTE_0 src1_sel:BYTE_0
	v_cndmask_b32_e64 v3, v3, v52, s[64:65]
	v_and_b32_sdwa v52, v3, s92 dst_sel:DWORD dst_unused:UNUSED_PAD src0_sel:WORD_1 src1_sel:DWORD
	v_perm_b32 v53, v3, v3, s33
	v_cmp_lt_u16_sdwa s[66:67], v3, v52 src0_sel:BYTE_3 src1_sel:DWORD
	v_cndmask_b32_e64 v52, v3, v53, s[66:67]
	v_and_b32_sdwa v3, v4, s92 dst_sel:DWORD dst_unused:UNUSED_PAD src0_sel:WORD_1 src1_sel:DWORD
	v_lshrrev_b32_e32 v53, 8, v4
	v_perm_b32 v54, v4, v4, s90
	v_cmp_lt_u16_sdwa s[68:69], v3, v53 src0_sel:DWORD src1_sel:BYTE_0
	v_cndmask_b32_e64 v3, v4, v54, s[68:69]
	v_and_b32_sdwa v53, v3, s92 dst_sel:DWORD dst_unused:UNUSED_PAD src0_sel:WORD_1 src1_sel:DWORD
	v_lshlrev_b16_e32 v54, 8, v52
	v_perm_b32 v4, v3, v52, s91
	v_or_b32_sdwa v53, v53, v54 dst_sel:WORD_1 dst_unused:UNUSED_PAD src0_sel:DWORD src1_sel:DWORD
	v_cmp_lt_u16_sdwa s[70:71], v52, v3 src0_sel:BYTE_0 src1_sel:BYTE_3
	v_and_or_b32 v53, v3, s95, v53
	v_cndmask_b32_e64 v4, v52, v4, s[70:71]
	v_cndmask_b32_e64 v3, v3, v53, s[70:71]
	v_and_b32_sdwa v52, v4, s92 dst_sel:DWORD dst_unused:UNUSED_PAD src0_sel:WORD_1 src1_sel:DWORD
	v_lshrrev_b32_e32 v53, 8, v4
	v_perm_b32 v54, v4, v4, s90
	v_cmp_lt_u16_sdwa s[72:73], v52, v53 src0_sel:DWORD src1_sel:BYTE_0
	v_readlane_b32 s2, v88, 5
	v_cndmask_b32_e64 v4, v4, v54, s[72:73]
	v_mov_b32_e32 v57, v29
	v_readlane_b32 s3, v88, 6
	s_barrier
	ds_write_b64 v5, v[3:4]
	s_waitcnt lgkmcnt(0)
	s_barrier
	s_and_saveexec_b64 s[74:75], s[2:3]
	s_cbranch_execz .LBB109_6
; %bb.3:                                ;   in Loop: Header=BB109_2 Depth=1
	s_mov_b64 s[76:77], 0
	v_mov_b32_e32 v57, v29
	v_mov_b32_e32 v3, v28
.LBB109_4:                              ;   Parent Loop BB109_2 Depth=1
                                        ; =>  This Inner Loop Header: Depth=2
	v_sub_u32_e32 v4, v3, v57
	v_lshrrev_b32_e32 v4, 1, v4
	v_add_u32_e32 v4, v4, v57
	v_add_u32_e32 v52, v6, v4
	v_xad_u32 v53, v4, -1, v27
	ds_read_u8 v52, v52
	ds_read_u8 v53, v53
	v_add_u32_e32 v54, 1, v4
	s_waitcnt lgkmcnt(0)
	v_cmp_lt_u16_e32 vcc, v53, v52
	v_cndmask_b32_e32 v3, v3, v4, vcc
	v_cndmask_b32_e32 v57, v54, v57, vcc
	v_cmp_ge_i32_e32 vcc, v57, v3
	s_or_b64 s[76:77], vcc, s[76:77]
	s_andn2_b64 exec, exec, s[76:77]
	s_cbranch_execnz .LBB109_4
; %bb.5:                                ;   in Loop: Header=BB109_2 Depth=1
	s_or_b64 exec, exec, s[76:77]
.LBB109_6:                              ;   in Loop: Header=BB109_2 Depth=1
	s_or_b64 exec, exec, s[74:75]
	v_add_u32_e32 v56, v57, v6
	v_sub_u32_e32 v57, v27, v57
	ds_read_u8 v58, v56
	ds_read_u8 v59, v57
	v_cmp_le_i32_e64 s[74:75], v13, v56
	v_cmp_gt_i32_e32 vcc, v14, v57
	v_lshrrev_b64 v[3:4], 24, v[1:2]
	v_lshrrev_b32_e32 v52, 8, v2
	s_waitcnt lgkmcnt(0)
	v_cmp_lt_u16_sdwa s[76:77], v59, v58 src0_sel:BYTE_0 src1_sel:BYTE_0
	s_or_b64 s[74:75], s[74:75], s[76:77]
	s_and_b64 s[74:75], vcc, s[74:75]
	v_lshrrev_b32_e32 v53, 16, v2
	v_lshrrev_b32_e32 v55, 24, v2
	;; [unrolled: 1-line block ×4, first 2 shown]
	s_xor_b64 s[76:77], s[74:75], -1
                                        ; implicit-def: $vgpr60
	s_and_saveexec_b64 s[78:79], s[76:77]
	s_xor_b64 s[76:77], exec, s[78:79]
; %bb.7:                                ;   in Loop: Header=BB109_2 Depth=1
	ds_read_u8 v60, v56 offset:1
; %bb.8:                                ;   in Loop: Header=BB109_2 Depth=1
	s_or_saveexec_b64 s[76:77], s[76:77]
	v_mov_b32_e32 v61, v59
	s_xor_b64 exec, exec, s[76:77]
	s_cbranch_execz .LBB109_10
; %bb.9:                                ;   in Loop: Header=BB109_2 Depth=1
	ds_read_u8 v61, v57 offset:1
	s_waitcnt lgkmcnt(1)
	v_mov_b32_e32 v60, v58
.LBB109_10:                             ;   in Loop: Header=BB109_2 Depth=1
	s_or_b64 exec, exec, s[76:77]
	v_add_u32_e32 v63, 1, v56
	v_add_u32_e32 v62, 1, v57
	v_cndmask_b32_e64 v63, v63, v56, s[74:75]
	v_cndmask_b32_e64 v62, v57, v62, s[74:75]
	v_cmp_ge_i32_e64 s[76:77], v63, v13
	s_waitcnt lgkmcnt(0)
	v_cmp_lt_u16_sdwa s[78:79], v61, v60 src0_sel:BYTE_0 src1_sel:BYTE_0
	v_cmp_lt_i32_e32 vcc, v62, v14
	s_or_b64 s[76:77], s[76:77], s[78:79]
	s_and_b64 s[76:77], vcc, s[76:77]
	s_xor_b64 s[78:79], s[76:77], -1
                                        ; implicit-def: $vgpr64
	s_and_saveexec_b64 s[80:81], s[78:79]
	s_xor_b64 s[78:79], exec, s[80:81]
; %bb.11:                               ;   in Loop: Header=BB109_2 Depth=1
	ds_read_u8 v64, v63 offset:1
; %bb.12:                               ;   in Loop: Header=BB109_2 Depth=1
	s_or_saveexec_b64 s[78:79], s[78:79]
	v_mov_b32_e32 v65, v61
	s_xor_b64 exec, exec, s[78:79]
	s_cbranch_execz .LBB109_14
; %bb.13:                               ;   in Loop: Header=BB109_2 Depth=1
	ds_read_u8 v65, v62 offset:1
	s_waitcnt lgkmcnt(1)
	v_mov_b32_e32 v64, v60
.LBB109_14:                             ;   in Loop: Header=BB109_2 Depth=1
	s_or_b64 exec, exec, s[78:79]
	v_add_u32_e32 v67, 1, v63
	v_add_u32_e32 v66, 1, v62
	v_cndmask_b32_e64 v67, v67, v63, s[76:77]
	v_cndmask_b32_e64 v66, v62, v66, s[76:77]
	v_cmp_ge_i32_e64 s[78:79], v67, v13
	s_waitcnt lgkmcnt(0)
	v_cmp_lt_u16_sdwa s[80:81], v65, v64 src0_sel:BYTE_0 src1_sel:BYTE_0
	v_cmp_lt_i32_e32 vcc, v66, v14
	s_or_b64 s[78:79], s[78:79], s[80:81]
	s_and_b64 s[78:79], vcc, s[78:79]
	s_xor_b64 s[80:81], s[78:79], -1
                                        ; implicit-def: $vgpr68
	s_and_saveexec_b64 s[82:83], s[80:81]
	s_xor_b64 s[80:81], exec, s[82:83]
; %bb.15:                               ;   in Loop: Header=BB109_2 Depth=1
	ds_read_u8 v68, v67 offset:1
; %bb.16:                               ;   in Loop: Header=BB109_2 Depth=1
	s_or_saveexec_b64 s[80:81], s[80:81]
	v_mov_b32_e32 v69, v65
	s_xor_b64 exec, exec, s[80:81]
	s_cbranch_execz .LBB109_18
; %bb.17:                               ;   in Loop: Header=BB109_2 Depth=1
	ds_read_u8 v69, v66 offset:1
	s_waitcnt lgkmcnt(1)
	v_mov_b32_e32 v68, v64
.LBB109_18:                             ;   in Loop: Header=BB109_2 Depth=1
	s_or_b64 exec, exec, s[80:81]
	v_add_u32_e32 v71, 1, v67
	v_add_u32_e32 v70, 1, v66
	v_cndmask_b32_e64 v71, v71, v67, s[78:79]
	v_cndmask_b32_e64 v70, v66, v70, s[78:79]
	v_cmp_ge_i32_e64 s[80:81], v71, v13
	s_waitcnt lgkmcnt(0)
	v_cmp_lt_u16_sdwa s[82:83], v69, v68 src0_sel:BYTE_0 src1_sel:BYTE_0
	v_cmp_lt_i32_e32 vcc, v70, v14
	s_or_b64 s[80:81], s[80:81], s[82:83]
	s_and_b64 s[80:81], vcc, s[80:81]
	s_xor_b64 s[82:83], s[80:81], -1
                                        ; implicit-def: $vgpr72
	s_and_saveexec_b64 s[84:85], s[82:83]
	s_xor_b64 s[82:83], exec, s[84:85]
; %bb.19:                               ;   in Loop: Header=BB109_2 Depth=1
	ds_read_u8 v72, v71 offset:1
; %bb.20:                               ;   in Loop: Header=BB109_2 Depth=1
	s_or_saveexec_b64 s[82:83], s[82:83]
	v_mov_b32_e32 v74, v69
	s_xor_b64 exec, exec, s[82:83]
	s_cbranch_execz .LBB109_22
; %bb.21:                               ;   in Loop: Header=BB109_2 Depth=1
	ds_read_u8 v74, v70 offset:1
	s_waitcnt lgkmcnt(1)
	v_mov_b32_e32 v72, v68
.LBB109_22:                             ;   in Loop: Header=BB109_2 Depth=1
	s_or_b64 exec, exec, s[82:83]
	v_add_u32_e32 v75, 1, v71
	v_add_u32_e32 v73, 1, v70
	v_cndmask_b32_e64 v77, v75, v71, s[80:81]
	v_cndmask_b32_e64 v76, v70, v73, s[80:81]
	v_cmp_ge_i32_e64 s[82:83], v77, v13
	s_waitcnt lgkmcnt(0)
	v_cmp_lt_u16_sdwa s[84:85], v74, v72 src0_sel:BYTE_0 src1_sel:BYTE_0
	v_cmp_lt_i32_e32 vcc, v76, v14
	s_or_b64 s[82:83], s[82:83], s[84:85]
	s_and_b64 s[82:83], vcc, s[82:83]
	s_xor_b64 s[84:85], s[82:83], -1
                                        ; implicit-def: $vgpr78
	s_and_saveexec_b64 s[86:87], s[84:85]
	s_xor_b64 s[84:85], exec, s[86:87]
; %bb.23:                               ;   in Loop: Header=BB109_2 Depth=1
	ds_read_u8 v78, v77 offset:1
; %bb.24:                               ;   in Loop: Header=BB109_2 Depth=1
	s_or_saveexec_b64 s[84:85], s[84:85]
	v_mov_b32_e32 v79, v74
	s_xor_b64 exec, exec, s[84:85]
	s_cbranch_execz .LBB109_26
; %bb.25:                               ;   in Loop: Header=BB109_2 Depth=1
	ds_read_u8 v79, v76 offset:1
	s_waitcnt lgkmcnt(1)
	v_mov_b32_e32 v78, v72
.LBB109_26:                             ;   in Loop: Header=BB109_2 Depth=1
	s_or_b64 exec, exec, s[84:85]
	v_add_u32_e32 v75, 1, v77
	v_add_u32_e32 v73, 1, v76
	v_cndmask_b32_e64 v81, v75, v77, s[82:83]
	v_cndmask_b32_e64 v80, v76, v73, s[82:83]
	v_cmp_ge_i32_e64 s[84:85], v81, v13
	s_waitcnt lgkmcnt(0)
	v_cmp_lt_u16_sdwa s[86:87], v79, v78 src0_sel:BYTE_0 src1_sel:BYTE_0
	v_cmp_lt_i32_e32 vcc, v80, v14
	s_or_b64 s[84:85], s[84:85], s[86:87]
	s_and_b64 vcc, vcc, s[84:85]
	s_xor_b64 s[84:85], vcc, -1
                                        ; implicit-def: $vgpr82
	s_and_saveexec_b64 s[86:87], s[84:85]
	s_xor_b64 s[84:85], exec, s[86:87]
; %bb.27:                               ;   in Loop: Header=BB109_2 Depth=1
	ds_read_u8 v82, v81 offset:1
; %bb.28:                               ;   in Loop: Header=BB109_2 Depth=1
	s_or_saveexec_b64 s[84:85], s[84:85]
	v_mov_b32_e32 v83, v79
	s_xor_b64 exec, exec, s[84:85]
	s_cbranch_execz .LBB109_30
; %bb.29:                               ;   in Loop: Header=BB109_2 Depth=1
	ds_read_u8 v83, v80 offset:1
	s_waitcnt lgkmcnt(1)
	v_mov_b32_e32 v82, v78
.LBB109_30:                             ;   in Loop: Header=BB109_2 Depth=1
	s_or_b64 exec, exec, s[84:85]
	v_add_u32_e32 v75, 1, v81
	v_add_u32_e32 v73, 1, v80
	v_cndmask_b32_e32 v85, v75, v81, vcc
	v_cndmask_b32_e32 v84, v80, v73, vcc
	v_cmp_ge_i32_e64 s[86:87], v85, v13
	s_waitcnt lgkmcnt(0)
	v_cmp_lt_u16_sdwa s[2:3], v83, v82 src0_sel:BYTE_0 src1_sel:BYTE_0
	v_cmp_lt_i32_e64 s[84:85], v84, v14
	s_or_b64 s[2:3], s[86:87], s[2:3]
	s_and_b64 s[84:85], s[84:85], s[2:3]
	s_xor_b64 s[2:3], s[84:85], -1
                                        ; implicit-def: $vgpr73
	s_and_saveexec_b64 s[86:87], s[2:3]
	s_xor_b64 s[86:87], exec, s[86:87]
; %bb.31:                               ;   in Loop: Header=BB109_2 Depth=1
	ds_read_u8 v73, v85 offset:1
; %bb.32:                               ;   in Loop: Header=BB109_2 Depth=1
	s_or_saveexec_b64 s[86:87], s[86:87]
	v_mov_b32_e32 v75, v83
	s_xor_b64 exec, exec, s[86:87]
	s_cbranch_execz .LBB109_34
; %bb.33:                               ;   in Loop: Header=BB109_2 Depth=1
	ds_read_u8 v75, v84 offset:1
	s_waitcnt lgkmcnt(1)
	v_mov_b32_e32 v73, v82
.LBB109_34:                             ;   in Loop: Header=BB109_2 Depth=1
	s_or_b64 exec, exec, s[86:87]
	v_perm_b32 v2, v2, v52, s88
	v_perm_b32 v52, v53, v55, s88
	v_lshl_or_b32 v2, v52, 16, v2
	v_perm_b32 v52, v4, v1, s88
	v_perm_b32 v1, v1, v4, s88
	;; [unrolled: 1-line block ×3, first 2 shown]
	v_cndmask_b32_e64 v1, v1, v52, s[16:17]
	v_lshl_or_b32 v1, v3, 16, v1
	v_perm_b32 v3, 0, v3, s94
	v_lshlrev_b32_e32 v3, 16, v3
	v_and_or_b32 v3, v1, s95, v3
	v_cndmask_b32_e64 v1, v1, v3, s[18:19]
	v_perm_b32 v3, v2, v2, s93
	v_cndmask_b32_e64 v2, v2, v3, s[20:21]
	v_perm_b32 v3, v2, v2, s33
	v_cndmask_b32_e64 v2, v2, v3, s[22:23]
	v_perm_b32 v3, v1, v1, s90
	v_cndmask_b32_e64 v1, v1, v3, s[24:25]
	v_and_b32_sdwa v4, v1, s92 dst_sel:DWORD dst_unused:UNUSED_PAD src0_sel:WORD_1 src1_sel:DWORD
	v_lshlrev_b16_e32 v52, 8, v2
	v_or_b32_sdwa v4, v4, v52 dst_sel:WORD_1 dst_unused:UNUSED_PAD src0_sel:DWORD src1_sel:DWORD
	v_and_or_b32 v4, v1, s95, v4
	v_perm_b32 v3, v1, v2, s91
	v_cndmask_b32_e64 v1, v1, v4, s[26:27]
	v_perm_b32 v4, 0, v1, s94
	v_cndmask_b32_e64 v2, v2, v3, s[26:27]
	v_and_or_b32 v4, v1, s0, v4
	v_perm_b32 v3, v2, v2, s90
	v_cndmask_b32_e64 v1, v1, v4, s[30:31]
	v_cndmask_b32_e64 v2, v2, v3, s[28:29]
	v_lshrrev_b32_e32 v3, 16, v1
	v_perm_b32 v3, 0, v3, s94
	v_lshlrev_b32_e32 v3, 16, v3
	v_and_or_b32 v3, v1, s95, v3
	v_cndmask_b32_e64 v1, v1, v3, s[34:35]
	v_perm_b32 v3, v2, v2, s93
	v_cndmask_b32_e64 v2, v2, v3, s[36:37]
	v_perm_b32 v3, v2, v2, s33
	v_cndmask_b32_e64 v2, v2, v3, s[38:39]
	v_perm_b32 v3, v1, v1, s90
	v_cndmask_b32_e64 v1, v1, v3, s[40:41]
	v_and_b32_sdwa v4, v1, s92 dst_sel:DWORD dst_unused:UNUSED_PAD src0_sel:WORD_1 src1_sel:DWORD
	v_lshlrev_b16_e32 v52, 8, v2
	v_or_b32_sdwa v4, v4, v52 dst_sel:WORD_1 dst_unused:UNUSED_PAD src0_sel:DWORD src1_sel:DWORD
	v_and_or_b32 v4, v1, s95, v4
	v_perm_b32 v3, v1, v2, s91
	v_cndmask_b32_e64 v1, v1, v4, s[42:43]
	v_perm_b32 v4, 0, v1, s94
	v_cndmask_b32_e64 v2, v2, v3, s[42:43]
	v_and_or_b32 v4, v1, s0, v4
	v_perm_b32 v3, v2, v2, s90
	v_cndmask_b32_e64 v1, v1, v4, s[46:47]
	v_cndmask_b32_e64 v2, v2, v3, s[44:45]
	v_lshrrev_b32_e32 v3, 16, v1
	;; [unrolled: 23-line block ×3, first 2 shown]
	v_perm_b32 v3, 0, v3, s94
	v_lshlrev_b32_e32 v3, 16, v3
	v_and_or_b32 v3, v1, s95, v3
	v_cndmask_b32_e64 v1, v1, v3, s[62:63]
	v_perm_b32 v3, v2, v2, s93
	v_cndmask_b32_e64 v2, v2, v3, s[64:65]
	v_perm_b32 v3, v2, v2, s33
	v_add_u32_e32 v86, 1, v85
	v_cndmask_b32_e64 v2, v2, v3, s[66:67]
	v_perm_b32 v3, v1, v1, s90
	v_cndmask_b32_e64 v82, v82, v83, s[84:85]
	v_add_u32_e32 v83, 1, v84
	v_cndmask_b32_e64 v86, v86, v85, s[84:85]
	v_cndmask_b32_e64 v1, v1, v3, s[68:69]
	;; [unrolled: 1-line block ×3, first 2 shown]
	v_perm_b32 v3, v1, v2, s91
	v_and_b32_sdwa v4, v1, s92 dst_sel:DWORD dst_unused:UNUSED_PAD src0_sel:WORD_1 src1_sel:DWORD
	v_lshlrev_b16_e32 v52, 8, v2
	v_cmp_ge_i32_e64 s[16:17], v86, v13
	s_waitcnt lgkmcnt(0)
	v_cmp_lt_u16_sdwa s[2:3], v75, v73 src0_sel:BYTE_0 src1_sel:BYTE_0
	v_cndmask_b32_sdwa v78, v78, v79, vcc dst_sel:BYTE_1 dst_unused:UNUSED_PAD src0_sel:DWORD src1_sel:DWORD
	v_cndmask_b32_e32 v79, v81, v80, vcc
	v_or_b32_sdwa v4, v4, v52 dst_sel:WORD_1 dst_unused:UNUSED_PAD src0_sel:DWORD src1_sel:DWORD
	v_cndmask_b32_e64 v2, v2, v3, s[70:71]
	v_cmp_lt_i32_e32 vcc, v83, v14
	s_or_b64 s[2:3], s[16:17], s[2:3]
	v_and_or_b32 v4, v1, s95, v4
	v_perm_b32 v3, v2, v2, s90
	s_and_b64 vcc, vcc, s[2:3]
	v_cndmask_b32_e64 v56, v56, v57, s[74:75]
	v_cndmask_b32_e64 v1, v1, v4, s[70:71]
	;; [unrolled: 1-line block ×3, first 2 shown]
	v_cndmask_b32_e32 v3, v86, v83, vcc
	v_cndmask_b32_e64 v84, v85, v84, s[84:85]
	v_cndmask_b32_e64 v72, v72, v74, s[82:83]
	;; [unrolled: 1-line block ×9, first 2 shown]
	s_barrier
	ds_write_b64 v5, v[1:2]
	s_waitcnt lgkmcnt(0)
	s_barrier
	ds_read_u8 v1, v56
	ds_read_u8 v52, v3
	;; [unrolled: 1-line block ×8, first 2 shown]
	v_cndmask_b32_e64 v58, v58, v59, s[74:75]
	v_lshlrev_b16_e32 v56, 8, v60
	v_cndmask_b32_e32 v57, v73, v75, vcc
	v_or_b32_sdwa v56, v58, v56 dst_sel:DWORD dst_unused:UNUSED_PAD src0_sel:BYTE_0 src1_sel:DWORD
	v_lshlrev_b16_e32 v58, 8, v68
	v_or_b32_sdwa v58, v64, v58 dst_sel:WORD_1 dst_unused:UNUSED_PAD src0_sel:BYTE_0 src1_sel:DWORD
	v_lshlrev_b16_e32 v57, 8, v57
	v_or_b32_sdwa v56, v56, v58 dst_sel:DWORD dst_unused:UNUSED_PAD src0_sel:WORD_0 src1_sel:DWORD
	v_or_b32_sdwa v58, v72, v78 dst_sel:DWORD dst_unused:UNUSED_PAD src0_sel:BYTE_0 src1_sel:DWORD
	v_or_b32_sdwa v57, v82, v57 dst_sel:WORD_1 dst_unused:UNUSED_PAD src0_sel:BYTE_0 src1_sel:DWORD
	v_or_b32_sdwa v57, v58, v57 dst_sel:DWORD dst_unused:UNUSED_PAD src0_sel:WORD_0 src1_sel:DWORD
	s_waitcnt lgkmcnt(0)
	s_barrier
	ds_write_b64 v5, v[56:57]
	v_mov_b32_e32 v57, v30
	s_waitcnt lgkmcnt(0)
	s_barrier
	s_mov_b64 s[16:17], exec
	v_readlane_b32 s2, v88, 7
	v_readlane_b32 s3, v88, 8
	s_and_b64 s[2:3], s[16:17], s[2:3]
	s_mov_b64 exec, s[2:3]
	s_cbranch_execz .LBB109_38
; %bb.35:                               ;   in Loop: Header=BB109_2 Depth=1
	s_mov_b64 s[18:19], 0
	v_mov_b32_e32 v57, v30
	v_mov_b32_e32 v56, v31
.LBB109_36:                             ;   Parent Loop BB109_2 Depth=1
                                        ; =>  This Inner Loop Header: Depth=2
	v_sub_u32_e32 v58, v56, v57
	v_lshrrev_b32_e32 v58, 1, v58
	v_add_u32_e32 v58, v58, v57
	v_add_u32_e32 v59, v7, v58
	v_xad_u32 v60, v58, -1, v32
	ds_read_u8 v59, v59
	ds_read_u8 v60, v60
	v_add_u32_e32 v61, 1, v58
	s_waitcnt lgkmcnt(0)
	v_cmp_lt_u16_e32 vcc, v60, v59
	v_cndmask_b32_e32 v56, v56, v58, vcc
	v_cndmask_b32_e32 v57, v61, v57, vcc
	v_cmp_ge_i32_e32 vcc, v57, v56
	s_or_b64 s[18:19], vcc, s[18:19]
	s_andn2_b64 exec, exec, s[18:19]
	s_cbranch_execnz .LBB109_36
; %bb.37:                               ;   in Loop: Header=BB109_2 Depth=1
	s_or_b64 exec, exec, s[18:19]
.LBB109_38:                             ;   in Loop: Header=BB109_2 Depth=1
	s_or_b64 exec, exec, s[16:17]
	v_add_u32_e32 v56, v57, v7
	v_sub_u32_e32 v57, v32, v57
	ds_read_u8 v58, v56
	ds_read_u8 v59, v57
	v_cmp_le_i32_e64 s[16:17], v15, v56
	v_cmp_gt_i32_e32 vcc, v16, v57
                                        ; implicit-def: $vgpr60
	s_waitcnt lgkmcnt(0)
	v_cmp_lt_u16_sdwa s[2:3], v59, v58 src0_sel:BYTE_0 src1_sel:BYTE_0
	s_or_b64 s[2:3], s[16:17], s[2:3]
	s_and_b64 s[16:17], vcc, s[2:3]
	s_xor_b64 s[2:3], s[16:17], -1
	s_and_saveexec_b64 s[18:19], s[2:3]
	s_xor_b64 s[18:19], exec, s[18:19]
; %bb.39:                               ;   in Loop: Header=BB109_2 Depth=1
	ds_read_u8 v60, v56 offset:1
; %bb.40:                               ;   in Loop: Header=BB109_2 Depth=1
	s_or_saveexec_b64 s[18:19], s[18:19]
	v_mov_b32_e32 v61, v59
	s_xor_b64 exec, exec, s[18:19]
	s_cbranch_execz .LBB109_42
; %bb.41:                               ;   in Loop: Header=BB109_2 Depth=1
	ds_read_u8 v61, v57 offset:1
	s_waitcnt lgkmcnt(1)
	v_mov_b32_e32 v60, v58
.LBB109_42:                             ;   in Loop: Header=BB109_2 Depth=1
	s_or_b64 exec, exec, s[18:19]
	v_add_u32_e32 v63, 1, v56
	v_add_u32_e32 v62, 1, v57
	v_cndmask_b32_e64 v63, v63, v56, s[16:17]
	v_cndmask_b32_e64 v62, v57, v62, s[16:17]
	v_cmp_ge_i32_e64 s[18:19], v63, v15
	s_waitcnt lgkmcnt(0)
	v_cmp_lt_u16_sdwa s[2:3], v61, v60 src0_sel:BYTE_0 src1_sel:BYTE_0
	v_cmp_lt_i32_e32 vcc, v62, v16
	s_or_b64 s[2:3], s[18:19], s[2:3]
	s_and_b64 s[18:19], vcc, s[2:3]
	s_xor_b64 s[2:3], s[18:19], -1
                                        ; implicit-def: $vgpr64
	s_and_saveexec_b64 s[20:21], s[2:3]
	s_xor_b64 s[20:21], exec, s[20:21]
; %bb.43:                               ;   in Loop: Header=BB109_2 Depth=1
	ds_read_u8 v64, v63 offset:1
; %bb.44:                               ;   in Loop: Header=BB109_2 Depth=1
	s_or_saveexec_b64 s[20:21], s[20:21]
	v_mov_b32_e32 v65, v61
	s_xor_b64 exec, exec, s[20:21]
	s_cbranch_execz .LBB109_46
; %bb.45:                               ;   in Loop: Header=BB109_2 Depth=1
	ds_read_u8 v65, v62 offset:1
	s_waitcnt lgkmcnt(1)
	v_mov_b32_e32 v64, v60
.LBB109_46:                             ;   in Loop: Header=BB109_2 Depth=1
	s_or_b64 exec, exec, s[20:21]
	v_add_u32_e32 v67, 1, v63
	v_add_u32_e32 v66, 1, v62
	v_cndmask_b32_e64 v67, v67, v63, s[18:19]
	v_cndmask_b32_e64 v66, v62, v66, s[18:19]
	v_cmp_ge_i32_e64 s[20:21], v67, v15
	s_waitcnt lgkmcnt(0)
	v_cmp_lt_u16_sdwa s[2:3], v65, v64 src0_sel:BYTE_0 src1_sel:BYTE_0
	v_cmp_lt_i32_e32 vcc, v66, v16
	s_or_b64 s[2:3], s[20:21], s[2:3]
	s_and_b64 s[20:21], vcc, s[2:3]
	s_xor_b64 s[2:3], s[20:21], -1
                                        ; implicit-def: $vgpr68
	s_and_saveexec_b64 s[22:23], s[2:3]
	s_xor_b64 s[22:23], exec, s[22:23]
; %bb.47:                               ;   in Loop: Header=BB109_2 Depth=1
	ds_read_u8 v68, v67 offset:1
; %bb.48:                               ;   in Loop: Header=BB109_2 Depth=1
	s_or_saveexec_b64 s[22:23], s[22:23]
	v_mov_b32_e32 v69, v65
	s_xor_b64 exec, exec, s[22:23]
	s_cbranch_execz .LBB109_50
; %bb.49:                               ;   in Loop: Header=BB109_2 Depth=1
	ds_read_u8 v69, v66 offset:1
	s_waitcnt lgkmcnt(1)
	v_mov_b32_e32 v68, v64
.LBB109_50:                             ;   in Loop: Header=BB109_2 Depth=1
	s_or_b64 exec, exec, s[22:23]
	v_add_u32_e32 v71, 1, v67
	v_add_u32_e32 v70, 1, v66
	v_cndmask_b32_e64 v71, v71, v67, s[20:21]
	v_cndmask_b32_e64 v70, v66, v70, s[20:21]
	v_cmp_ge_i32_e64 s[22:23], v71, v15
	s_waitcnt lgkmcnt(0)
	v_cmp_lt_u16_sdwa s[2:3], v69, v68 src0_sel:BYTE_0 src1_sel:BYTE_0
	v_cmp_lt_i32_e32 vcc, v70, v16
	s_or_b64 s[2:3], s[22:23], s[2:3]
	s_and_b64 s[22:23], vcc, s[2:3]
	s_xor_b64 s[2:3], s[22:23], -1
                                        ; implicit-def: $vgpr72
	s_and_saveexec_b64 s[24:25], s[2:3]
	s_xor_b64 s[24:25], exec, s[24:25]
; %bb.51:                               ;   in Loop: Header=BB109_2 Depth=1
	ds_read_u8 v72, v71 offset:1
; %bb.52:                               ;   in Loop: Header=BB109_2 Depth=1
	s_or_saveexec_b64 s[24:25], s[24:25]
	v_mov_b32_e32 v73, v69
	s_xor_b64 exec, exec, s[24:25]
	s_cbranch_execz .LBB109_54
; %bb.53:                               ;   in Loop: Header=BB109_2 Depth=1
	ds_read_u8 v73, v70 offset:1
	s_waitcnt lgkmcnt(1)
	v_mov_b32_e32 v72, v68
.LBB109_54:                             ;   in Loop: Header=BB109_2 Depth=1
	s_or_b64 exec, exec, s[24:25]
	v_add_u32_e32 v75, 1, v71
	v_add_u32_e32 v74, 1, v70
	v_cndmask_b32_e64 v75, v75, v71, s[22:23]
	v_cndmask_b32_e64 v74, v70, v74, s[22:23]
	v_cmp_ge_i32_e64 s[24:25], v75, v15
	s_waitcnt lgkmcnt(0)
	v_cmp_lt_u16_sdwa s[2:3], v73, v72 src0_sel:BYTE_0 src1_sel:BYTE_0
	v_cmp_lt_i32_e32 vcc, v74, v16
	s_or_b64 s[2:3], s[24:25], s[2:3]
	s_and_b64 s[24:25], vcc, s[2:3]
	s_xor_b64 s[2:3], s[24:25], -1
                                        ; implicit-def: $vgpr76
	s_and_saveexec_b64 s[26:27], s[2:3]
	s_xor_b64 s[26:27], exec, s[26:27]
; %bb.55:                               ;   in Loop: Header=BB109_2 Depth=1
	ds_read_u8 v76, v75 offset:1
; %bb.56:                               ;   in Loop: Header=BB109_2 Depth=1
	s_or_saveexec_b64 s[26:27], s[26:27]
	v_mov_b32_e32 v77, v73
	s_xor_b64 exec, exec, s[26:27]
	s_cbranch_execz .LBB109_58
; %bb.57:                               ;   in Loop: Header=BB109_2 Depth=1
	ds_read_u8 v77, v74 offset:1
	s_waitcnt lgkmcnt(1)
	v_mov_b32_e32 v76, v72
.LBB109_58:                             ;   in Loop: Header=BB109_2 Depth=1
	s_or_b64 exec, exec, s[26:27]
	v_add_u32_e32 v79, 1, v75
	v_add_u32_e32 v78, 1, v74
	v_cndmask_b32_e64 v79, v79, v75, s[24:25]
	v_cndmask_b32_e64 v78, v74, v78, s[24:25]
	v_cmp_ge_i32_e64 s[26:27], v79, v15
	s_waitcnt lgkmcnt(0)
	v_cmp_lt_u16_sdwa s[2:3], v77, v76 src0_sel:BYTE_0 src1_sel:BYTE_0
	v_cmp_lt_i32_e32 vcc, v78, v16
	s_or_b64 s[2:3], s[26:27], s[2:3]
	s_and_b64 vcc, vcc, s[2:3]
	s_xor_b64 s[2:3], vcc, -1
                                        ; implicit-def: $vgpr80
	s_and_saveexec_b64 s[26:27], s[2:3]
	s_xor_b64 s[26:27], exec, s[26:27]
; %bb.59:                               ;   in Loop: Header=BB109_2 Depth=1
	ds_read_u8 v80, v79 offset:1
; %bb.60:                               ;   in Loop: Header=BB109_2 Depth=1
	s_or_saveexec_b64 s[26:27], s[26:27]
	v_mov_b32_e32 v81, v77
	s_xor_b64 exec, exec, s[26:27]
	s_cbranch_execz .LBB109_62
; %bb.61:                               ;   in Loop: Header=BB109_2 Depth=1
	ds_read_u8 v81, v78 offset:1
	s_waitcnt lgkmcnt(1)
	v_mov_b32_e32 v80, v76
.LBB109_62:                             ;   in Loop: Header=BB109_2 Depth=1
	s_or_b64 exec, exec, s[26:27]
	v_add_u32_e32 v84, 1, v79
	v_add_u32_e32 v82, 1, v78
	v_cndmask_b32_e32 v84, v84, v79, vcc
	v_cndmask_b32_e32 v83, v78, v82, vcc
	v_cmp_ge_i32_e64 s[28:29], v84, v15
	s_waitcnt lgkmcnt(0)
	v_cmp_lt_u16_sdwa s[2:3], v81, v80 src0_sel:BYTE_0 src1_sel:BYTE_0
	v_cmp_lt_i32_e64 s[26:27], v83, v16
	s_or_b64 s[2:3], s[28:29], s[2:3]
	s_and_b64 s[26:27], s[26:27], s[2:3]
	s_xor_b64 s[2:3], s[26:27], -1
                                        ; implicit-def: $vgpr82
	s_and_saveexec_b64 s[28:29], s[2:3]
	s_xor_b64 s[28:29], exec, s[28:29]
; %bb.63:                               ;   in Loop: Header=BB109_2 Depth=1
	ds_read_u8 v82, v84 offset:1
; %bb.64:                               ;   in Loop: Header=BB109_2 Depth=1
	s_or_saveexec_b64 s[28:29], s[28:29]
	v_mov_b32_e32 v85, v81
	s_xor_b64 exec, exec, s[28:29]
	s_cbranch_execz .LBB109_66
; %bb.65:                               ;   in Loop: Header=BB109_2 Depth=1
	ds_read_u8 v85, v83 offset:1
	s_waitcnt lgkmcnt(1)
	v_mov_b32_e32 v82, v80
.LBB109_66:                             ;   in Loop: Header=BB109_2 Depth=1
	s_or_b64 exec, exec, s[28:29]
	v_add_u32_e32 v86, 1, v84
	v_cndmask_b32_e64 v80, v80, v81, s[26:27]
	v_add_u32_e32 v81, 1, v83
	v_cndmask_b32_e64 v86, v86, v84, s[26:27]
	v_cndmask_b32_e64 v81, v83, v81, s[26:27]
	;; [unrolled: 1-line block ×4, first 2 shown]
	v_cmp_ge_i32_e64 s[16:17], v86, v15
	s_waitcnt lgkmcnt(0)
	v_cmp_lt_u16_sdwa s[2:3], v85, v82 src0_sel:BYTE_0 src1_sel:BYTE_0
	v_cndmask_b32_sdwa v76, v76, v77, vcc dst_sel:BYTE_1 dst_unused:UNUSED_PAD src0_sel:DWORD src1_sel:DWORD
	v_cndmask_b32_e32 v77, v79, v78, vcc
	v_cmp_lt_i32_e32 vcc, v81, v16
	s_or_b64 s[2:3], s[16:17], s[2:3]
	v_perm_b32 v53, v53, v54, s88
	v_perm_b32 v52, v55, v52, s88
	;; [unrolled: 1-line block ×4, first 2 shown]
	s_and_b64 vcc, vcc, s[2:3]
	v_lshl_or_b32 v53, v52, 16, v53
	v_lshl_or_b32 v52, v2, 16, v1
	v_cndmask_b32_e64 v83, v84, v83, s[26:27]
	v_cndmask_b32_e64 v72, v72, v73, s[24:25]
	;; [unrolled: 1-line block ×9, first 2 shown]
	v_cndmask_b32_e32 v59, v86, v81, vcc
	s_barrier
	ds_write_b64 v5, v[52:53]
	s_waitcnt lgkmcnt(0)
	s_barrier
	ds_read_u8 v1, v56
	ds_read_u8 v52, v59
	;; [unrolled: 1-line block ×8, first 2 shown]
	v_lshlrev_b16_e32 v56, 8, v60
	v_cndmask_b32_e32 v57, v82, v85, vcc
	v_or_b32_sdwa v56, v58, v56 dst_sel:DWORD dst_unused:UNUSED_PAD src0_sel:BYTE_0 src1_sel:DWORD
	v_lshlrev_b16_e32 v58, 8, v68
	v_or_b32_sdwa v58, v64, v58 dst_sel:WORD_1 dst_unused:UNUSED_PAD src0_sel:BYTE_0 src1_sel:DWORD
	v_lshlrev_b16_e32 v57, 8, v57
	v_or_b32_sdwa v56, v56, v58 dst_sel:DWORD dst_unused:UNUSED_PAD src0_sel:WORD_0 src1_sel:DWORD
	v_or_b32_sdwa v58, v72, v76 dst_sel:DWORD dst_unused:UNUSED_PAD src0_sel:BYTE_0 src1_sel:DWORD
	v_or_b32_sdwa v57, v80, v57 dst_sel:WORD_1 dst_unused:UNUSED_PAD src0_sel:BYTE_0 src1_sel:DWORD
	v_or_b32_sdwa v57, v58, v57 dst_sel:DWORD dst_unused:UNUSED_PAD src0_sel:WORD_0 src1_sel:DWORD
	s_waitcnt lgkmcnt(0)
	s_barrier
	ds_write_b64 v5, v[56:57]
	v_mov_b32_e32 v57, v33
	s_waitcnt lgkmcnt(0)
	s_barrier
	s_and_saveexec_b64 s[16:17], s[4:5]
	s_cbranch_execz .LBB109_70
; %bb.67:                               ;   in Loop: Header=BB109_2 Depth=1
	s_mov_b64 s[18:19], 0
	v_mov_b32_e32 v57, v33
	v_mov_b32_e32 v56, v34
.LBB109_68:                             ;   Parent Loop BB109_2 Depth=1
                                        ; =>  This Inner Loop Header: Depth=2
	v_sub_u32_e32 v58, v56, v57
	v_lshrrev_b32_e32 v58, 1, v58
	v_add_u32_e32 v58, v58, v57
	v_add_u32_e32 v59, v8, v58
	v_xad_u32 v60, v58, -1, v35
	ds_read_u8 v59, v59
	ds_read_u8 v60, v60
	v_add_u32_e32 v61, 1, v58
	s_waitcnt lgkmcnt(0)
	v_cmp_lt_u16_e32 vcc, v60, v59
	v_cndmask_b32_e32 v56, v56, v58, vcc
	v_cndmask_b32_e32 v57, v61, v57, vcc
	v_cmp_ge_i32_e32 vcc, v57, v56
	s_or_b64 s[18:19], vcc, s[18:19]
	s_andn2_b64 exec, exec, s[18:19]
	s_cbranch_execnz .LBB109_68
; %bb.69:                               ;   in Loop: Header=BB109_2 Depth=1
	s_or_b64 exec, exec, s[18:19]
.LBB109_70:                             ;   in Loop: Header=BB109_2 Depth=1
	s_or_b64 exec, exec, s[16:17]
	v_add_u32_e32 v56, v57, v8
	v_sub_u32_e32 v57, v35, v57
	ds_read_u8 v58, v56
	ds_read_u8 v59, v57
	v_cmp_le_i32_e64 s[16:17], v17, v56
	v_cmp_gt_i32_e32 vcc, v18, v57
                                        ; implicit-def: $vgpr60
	s_waitcnt lgkmcnt(0)
	v_cmp_lt_u16_sdwa s[2:3], v59, v58 src0_sel:BYTE_0 src1_sel:BYTE_0
	s_or_b64 s[2:3], s[16:17], s[2:3]
	s_and_b64 s[16:17], vcc, s[2:3]
	s_xor_b64 s[2:3], s[16:17], -1
	s_and_saveexec_b64 s[18:19], s[2:3]
	s_xor_b64 s[18:19], exec, s[18:19]
; %bb.71:                               ;   in Loop: Header=BB109_2 Depth=1
	ds_read_u8 v60, v56 offset:1
; %bb.72:                               ;   in Loop: Header=BB109_2 Depth=1
	s_or_saveexec_b64 s[18:19], s[18:19]
	v_mov_b32_e32 v61, v59
	s_xor_b64 exec, exec, s[18:19]
	s_cbranch_execz .LBB109_74
; %bb.73:                               ;   in Loop: Header=BB109_2 Depth=1
	ds_read_u8 v61, v57 offset:1
	s_waitcnt lgkmcnt(1)
	v_mov_b32_e32 v60, v58
.LBB109_74:                             ;   in Loop: Header=BB109_2 Depth=1
	s_or_b64 exec, exec, s[18:19]
	v_add_u32_e32 v63, 1, v56
	v_add_u32_e32 v62, 1, v57
	v_cndmask_b32_e64 v63, v63, v56, s[16:17]
	v_cndmask_b32_e64 v62, v57, v62, s[16:17]
	v_cmp_ge_i32_e64 s[18:19], v63, v17
	s_waitcnt lgkmcnt(0)
	v_cmp_lt_u16_sdwa s[2:3], v61, v60 src0_sel:BYTE_0 src1_sel:BYTE_0
	v_cmp_lt_i32_e32 vcc, v62, v18
	s_or_b64 s[2:3], s[18:19], s[2:3]
	s_and_b64 s[18:19], vcc, s[2:3]
	s_xor_b64 s[2:3], s[18:19], -1
                                        ; implicit-def: $vgpr64
	s_and_saveexec_b64 s[20:21], s[2:3]
	s_xor_b64 s[20:21], exec, s[20:21]
; %bb.75:                               ;   in Loop: Header=BB109_2 Depth=1
	ds_read_u8 v64, v63 offset:1
; %bb.76:                               ;   in Loop: Header=BB109_2 Depth=1
	s_or_saveexec_b64 s[20:21], s[20:21]
	v_mov_b32_e32 v65, v61
	s_xor_b64 exec, exec, s[20:21]
	s_cbranch_execz .LBB109_78
; %bb.77:                               ;   in Loop: Header=BB109_2 Depth=1
	ds_read_u8 v65, v62 offset:1
	s_waitcnt lgkmcnt(1)
	v_mov_b32_e32 v64, v60
.LBB109_78:                             ;   in Loop: Header=BB109_2 Depth=1
	s_or_b64 exec, exec, s[20:21]
	v_add_u32_e32 v67, 1, v63
	v_add_u32_e32 v66, 1, v62
	v_cndmask_b32_e64 v67, v67, v63, s[18:19]
	v_cndmask_b32_e64 v66, v62, v66, s[18:19]
	v_cmp_ge_i32_e64 s[20:21], v67, v17
	s_waitcnt lgkmcnt(0)
	v_cmp_lt_u16_sdwa s[2:3], v65, v64 src0_sel:BYTE_0 src1_sel:BYTE_0
	v_cmp_lt_i32_e32 vcc, v66, v18
	s_or_b64 s[2:3], s[20:21], s[2:3]
	s_and_b64 s[20:21], vcc, s[2:3]
	s_xor_b64 s[2:3], s[20:21], -1
                                        ; implicit-def: $vgpr68
	s_and_saveexec_b64 s[22:23], s[2:3]
	s_xor_b64 s[22:23], exec, s[22:23]
; %bb.79:                               ;   in Loop: Header=BB109_2 Depth=1
	ds_read_u8 v68, v67 offset:1
; %bb.80:                               ;   in Loop: Header=BB109_2 Depth=1
	s_or_saveexec_b64 s[22:23], s[22:23]
	v_mov_b32_e32 v69, v65
	s_xor_b64 exec, exec, s[22:23]
	s_cbranch_execz .LBB109_82
; %bb.81:                               ;   in Loop: Header=BB109_2 Depth=1
	ds_read_u8 v69, v66 offset:1
	s_waitcnt lgkmcnt(1)
	v_mov_b32_e32 v68, v64
.LBB109_82:                             ;   in Loop: Header=BB109_2 Depth=1
	s_or_b64 exec, exec, s[22:23]
	v_add_u32_e32 v71, 1, v67
	v_add_u32_e32 v70, 1, v66
	v_cndmask_b32_e64 v71, v71, v67, s[20:21]
	v_cndmask_b32_e64 v70, v66, v70, s[20:21]
	v_cmp_ge_i32_e64 s[22:23], v71, v17
	s_waitcnt lgkmcnt(0)
	v_cmp_lt_u16_sdwa s[2:3], v69, v68 src0_sel:BYTE_0 src1_sel:BYTE_0
	v_cmp_lt_i32_e32 vcc, v70, v18
	s_or_b64 s[2:3], s[22:23], s[2:3]
	s_and_b64 s[22:23], vcc, s[2:3]
	s_xor_b64 s[2:3], s[22:23], -1
                                        ; implicit-def: $vgpr72
	s_and_saveexec_b64 s[24:25], s[2:3]
	s_xor_b64 s[24:25], exec, s[24:25]
; %bb.83:                               ;   in Loop: Header=BB109_2 Depth=1
	ds_read_u8 v72, v71 offset:1
; %bb.84:                               ;   in Loop: Header=BB109_2 Depth=1
	s_or_saveexec_b64 s[24:25], s[24:25]
	v_mov_b32_e32 v73, v69
	s_xor_b64 exec, exec, s[24:25]
	s_cbranch_execz .LBB109_86
; %bb.85:                               ;   in Loop: Header=BB109_2 Depth=1
	ds_read_u8 v73, v70 offset:1
	s_waitcnt lgkmcnt(1)
	v_mov_b32_e32 v72, v68
.LBB109_86:                             ;   in Loop: Header=BB109_2 Depth=1
	s_or_b64 exec, exec, s[24:25]
	v_add_u32_e32 v75, 1, v71
	v_add_u32_e32 v74, 1, v70
	v_cndmask_b32_e64 v75, v75, v71, s[22:23]
	v_cndmask_b32_e64 v74, v70, v74, s[22:23]
	v_cmp_ge_i32_e64 s[24:25], v75, v17
	s_waitcnt lgkmcnt(0)
	v_cmp_lt_u16_sdwa s[2:3], v73, v72 src0_sel:BYTE_0 src1_sel:BYTE_0
	v_cmp_lt_i32_e32 vcc, v74, v18
	s_or_b64 s[2:3], s[24:25], s[2:3]
	s_and_b64 s[24:25], vcc, s[2:3]
	s_xor_b64 s[2:3], s[24:25], -1
                                        ; implicit-def: $vgpr76
	s_and_saveexec_b64 s[26:27], s[2:3]
	s_xor_b64 s[26:27], exec, s[26:27]
; %bb.87:                               ;   in Loop: Header=BB109_2 Depth=1
	ds_read_u8 v76, v75 offset:1
; %bb.88:                               ;   in Loop: Header=BB109_2 Depth=1
	s_or_saveexec_b64 s[26:27], s[26:27]
	v_mov_b32_e32 v77, v73
	s_xor_b64 exec, exec, s[26:27]
	s_cbranch_execz .LBB109_90
; %bb.89:                               ;   in Loop: Header=BB109_2 Depth=1
	ds_read_u8 v77, v74 offset:1
	s_waitcnt lgkmcnt(1)
	v_mov_b32_e32 v76, v72
.LBB109_90:                             ;   in Loop: Header=BB109_2 Depth=1
	s_or_b64 exec, exec, s[26:27]
	v_add_u32_e32 v79, 1, v75
	v_add_u32_e32 v78, 1, v74
	v_cndmask_b32_e64 v79, v79, v75, s[24:25]
	v_cndmask_b32_e64 v78, v74, v78, s[24:25]
	v_cmp_ge_i32_e64 s[26:27], v79, v17
	s_waitcnt lgkmcnt(0)
	v_cmp_lt_u16_sdwa s[2:3], v77, v76 src0_sel:BYTE_0 src1_sel:BYTE_0
	v_cmp_lt_i32_e32 vcc, v78, v18
	s_or_b64 s[2:3], s[26:27], s[2:3]
	s_and_b64 vcc, vcc, s[2:3]
	s_xor_b64 s[2:3], vcc, -1
                                        ; implicit-def: $vgpr80
	s_and_saveexec_b64 s[26:27], s[2:3]
	s_xor_b64 s[26:27], exec, s[26:27]
; %bb.91:                               ;   in Loop: Header=BB109_2 Depth=1
	ds_read_u8 v80, v79 offset:1
; %bb.92:                               ;   in Loop: Header=BB109_2 Depth=1
	s_or_saveexec_b64 s[26:27], s[26:27]
	v_mov_b32_e32 v81, v77
	s_xor_b64 exec, exec, s[26:27]
	s_cbranch_execz .LBB109_94
; %bb.93:                               ;   in Loop: Header=BB109_2 Depth=1
	ds_read_u8 v81, v78 offset:1
	s_waitcnt lgkmcnt(1)
	v_mov_b32_e32 v80, v76
.LBB109_94:                             ;   in Loop: Header=BB109_2 Depth=1
	s_or_b64 exec, exec, s[26:27]
	v_add_u32_e32 v84, 1, v79
	v_add_u32_e32 v82, 1, v78
	v_cndmask_b32_e32 v84, v84, v79, vcc
	v_cndmask_b32_e32 v83, v78, v82, vcc
	v_cmp_ge_i32_e64 s[28:29], v84, v17
	s_waitcnt lgkmcnt(0)
	v_cmp_lt_u16_sdwa s[2:3], v81, v80 src0_sel:BYTE_0 src1_sel:BYTE_0
	v_cmp_lt_i32_e64 s[26:27], v83, v18
	s_or_b64 s[2:3], s[28:29], s[2:3]
	s_and_b64 s[26:27], s[26:27], s[2:3]
	s_xor_b64 s[2:3], s[26:27], -1
                                        ; implicit-def: $vgpr82
	s_and_saveexec_b64 s[28:29], s[2:3]
	s_xor_b64 s[28:29], exec, s[28:29]
; %bb.95:                               ;   in Loop: Header=BB109_2 Depth=1
	ds_read_u8 v82, v84 offset:1
; %bb.96:                               ;   in Loop: Header=BB109_2 Depth=1
	s_or_saveexec_b64 s[28:29], s[28:29]
	v_mov_b32_e32 v85, v81
	s_xor_b64 exec, exec, s[28:29]
	s_cbranch_execz .LBB109_98
; %bb.97:                               ;   in Loop: Header=BB109_2 Depth=1
	ds_read_u8 v85, v83 offset:1
	s_waitcnt lgkmcnt(1)
	v_mov_b32_e32 v82, v80
.LBB109_98:                             ;   in Loop: Header=BB109_2 Depth=1
	s_or_b64 exec, exec, s[28:29]
	v_add_u32_e32 v86, 1, v84
	v_cndmask_b32_e64 v80, v80, v81, s[26:27]
	v_add_u32_e32 v81, 1, v83
	v_cndmask_b32_e64 v86, v86, v84, s[26:27]
	v_cndmask_b32_e64 v81, v83, v81, s[26:27]
	;; [unrolled: 1-line block ×4, first 2 shown]
	v_cmp_ge_i32_e64 s[16:17], v86, v17
	s_waitcnt lgkmcnt(0)
	v_cmp_lt_u16_sdwa s[2:3], v85, v82 src0_sel:BYTE_0 src1_sel:BYTE_0
	v_cndmask_b32_sdwa v76, v76, v77, vcc dst_sel:BYTE_1 dst_unused:UNUSED_PAD src0_sel:DWORD src1_sel:DWORD
	v_cndmask_b32_e32 v77, v79, v78, vcc
	v_cmp_lt_i32_e32 vcc, v81, v18
	s_or_b64 s[2:3], s[16:17], s[2:3]
	v_perm_b32 v53, v53, v54, s88
	v_perm_b32 v52, v55, v52, s88
	;; [unrolled: 1-line block ×4, first 2 shown]
	s_and_b64 vcc, vcc, s[2:3]
	v_lshl_or_b32 v53, v52, 16, v53
	v_lshl_or_b32 v52, v2, 16, v1
	v_cndmask_b32_e64 v83, v84, v83, s[26:27]
	v_cndmask_b32_e64 v72, v72, v73, s[24:25]
	;; [unrolled: 1-line block ×9, first 2 shown]
	v_cndmask_b32_e32 v59, v86, v81, vcc
	s_barrier
	ds_write_b64 v5, v[52:53]
	s_waitcnt lgkmcnt(0)
	s_barrier
	ds_read_u8 v1, v56
	ds_read_u8 v52, v59
	;; [unrolled: 1-line block ×8, first 2 shown]
	v_lshlrev_b16_e32 v56, 8, v60
	v_cndmask_b32_e32 v57, v82, v85, vcc
	v_or_b32_sdwa v56, v58, v56 dst_sel:DWORD dst_unused:UNUSED_PAD src0_sel:BYTE_0 src1_sel:DWORD
	v_lshlrev_b16_e32 v58, 8, v68
	v_or_b32_sdwa v58, v64, v58 dst_sel:WORD_1 dst_unused:UNUSED_PAD src0_sel:BYTE_0 src1_sel:DWORD
	v_lshlrev_b16_e32 v57, 8, v57
	v_or_b32_sdwa v56, v56, v58 dst_sel:DWORD dst_unused:UNUSED_PAD src0_sel:WORD_0 src1_sel:DWORD
	v_or_b32_sdwa v58, v72, v76 dst_sel:DWORD dst_unused:UNUSED_PAD src0_sel:BYTE_0 src1_sel:DWORD
	v_or_b32_sdwa v57, v80, v57 dst_sel:WORD_1 dst_unused:UNUSED_PAD src0_sel:BYTE_0 src1_sel:DWORD
	v_or_b32_sdwa v57, v58, v57 dst_sel:DWORD dst_unused:UNUSED_PAD src0_sel:WORD_0 src1_sel:DWORD
	s_waitcnt lgkmcnt(0)
	s_barrier
	ds_write_b64 v5, v[56:57]
	v_mov_b32_e32 v57, v36
	s_waitcnt lgkmcnt(0)
	s_barrier
	s_and_saveexec_b64 s[16:17], s[6:7]
	s_cbranch_execz .LBB109_102
; %bb.99:                               ;   in Loop: Header=BB109_2 Depth=1
	s_mov_b64 s[18:19], 0
	v_mov_b32_e32 v57, v36
	v_mov_b32_e32 v56, v37
.LBB109_100:                            ;   Parent Loop BB109_2 Depth=1
                                        ; =>  This Inner Loop Header: Depth=2
	v_sub_u32_e32 v58, v56, v57
	v_lshrrev_b32_e32 v58, 1, v58
	v_add_u32_e32 v58, v58, v57
	v_add_u32_e32 v59, v9, v58
	v_xad_u32 v60, v58, -1, v38
	ds_read_u8 v59, v59
	ds_read_u8 v60, v60
	v_add_u32_e32 v61, 1, v58
	s_waitcnt lgkmcnt(0)
	v_cmp_lt_u16_e32 vcc, v60, v59
	v_cndmask_b32_e32 v56, v56, v58, vcc
	v_cndmask_b32_e32 v57, v61, v57, vcc
	v_cmp_ge_i32_e32 vcc, v57, v56
	s_or_b64 s[18:19], vcc, s[18:19]
	s_andn2_b64 exec, exec, s[18:19]
	s_cbranch_execnz .LBB109_100
; %bb.101:                              ;   in Loop: Header=BB109_2 Depth=1
	s_or_b64 exec, exec, s[18:19]
.LBB109_102:                            ;   in Loop: Header=BB109_2 Depth=1
	s_or_b64 exec, exec, s[16:17]
	v_add_u32_e32 v56, v57, v9
	v_sub_u32_e32 v57, v38, v57
	ds_read_u8 v58, v56
	ds_read_u8 v59, v57
	v_cmp_le_i32_e64 s[16:17], v19, v56
	v_cmp_gt_i32_e32 vcc, v20, v57
                                        ; implicit-def: $vgpr60
	s_waitcnt lgkmcnt(0)
	v_cmp_lt_u16_sdwa s[2:3], v59, v58 src0_sel:BYTE_0 src1_sel:BYTE_0
	s_or_b64 s[2:3], s[16:17], s[2:3]
	s_and_b64 s[16:17], vcc, s[2:3]
	s_xor_b64 s[2:3], s[16:17], -1
	s_and_saveexec_b64 s[18:19], s[2:3]
	s_xor_b64 s[18:19], exec, s[18:19]
; %bb.103:                              ;   in Loop: Header=BB109_2 Depth=1
	ds_read_u8 v60, v56 offset:1
; %bb.104:                              ;   in Loop: Header=BB109_2 Depth=1
	s_or_saveexec_b64 s[18:19], s[18:19]
	v_mov_b32_e32 v61, v59
	s_xor_b64 exec, exec, s[18:19]
	s_cbranch_execz .LBB109_106
; %bb.105:                              ;   in Loop: Header=BB109_2 Depth=1
	ds_read_u8 v61, v57 offset:1
	s_waitcnt lgkmcnt(1)
	v_mov_b32_e32 v60, v58
.LBB109_106:                            ;   in Loop: Header=BB109_2 Depth=1
	s_or_b64 exec, exec, s[18:19]
	v_add_u32_e32 v63, 1, v56
	v_add_u32_e32 v62, 1, v57
	v_cndmask_b32_e64 v63, v63, v56, s[16:17]
	v_cndmask_b32_e64 v62, v57, v62, s[16:17]
	v_cmp_ge_i32_e64 s[18:19], v63, v19
	s_waitcnt lgkmcnt(0)
	v_cmp_lt_u16_sdwa s[2:3], v61, v60 src0_sel:BYTE_0 src1_sel:BYTE_0
	v_cmp_lt_i32_e32 vcc, v62, v20
	s_or_b64 s[2:3], s[18:19], s[2:3]
	s_and_b64 s[18:19], vcc, s[2:3]
	s_xor_b64 s[2:3], s[18:19], -1
                                        ; implicit-def: $vgpr64
	s_and_saveexec_b64 s[20:21], s[2:3]
	s_xor_b64 s[20:21], exec, s[20:21]
; %bb.107:                              ;   in Loop: Header=BB109_2 Depth=1
	ds_read_u8 v64, v63 offset:1
; %bb.108:                              ;   in Loop: Header=BB109_2 Depth=1
	s_or_saveexec_b64 s[20:21], s[20:21]
	v_mov_b32_e32 v65, v61
	s_xor_b64 exec, exec, s[20:21]
	s_cbranch_execz .LBB109_110
; %bb.109:                              ;   in Loop: Header=BB109_2 Depth=1
	ds_read_u8 v65, v62 offset:1
	s_waitcnt lgkmcnt(1)
	v_mov_b32_e32 v64, v60
.LBB109_110:                            ;   in Loop: Header=BB109_2 Depth=1
	s_or_b64 exec, exec, s[20:21]
	v_add_u32_e32 v67, 1, v63
	v_add_u32_e32 v66, 1, v62
	v_cndmask_b32_e64 v67, v67, v63, s[18:19]
	v_cndmask_b32_e64 v66, v62, v66, s[18:19]
	v_cmp_ge_i32_e64 s[20:21], v67, v19
	s_waitcnt lgkmcnt(0)
	v_cmp_lt_u16_sdwa s[2:3], v65, v64 src0_sel:BYTE_0 src1_sel:BYTE_0
	v_cmp_lt_i32_e32 vcc, v66, v20
	s_or_b64 s[2:3], s[20:21], s[2:3]
	s_and_b64 s[20:21], vcc, s[2:3]
	s_xor_b64 s[2:3], s[20:21], -1
                                        ; implicit-def: $vgpr68
	s_and_saveexec_b64 s[22:23], s[2:3]
	s_xor_b64 s[22:23], exec, s[22:23]
; %bb.111:                              ;   in Loop: Header=BB109_2 Depth=1
	ds_read_u8 v68, v67 offset:1
; %bb.112:                              ;   in Loop: Header=BB109_2 Depth=1
	s_or_saveexec_b64 s[22:23], s[22:23]
	v_mov_b32_e32 v69, v65
	s_xor_b64 exec, exec, s[22:23]
	s_cbranch_execz .LBB109_114
; %bb.113:                              ;   in Loop: Header=BB109_2 Depth=1
	ds_read_u8 v69, v66 offset:1
	s_waitcnt lgkmcnt(1)
	v_mov_b32_e32 v68, v64
.LBB109_114:                            ;   in Loop: Header=BB109_2 Depth=1
	s_or_b64 exec, exec, s[22:23]
	v_add_u32_e32 v71, 1, v67
	v_add_u32_e32 v70, 1, v66
	v_cndmask_b32_e64 v71, v71, v67, s[20:21]
	v_cndmask_b32_e64 v70, v66, v70, s[20:21]
	v_cmp_ge_i32_e64 s[22:23], v71, v19
	s_waitcnt lgkmcnt(0)
	v_cmp_lt_u16_sdwa s[2:3], v69, v68 src0_sel:BYTE_0 src1_sel:BYTE_0
	v_cmp_lt_i32_e32 vcc, v70, v20
	s_or_b64 s[2:3], s[22:23], s[2:3]
	s_and_b64 s[22:23], vcc, s[2:3]
	s_xor_b64 s[2:3], s[22:23], -1
                                        ; implicit-def: $vgpr72
	s_and_saveexec_b64 s[24:25], s[2:3]
	s_xor_b64 s[24:25], exec, s[24:25]
; %bb.115:                              ;   in Loop: Header=BB109_2 Depth=1
	ds_read_u8 v72, v71 offset:1
; %bb.116:                              ;   in Loop: Header=BB109_2 Depth=1
	s_or_saveexec_b64 s[24:25], s[24:25]
	v_mov_b32_e32 v73, v69
	s_xor_b64 exec, exec, s[24:25]
	s_cbranch_execz .LBB109_118
; %bb.117:                              ;   in Loop: Header=BB109_2 Depth=1
	ds_read_u8 v73, v70 offset:1
	s_waitcnt lgkmcnt(1)
	v_mov_b32_e32 v72, v68
.LBB109_118:                            ;   in Loop: Header=BB109_2 Depth=1
	s_or_b64 exec, exec, s[24:25]
	v_add_u32_e32 v75, 1, v71
	v_add_u32_e32 v74, 1, v70
	v_cndmask_b32_e64 v75, v75, v71, s[22:23]
	v_cndmask_b32_e64 v74, v70, v74, s[22:23]
	v_cmp_ge_i32_e64 s[24:25], v75, v19
	s_waitcnt lgkmcnt(0)
	v_cmp_lt_u16_sdwa s[2:3], v73, v72 src0_sel:BYTE_0 src1_sel:BYTE_0
	v_cmp_lt_i32_e32 vcc, v74, v20
	s_or_b64 s[2:3], s[24:25], s[2:3]
	s_and_b64 s[24:25], vcc, s[2:3]
	s_xor_b64 s[2:3], s[24:25], -1
                                        ; implicit-def: $vgpr76
	s_and_saveexec_b64 s[26:27], s[2:3]
	s_xor_b64 s[26:27], exec, s[26:27]
; %bb.119:                              ;   in Loop: Header=BB109_2 Depth=1
	ds_read_u8 v76, v75 offset:1
; %bb.120:                              ;   in Loop: Header=BB109_2 Depth=1
	s_or_saveexec_b64 s[26:27], s[26:27]
	v_mov_b32_e32 v77, v73
	s_xor_b64 exec, exec, s[26:27]
	s_cbranch_execz .LBB109_122
; %bb.121:                              ;   in Loop: Header=BB109_2 Depth=1
	ds_read_u8 v77, v74 offset:1
	s_waitcnt lgkmcnt(1)
	v_mov_b32_e32 v76, v72
.LBB109_122:                            ;   in Loop: Header=BB109_2 Depth=1
	s_or_b64 exec, exec, s[26:27]
	v_add_u32_e32 v79, 1, v75
	v_add_u32_e32 v78, 1, v74
	v_cndmask_b32_e64 v79, v79, v75, s[24:25]
	v_cndmask_b32_e64 v78, v74, v78, s[24:25]
	v_cmp_ge_i32_e64 s[26:27], v79, v19
	s_waitcnt lgkmcnt(0)
	v_cmp_lt_u16_sdwa s[2:3], v77, v76 src0_sel:BYTE_0 src1_sel:BYTE_0
	v_cmp_lt_i32_e32 vcc, v78, v20
	s_or_b64 s[2:3], s[26:27], s[2:3]
	s_and_b64 vcc, vcc, s[2:3]
	s_xor_b64 s[2:3], vcc, -1
                                        ; implicit-def: $vgpr80
	s_and_saveexec_b64 s[26:27], s[2:3]
	s_xor_b64 s[26:27], exec, s[26:27]
; %bb.123:                              ;   in Loop: Header=BB109_2 Depth=1
	ds_read_u8 v80, v79 offset:1
; %bb.124:                              ;   in Loop: Header=BB109_2 Depth=1
	s_or_saveexec_b64 s[26:27], s[26:27]
	v_mov_b32_e32 v81, v77
	s_xor_b64 exec, exec, s[26:27]
	s_cbranch_execz .LBB109_126
; %bb.125:                              ;   in Loop: Header=BB109_2 Depth=1
	ds_read_u8 v81, v78 offset:1
	s_waitcnt lgkmcnt(1)
	v_mov_b32_e32 v80, v76
.LBB109_126:                            ;   in Loop: Header=BB109_2 Depth=1
	s_or_b64 exec, exec, s[26:27]
	v_add_u32_e32 v84, 1, v79
	v_add_u32_e32 v82, 1, v78
	v_cndmask_b32_e32 v84, v84, v79, vcc
	v_cndmask_b32_e32 v83, v78, v82, vcc
	v_cmp_ge_i32_e64 s[28:29], v84, v19
	s_waitcnt lgkmcnt(0)
	v_cmp_lt_u16_sdwa s[2:3], v81, v80 src0_sel:BYTE_0 src1_sel:BYTE_0
	v_cmp_lt_i32_e64 s[26:27], v83, v20
	s_or_b64 s[2:3], s[28:29], s[2:3]
	s_and_b64 s[26:27], s[26:27], s[2:3]
	s_xor_b64 s[2:3], s[26:27], -1
                                        ; implicit-def: $vgpr82
	s_and_saveexec_b64 s[28:29], s[2:3]
	s_xor_b64 s[28:29], exec, s[28:29]
; %bb.127:                              ;   in Loop: Header=BB109_2 Depth=1
	ds_read_u8 v82, v84 offset:1
; %bb.128:                              ;   in Loop: Header=BB109_2 Depth=1
	s_or_saveexec_b64 s[28:29], s[28:29]
	v_mov_b32_e32 v85, v81
	s_xor_b64 exec, exec, s[28:29]
	s_cbranch_execz .LBB109_130
; %bb.129:                              ;   in Loop: Header=BB109_2 Depth=1
	ds_read_u8 v85, v83 offset:1
	s_waitcnt lgkmcnt(1)
	v_mov_b32_e32 v82, v80
.LBB109_130:                            ;   in Loop: Header=BB109_2 Depth=1
	s_or_b64 exec, exec, s[28:29]
	v_add_u32_e32 v86, 1, v84
	v_cndmask_b32_e64 v80, v80, v81, s[26:27]
	v_add_u32_e32 v81, 1, v83
	v_cndmask_b32_e64 v86, v86, v84, s[26:27]
	v_cndmask_b32_e64 v81, v83, v81, s[26:27]
	;; [unrolled: 1-line block ×4, first 2 shown]
	v_cmp_ge_i32_e64 s[16:17], v86, v19
	s_waitcnt lgkmcnt(0)
	v_cmp_lt_u16_sdwa s[2:3], v85, v82 src0_sel:BYTE_0 src1_sel:BYTE_0
	v_cndmask_b32_sdwa v76, v76, v77, vcc dst_sel:BYTE_1 dst_unused:UNUSED_PAD src0_sel:DWORD src1_sel:DWORD
	v_cndmask_b32_e32 v77, v79, v78, vcc
	v_cmp_lt_i32_e32 vcc, v81, v20
	s_or_b64 s[2:3], s[16:17], s[2:3]
	v_perm_b32 v53, v53, v54, s88
	v_perm_b32 v52, v55, v52, s88
	;; [unrolled: 1-line block ×4, first 2 shown]
	s_and_b64 vcc, vcc, s[2:3]
	v_lshl_or_b32 v53, v52, 16, v53
	v_lshl_or_b32 v52, v2, 16, v1
	v_cndmask_b32_e64 v83, v84, v83, s[26:27]
	v_cndmask_b32_e64 v72, v72, v73, s[24:25]
	;; [unrolled: 1-line block ×9, first 2 shown]
	v_cndmask_b32_e32 v59, v86, v81, vcc
	s_barrier
	ds_write_b64 v5, v[52:53]
	s_waitcnt lgkmcnt(0)
	s_barrier
	ds_read_u8 v1, v56
	ds_read_u8 v52, v59
	;; [unrolled: 1-line block ×8, first 2 shown]
	v_lshlrev_b16_e32 v56, 8, v60
	v_cndmask_b32_e32 v57, v82, v85, vcc
	v_or_b32_sdwa v56, v58, v56 dst_sel:DWORD dst_unused:UNUSED_PAD src0_sel:BYTE_0 src1_sel:DWORD
	v_lshlrev_b16_e32 v58, 8, v68
	v_or_b32_sdwa v58, v64, v58 dst_sel:WORD_1 dst_unused:UNUSED_PAD src0_sel:BYTE_0 src1_sel:DWORD
	v_lshlrev_b16_e32 v57, 8, v57
	v_or_b32_sdwa v56, v56, v58 dst_sel:DWORD dst_unused:UNUSED_PAD src0_sel:WORD_0 src1_sel:DWORD
	v_or_b32_sdwa v58, v72, v76 dst_sel:DWORD dst_unused:UNUSED_PAD src0_sel:BYTE_0 src1_sel:DWORD
	v_or_b32_sdwa v57, v80, v57 dst_sel:WORD_1 dst_unused:UNUSED_PAD src0_sel:BYTE_0 src1_sel:DWORD
	v_or_b32_sdwa v57, v58, v57 dst_sel:DWORD dst_unused:UNUSED_PAD src0_sel:WORD_0 src1_sel:DWORD
	s_waitcnt lgkmcnt(0)
	s_barrier
	ds_write_b64 v5, v[56:57]
	v_mov_b32_e32 v57, v39
	s_waitcnt lgkmcnt(0)
	s_barrier
	s_and_saveexec_b64 s[16:17], s[8:9]
	s_cbranch_execz .LBB109_134
; %bb.131:                              ;   in Loop: Header=BB109_2 Depth=1
	s_mov_b64 s[18:19], 0
	v_mov_b32_e32 v57, v39
	v_mov_b32_e32 v56, v40
.LBB109_132:                            ;   Parent Loop BB109_2 Depth=1
                                        ; =>  This Inner Loop Header: Depth=2
	v_sub_u32_e32 v58, v56, v57
	v_lshrrev_b32_e32 v58, 1, v58
	v_add_u32_e32 v58, v58, v57
	v_add_u32_e32 v59, v10, v58
	v_xad_u32 v60, v58, -1, v41
	ds_read_u8 v59, v59
	ds_read_u8 v60, v60
	v_add_u32_e32 v61, 1, v58
	s_waitcnt lgkmcnt(0)
	v_cmp_lt_u16_e32 vcc, v60, v59
	v_cndmask_b32_e32 v56, v56, v58, vcc
	v_cndmask_b32_e32 v57, v61, v57, vcc
	v_cmp_ge_i32_e32 vcc, v57, v56
	s_or_b64 s[18:19], vcc, s[18:19]
	s_andn2_b64 exec, exec, s[18:19]
	s_cbranch_execnz .LBB109_132
; %bb.133:                              ;   in Loop: Header=BB109_2 Depth=1
	s_or_b64 exec, exec, s[18:19]
.LBB109_134:                            ;   in Loop: Header=BB109_2 Depth=1
	s_or_b64 exec, exec, s[16:17]
	v_add_u32_e32 v56, v57, v10
	v_sub_u32_e32 v57, v41, v57
	ds_read_u8 v58, v56
	ds_read_u8 v59, v57
	v_cmp_le_i32_e64 s[16:17], v21, v56
	v_cmp_gt_i32_e32 vcc, v22, v57
                                        ; implicit-def: $vgpr60
	s_waitcnt lgkmcnt(0)
	v_cmp_lt_u16_sdwa s[2:3], v59, v58 src0_sel:BYTE_0 src1_sel:BYTE_0
	s_or_b64 s[2:3], s[16:17], s[2:3]
	s_and_b64 s[16:17], vcc, s[2:3]
	s_xor_b64 s[2:3], s[16:17], -1
	s_and_saveexec_b64 s[18:19], s[2:3]
	s_xor_b64 s[18:19], exec, s[18:19]
; %bb.135:                              ;   in Loop: Header=BB109_2 Depth=1
	ds_read_u8 v60, v56 offset:1
; %bb.136:                              ;   in Loop: Header=BB109_2 Depth=1
	s_or_saveexec_b64 s[18:19], s[18:19]
	v_mov_b32_e32 v61, v59
	s_xor_b64 exec, exec, s[18:19]
	s_cbranch_execz .LBB109_138
; %bb.137:                              ;   in Loop: Header=BB109_2 Depth=1
	ds_read_u8 v61, v57 offset:1
	s_waitcnt lgkmcnt(1)
	v_mov_b32_e32 v60, v58
.LBB109_138:                            ;   in Loop: Header=BB109_2 Depth=1
	s_or_b64 exec, exec, s[18:19]
	v_add_u32_e32 v63, 1, v56
	v_add_u32_e32 v62, 1, v57
	v_cndmask_b32_e64 v63, v63, v56, s[16:17]
	v_cndmask_b32_e64 v62, v57, v62, s[16:17]
	v_cmp_ge_i32_e64 s[18:19], v63, v21
	s_waitcnt lgkmcnt(0)
	v_cmp_lt_u16_sdwa s[2:3], v61, v60 src0_sel:BYTE_0 src1_sel:BYTE_0
	v_cmp_lt_i32_e32 vcc, v62, v22
	s_or_b64 s[2:3], s[18:19], s[2:3]
	s_and_b64 s[18:19], vcc, s[2:3]
	s_xor_b64 s[2:3], s[18:19], -1
                                        ; implicit-def: $vgpr64
	s_and_saveexec_b64 s[20:21], s[2:3]
	s_xor_b64 s[20:21], exec, s[20:21]
; %bb.139:                              ;   in Loop: Header=BB109_2 Depth=1
	ds_read_u8 v64, v63 offset:1
; %bb.140:                              ;   in Loop: Header=BB109_2 Depth=1
	s_or_saveexec_b64 s[20:21], s[20:21]
	v_mov_b32_e32 v65, v61
	s_xor_b64 exec, exec, s[20:21]
	s_cbranch_execz .LBB109_142
; %bb.141:                              ;   in Loop: Header=BB109_2 Depth=1
	ds_read_u8 v65, v62 offset:1
	s_waitcnt lgkmcnt(1)
	v_mov_b32_e32 v64, v60
.LBB109_142:                            ;   in Loop: Header=BB109_2 Depth=1
	s_or_b64 exec, exec, s[20:21]
	v_add_u32_e32 v67, 1, v63
	v_add_u32_e32 v66, 1, v62
	v_cndmask_b32_e64 v67, v67, v63, s[18:19]
	v_cndmask_b32_e64 v66, v62, v66, s[18:19]
	v_cmp_ge_i32_e64 s[20:21], v67, v21
	s_waitcnt lgkmcnt(0)
	v_cmp_lt_u16_sdwa s[2:3], v65, v64 src0_sel:BYTE_0 src1_sel:BYTE_0
	v_cmp_lt_i32_e32 vcc, v66, v22
	s_or_b64 s[2:3], s[20:21], s[2:3]
	s_and_b64 s[20:21], vcc, s[2:3]
	s_xor_b64 s[2:3], s[20:21], -1
                                        ; implicit-def: $vgpr68
	s_and_saveexec_b64 s[22:23], s[2:3]
	s_xor_b64 s[22:23], exec, s[22:23]
; %bb.143:                              ;   in Loop: Header=BB109_2 Depth=1
	ds_read_u8 v68, v67 offset:1
; %bb.144:                              ;   in Loop: Header=BB109_2 Depth=1
	s_or_saveexec_b64 s[22:23], s[22:23]
	v_mov_b32_e32 v69, v65
	s_xor_b64 exec, exec, s[22:23]
	s_cbranch_execz .LBB109_146
; %bb.145:                              ;   in Loop: Header=BB109_2 Depth=1
	ds_read_u8 v69, v66 offset:1
	s_waitcnt lgkmcnt(1)
	v_mov_b32_e32 v68, v64
.LBB109_146:                            ;   in Loop: Header=BB109_2 Depth=1
	s_or_b64 exec, exec, s[22:23]
	v_add_u32_e32 v71, 1, v67
	v_add_u32_e32 v70, 1, v66
	v_cndmask_b32_e64 v71, v71, v67, s[20:21]
	v_cndmask_b32_e64 v70, v66, v70, s[20:21]
	v_cmp_ge_i32_e64 s[22:23], v71, v21
	s_waitcnt lgkmcnt(0)
	v_cmp_lt_u16_sdwa s[2:3], v69, v68 src0_sel:BYTE_0 src1_sel:BYTE_0
	v_cmp_lt_i32_e32 vcc, v70, v22
	s_or_b64 s[2:3], s[22:23], s[2:3]
	s_and_b64 s[22:23], vcc, s[2:3]
	s_xor_b64 s[2:3], s[22:23], -1
                                        ; implicit-def: $vgpr72
	s_and_saveexec_b64 s[24:25], s[2:3]
	s_xor_b64 s[24:25], exec, s[24:25]
; %bb.147:                              ;   in Loop: Header=BB109_2 Depth=1
	ds_read_u8 v72, v71 offset:1
; %bb.148:                              ;   in Loop: Header=BB109_2 Depth=1
	s_or_saveexec_b64 s[24:25], s[24:25]
	v_mov_b32_e32 v73, v69
	s_xor_b64 exec, exec, s[24:25]
	s_cbranch_execz .LBB109_150
; %bb.149:                              ;   in Loop: Header=BB109_2 Depth=1
	ds_read_u8 v73, v70 offset:1
	s_waitcnt lgkmcnt(1)
	v_mov_b32_e32 v72, v68
.LBB109_150:                            ;   in Loop: Header=BB109_2 Depth=1
	s_or_b64 exec, exec, s[24:25]
	v_add_u32_e32 v75, 1, v71
	v_add_u32_e32 v74, 1, v70
	v_cndmask_b32_e64 v75, v75, v71, s[22:23]
	v_cndmask_b32_e64 v74, v70, v74, s[22:23]
	v_cmp_ge_i32_e64 s[24:25], v75, v21
	s_waitcnt lgkmcnt(0)
	v_cmp_lt_u16_sdwa s[2:3], v73, v72 src0_sel:BYTE_0 src1_sel:BYTE_0
	v_cmp_lt_i32_e32 vcc, v74, v22
	s_or_b64 s[2:3], s[24:25], s[2:3]
	s_and_b64 s[24:25], vcc, s[2:3]
	s_xor_b64 s[2:3], s[24:25], -1
                                        ; implicit-def: $vgpr76
	s_and_saveexec_b64 s[26:27], s[2:3]
	s_xor_b64 s[26:27], exec, s[26:27]
; %bb.151:                              ;   in Loop: Header=BB109_2 Depth=1
	ds_read_u8 v76, v75 offset:1
; %bb.152:                              ;   in Loop: Header=BB109_2 Depth=1
	s_or_saveexec_b64 s[26:27], s[26:27]
	v_mov_b32_e32 v77, v73
	s_xor_b64 exec, exec, s[26:27]
	s_cbranch_execz .LBB109_154
; %bb.153:                              ;   in Loop: Header=BB109_2 Depth=1
	ds_read_u8 v77, v74 offset:1
	s_waitcnt lgkmcnt(1)
	v_mov_b32_e32 v76, v72
.LBB109_154:                            ;   in Loop: Header=BB109_2 Depth=1
	s_or_b64 exec, exec, s[26:27]
	v_add_u32_e32 v79, 1, v75
	v_add_u32_e32 v78, 1, v74
	v_cndmask_b32_e64 v79, v79, v75, s[24:25]
	v_cndmask_b32_e64 v78, v74, v78, s[24:25]
	v_cmp_ge_i32_e64 s[26:27], v79, v21
	s_waitcnt lgkmcnt(0)
	v_cmp_lt_u16_sdwa s[2:3], v77, v76 src0_sel:BYTE_0 src1_sel:BYTE_0
	v_cmp_lt_i32_e32 vcc, v78, v22
	s_or_b64 s[2:3], s[26:27], s[2:3]
	s_and_b64 vcc, vcc, s[2:3]
	s_xor_b64 s[2:3], vcc, -1
                                        ; implicit-def: $vgpr80
	s_and_saveexec_b64 s[26:27], s[2:3]
	s_xor_b64 s[26:27], exec, s[26:27]
; %bb.155:                              ;   in Loop: Header=BB109_2 Depth=1
	ds_read_u8 v80, v79 offset:1
; %bb.156:                              ;   in Loop: Header=BB109_2 Depth=1
	s_or_saveexec_b64 s[26:27], s[26:27]
	v_mov_b32_e32 v81, v77
	s_xor_b64 exec, exec, s[26:27]
	s_cbranch_execz .LBB109_158
; %bb.157:                              ;   in Loop: Header=BB109_2 Depth=1
	ds_read_u8 v81, v78 offset:1
	s_waitcnt lgkmcnt(1)
	v_mov_b32_e32 v80, v76
.LBB109_158:                            ;   in Loop: Header=BB109_2 Depth=1
	s_or_b64 exec, exec, s[26:27]
	v_add_u32_e32 v84, 1, v79
	v_add_u32_e32 v82, 1, v78
	v_cndmask_b32_e32 v84, v84, v79, vcc
	v_cndmask_b32_e32 v83, v78, v82, vcc
	v_cmp_ge_i32_e64 s[28:29], v84, v21
	s_waitcnt lgkmcnt(0)
	v_cmp_lt_u16_sdwa s[2:3], v81, v80 src0_sel:BYTE_0 src1_sel:BYTE_0
	v_cmp_lt_i32_e64 s[26:27], v83, v22
	s_or_b64 s[2:3], s[28:29], s[2:3]
	s_and_b64 s[26:27], s[26:27], s[2:3]
	s_xor_b64 s[2:3], s[26:27], -1
                                        ; implicit-def: $vgpr82
	s_and_saveexec_b64 s[28:29], s[2:3]
	s_xor_b64 s[28:29], exec, s[28:29]
; %bb.159:                              ;   in Loop: Header=BB109_2 Depth=1
	ds_read_u8 v82, v84 offset:1
; %bb.160:                              ;   in Loop: Header=BB109_2 Depth=1
	s_or_saveexec_b64 s[28:29], s[28:29]
	v_mov_b32_e32 v85, v81
	s_xor_b64 exec, exec, s[28:29]
	s_cbranch_execz .LBB109_162
; %bb.161:                              ;   in Loop: Header=BB109_2 Depth=1
	ds_read_u8 v85, v83 offset:1
	s_waitcnt lgkmcnt(1)
	v_mov_b32_e32 v82, v80
.LBB109_162:                            ;   in Loop: Header=BB109_2 Depth=1
	s_or_b64 exec, exec, s[28:29]
	v_add_u32_e32 v86, 1, v84
	v_cndmask_b32_e64 v80, v80, v81, s[26:27]
	v_add_u32_e32 v81, 1, v83
	v_cndmask_b32_e64 v86, v86, v84, s[26:27]
	v_cndmask_b32_e64 v81, v83, v81, s[26:27]
	;; [unrolled: 1-line block ×4, first 2 shown]
	v_cmp_ge_i32_e64 s[16:17], v86, v21
	s_waitcnt lgkmcnt(0)
	v_cmp_lt_u16_sdwa s[2:3], v85, v82 src0_sel:BYTE_0 src1_sel:BYTE_0
	v_cndmask_b32_sdwa v76, v76, v77, vcc dst_sel:BYTE_1 dst_unused:UNUSED_PAD src0_sel:DWORD src1_sel:DWORD
	v_cndmask_b32_e32 v77, v79, v78, vcc
	v_cmp_lt_i32_e32 vcc, v81, v22
	s_or_b64 s[2:3], s[16:17], s[2:3]
	v_perm_b32 v53, v53, v54, s88
	v_perm_b32 v52, v55, v52, s88
	;; [unrolled: 1-line block ×4, first 2 shown]
	s_and_b64 vcc, vcc, s[2:3]
	v_lshl_or_b32 v53, v52, 16, v53
	v_lshl_or_b32 v52, v2, 16, v1
	v_cndmask_b32_e64 v83, v84, v83, s[26:27]
	v_cndmask_b32_e64 v72, v72, v73, s[24:25]
	;; [unrolled: 1-line block ×9, first 2 shown]
	v_cndmask_b32_e32 v59, v86, v81, vcc
	s_barrier
	ds_write_b64 v5, v[52:53]
	s_waitcnt lgkmcnt(0)
	s_barrier
	ds_read_u8 v1, v56
	ds_read_u8 v52, v59
	;; [unrolled: 1-line block ×8, first 2 shown]
	v_lshlrev_b16_e32 v56, 8, v60
	v_cndmask_b32_e32 v57, v82, v85, vcc
	v_or_b32_sdwa v56, v58, v56 dst_sel:DWORD dst_unused:UNUSED_PAD src0_sel:BYTE_0 src1_sel:DWORD
	v_lshlrev_b16_e32 v58, 8, v68
	v_or_b32_sdwa v58, v64, v58 dst_sel:WORD_1 dst_unused:UNUSED_PAD src0_sel:BYTE_0 src1_sel:DWORD
	v_lshlrev_b16_e32 v57, 8, v57
	v_or_b32_sdwa v56, v56, v58 dst_sel:DWORD dst_unused:UNUSED_PAD src0_sel:WORD_0 src1_sel:DWORD
	v_or_b32_sdwa v58, v72, v76 dst_sel:DWORD dst_unused:UNUSED_PAD src0_sel:BYTE_0 src1_sel:DWORD
	v_or_b32_sdwa v57, v80, v57 dst_sel:WORD_1 dst_unused:UNUSED_PAD src0_sel:BYTE_0 src1_sel:DWORD
	v_or_b32_sdwa v57, v58, v57 dst_sel:DWORD dst_unused:UNUSED_PAD src0_sel:WORD_0 src1_sel:DWORD
	s_waitcnt lgkmcnt(0)
	s_barrier
	ds_write_b64 v5, v[56:57]
	v_mov_b32_e32 v57, v42
	s_waitcnt lgkmcnt(0)
	s_barrier
	s_and_saveexec_b64 s[16:17], s[10:11]
	s_cbranch_execz .LBB109_166
; %bb.163:                              ;   in Loop: Header=BB109_2 Depth=1
	s_mov_b64 s[18:19], 0
	v_mov_b32_e32 v57, v42
	v_mov_b32_e32 v56, v43
.LBB109_164:                            ;   Parent Loop BB109_2 Depth=1
                                        ; =>  This Inner Loop Header: Depth=2
	v_sub_u32_e32 v58, v56, v57
	v_lshrrev_b32_e32 v58, 1, v58
	v_add_u32_e32 v58, v58, v57
	v_add_u32_e32 v59, v11, v58
	v_xad_u32 v60, v58, -1, v44
	ds_read_u8 v59, v59
	ds_read_u8 v60, v60
	v_add_u32_e32 v61, 1, v58
	s_waitcnt lgkmcnt(0)
	v_cmp_lt_u16_e32 vcc, v60, v59
	v_cndmask_b32_e32 v56, v56, v58, vcc
	v_cndmask_b32_e32 v57, v61, v57, vcc
	v_cmp_ge_i32_e32 vcc, v57, v56
	s_or_b64 s[18:19], vcc, s[18:19]
	s_andn2_b64 exec, exec, s[18:19]
	s_cbranch_execnz .LBB109_164
; %bb.165:                              ;   in Loop: Header=BB109_2 Depth=1
	s_or_b64 exec, exec, s[18:19]
.LBB109_166:                            ;   in Loop: Header=BB109_2 Depth=1
	s_or_b64 exec, exec, s[16:17]
	v_add_u32_e32 v56, v57, v11
	v_sub_u32_e32 v57, v44, v57
	ds_read_u8 v58, v56
	ds_read_u8 v59, v57
	v_cmp_le_i32_e64 s[16:17], v23, v56
	v_cmp_gt_i32_e32 vcc, v24, v57
                                        ; implicit-def: $vgpr60
	s_waitcnt lgkmcnt(0)
	v_cmp_lt_u16_sdwa s[2:3], v59, v58 src0_sel:BYTE_0 src1_sel:BYTE_0
	s_or_b64 s[2:3], s[16:17], s[2:3]
	s_and_b64 s[16:17], vcc, s[2:3]
	s_xor_b64 s[2:3], s[16:17], -1
	s_and_saveexec_b64 s[18:19], s[2:3]
	s_xor_b64 s[18:19], exec, s[18:19]
; %bb.167:                              ;   in Loop: Header=BB109_2 Depth=1
	ds_read_u8 v60, v56 offset:1
; %bb.168:                              ;   in Loop: Header=BB109_2 Depth=1
	s_or_saveexec_b64 s[18:19], s[18:19]
	v_mov_b32_e32 v61, v59
	s_xor_b64 exec, exec, s[18:19]
	s_cbranch_execz .LBB109_170
; %bb.169:                              ;   in Loop: Header=BB109_2 Depth=1
	ds_read_u8 v61, v57 offset:1
	s_waitcnt lgkmcnt(1)
	v_mov_b32_e32 v60, v58
.LBB109_170:                            ;   in Loop: Header=BB109_2 Depth=1
	s_or_b64 exec, exec, s[18:19]
	v_add_u32_e32 v63, 1, v56
	v_add_u32_e32 v62, 1, v57
	v_cndmask_b32_e64 v63, v63, v56, s[16:17]
	v_cndmask_b32_e64 v62, v57, v62, s[16:17]
	v_cmp_ge_i32_e64 s[18:19], v63, v23
	s_waitcnt lgkmcnt(0)
	v_cmp_lt_u16_sdwa s[2:3], v61, v60 src0_sel:BYTE_0 src1_sel:BYTE_0
	v_cmp_lt_i32_e32 vcc, v62, v24
	s_or_b64 s[2:3], s[18:19], s[2:3]
	s_and_b64 s[18:19], vcc, s[2:3]
	s_xor_b64 s[2:3], s[18:19], -1
                                        ; implicit-def: $vgpr64
	s_and_saveexec_b64 s[20:21], s[2:3]
	s_xor_b64 s[20:21], exec, s[20:21]
; %bb.171:                              ;   in Loop: Header=BB109_2 Depth=1
	ds_read_u8 v64, v63 offset:1
; %bb.172:                              ;   in Loop: Header=BB109_2 Depth=1
	s_or_saveexec_b64 s[20:21], s[20:21]
	v_mov_b32_e32 v65, v61
	s_xor_b64 exec, exec, s[20:21]
	s_cbranch_execz .LBB109_174
; %bb.173:                              ;   in Loop: Header=BB109_2 Depth=1
	ds_read_u8 v65, v62 offset:1
	s_waitcnt lgkmcnt(1)
	v_mov_b32_e32 v64, v60
.LBB109_174:                            ;   in Loop: Header=BB109_2 Depth=1
	s_or_b64 exec, exec, s[20:21]
	v_add_u32_e32 v67, 1, v63
	v_add_u32_e32 v66, 1, v62
	v_cndmask_b32_e64 v67, v67, v63, s[18:19]
	v_cndmask_b32_e64 v66, v62, v66, s[18:19]
	v_cmp_ge_i32_e64 s[20:21], v67, v23
	s_waitcnt lgkmcnt(0)
	v_cmp_lt_u16_sdwa s[2:3], v65, v64 src0_sel:BYTE_0 src1_sel:BYTE_0
	v_cmp_lt_i32_e32 vcc, v66, v24
	s_or_b64 s[2:3], s[20:21], s[2:3]
	s_and_b64 s[20:21], vcc, s[2:3]
	s_xor_b64 s[2:3], s[20:21], -1
                                        ; implicit-def: $vgpr68
	s_and_saveexec_b64 s[22:23], s[2:3]
	s_xor_b64 s[22:23], exec, s[22:23]
; %bb.175:                              ;   in Loop: Header=BB109_2 Depth=1
	ds_read_u8 v68, v67 offset:1
; %bb.176:                              ;   in Loop: Header=BB109_2 Depth=1
	s_or_saveexec_b64 s[22:23], s[22:23]
	v_mov_b32_e32 v69, v65
	s_xor_b64 exec, exec, s[22:23]
	s_cbranch_execz .LBB109_178
; %bb.177:                              ;   in Loop: Header=BB109_2 Depth=1
	ds_read_u8 v69, v66 offset:1
	s_waitcnt lgkmcnt(1)
	v_mov_b32_e32 v68, v64
.LBB109_178:                            ;   in Loop: Header=BB109_2 Depth=1
	s_or_b64 exec, exec, s[22:23]
	v_add_u32_e32 v71, 1, v67
	v_add_u32_e32 v70, 1, v66
	v_cndmask_b32_e64 v71, v71, v67, s[20:21]
	v_cndmask_b32_e64 v70, v66, v70, s[20:21]
	v_cmp_ge_i32_e64 s[22:23], v71, v23
	s_waitcnt lgkmcnt(0)
	v_cmp_lt_u16_sdwa s[2:3], v69, v68 src0_sel:BYTE_0 src1_sel:BYTE_0
	v_cmp_lt_i32_e32 vcc, v70, v24
	s_or_b64 s[2:3], s[22:23], s[2:3]
	s_and_b64 s[22:23], vcc, s[2:3]
	s_xor_b64 s[2:3], s[22:23], -1
                                        ; implicit-def: $vgpr72
	s_and_saveexec_b64 s[24:25], s[2:3]
	s_xor_b64 s[24:25], exec, s[24:25]
; %bb.179:                              ;   in Loop: Header=BB109_2 Depth=1
	ds_read_u8 v72, v71 offset:1
; %bb.180:                              ;   in Loop: Header=BB109_2 Depth=1
	s_or_saveexec_b64 s[24:25], s[24:25]
	v_mov_b32_e32 v73, v69
	s_xor_b64 exec, exec, s[24:25]
	s_cbranch_execz .LBB109_182
; %bb.181:                              ;   in Loop: Header=BB109_2 Depth=1
	ds_read_u8 v73, v70 offset:1
	s_waitcnt lgkmcnt(1)
	v_mov_b32_e32 v72, v68
.LBB109_182:                            ;   in Loop: Header=BB109_2 Depth=1
	s_or_b64 exec, exec, s[24:25]
	v_add_u32_e32 v75, 1, v71
	v_add_u32_e32 v74, 1, v70
	v_cndmask_b32_e64 v75, v75, v71, s[22:23]
	v_cndmask_b32_e64 v74, v70, v74, s[22:23]
	v_cmp_ge_i32_e64 s[24:25], v75, v23
	s_waitcnt lgkmcnt(0)
	v_cmp_lt_u16_sdwa s[2:3], v73, v72 src0_sel:BYTE_0 src1_sel:BYTE_0
	v_cmp_lt_i32_e32 vcc, v74, v24
	s_or_b64 s[2:3], s[24:25], s[2:3]
	s_and_b64 s[24:25], vcc, s[2:3]
	s_xor_b64 s[2:3], s[24:25], -1
                                        ; implicit-def: $vgpr76
	s_and_saveexec_b64 s[26:27], s[2:3]
	s_xor_b64 s[26:27], exec, s[26:27]
; %bb.183:                              ;   in Loop: Header=BB109_2 Depth=1
	ds_read_u8 v76, v75 offset:1
; %bb.184:                              ;   in Loop: Header=BB109_2 Depth=1
	s_or_saveexec_b64 s[26:27], s[26:27]
	v_mov_b32_e32 v77, v73
	s_xor_b64 exec, exec, s[26:27]
	s_cbranch_execz .LBB109_186
; %bb.185:                              ;   in Loop: Header=BB109_2 Depth=1
	ds_read_u8 v77, v74 offset:1
	s_waitcnt lgkmcnt(1)
	v_mov_b32_e32 v76, v72
.LBB109_186:                            ;   in Loop: Header=BB109_2 Depth=1
	s_or_b64 exec, exec, s[26:27]
	v_add_u32_e32 v79, 1, v75
	v_add_u32_e32 v78, 1, v74
	v_cndmask_b32_e64 v79, v79, v75, s[24:25]
	v_cndmask_b32_e64 v78, v74, v78, s[24:25]
	v_cmp_ge_i32_e64 s[26:27], v79, v23
	s_waitcnt lgkmcnt(0)
	v_cmp_lt_u16_sdwa s[2:3], v77, v76 src0_sel:BYTE_0 src1_sel:BYTE_0
	v_cmp_lt_i32_e32 vcc, v78, v24
	s_or_b64 s[2:3], s[26:27], s[2:3]
	s_and_b64 vcc, vcc, s[2:3]
	s_xor_b64 s[2:3], vcc, -1
                                        ; implicit-def: $vgpr80
	s_and_saveexec_b64 s[26:27], s[2:3]
	s_xor_b64 s[26:27], exec, s[26:27]
; %bb.187:                              ;   in Loop: Header=BB109_2 Depth=1
	ds_read_u8 v80, v79 offset:1
; %bb.188:                              ;   in Loop: Header=BB109_2 Depth=1
	s_or_saveexec_b64 s[26:27], s[26:27]
	v_mov_b32_e32 v81, v77
	s_xor_b64 exec, exec, s[26:27]
	s_cbranch_execz .LBB109_190
; %bb.189:                              ;   in Loop: Header=BB109_2 Depth=1
	ds_read_u8 v81, v78 offset:1
	s_waitcnt lgkmcnt(1)
	v_mov_b32_e32 v80, v76
.LBB109_190:                            ;   in Loop: Header=BB109_2 Depth=1
	s_or_b64 exec, exec, s[26:27]
	v_add_u32_e32 v84, 1, v79
	v_add_u32_e32 v82, 1, v78
	v_cndmask_b32_e32 v84, v84, v79, vcc
	v_cndmask_b32_e32 v83, v78, v82, vcc
	v_cmp_ge_i32_e64 s[28:29], v84, v23
	s_waitcnt lgkmcnt(0)
	v_cmp_lt_u16_sdwa s[2:3], v81, v80 src0_sel:BYTE_0 src1_sel:BYTE_0
	v_cmp_lt_i32_e64 s[26:27], v83, v24
	s_or_b64 s[2:3], s[28:29], s[2:3]
	s_and_b64 s[26:27], s[26:27], s[2:3]
	s_xor_b64 s[2:3], s[26:27], -1
                                        ; implicit-def: $vgpr82
	s_and_saveexec_b64 s[28:29], s[2:3]
	s_xor_b64 s[28:29], exec, s[28:29]
; %bb.191:                              ;   in Loop: Header=BB109_2 Depth=1
	ds_read_u8 v82, v84 offset:1
; %bb.192:                              ;   in Loop: Header=BB109_2 Depth=1
	s_or_saveexec_b64 s[28:29], s[28:29]
	v_mov_b32_e32 v85, v81
	s_xor_b64 exec, exec, s[28:29]
	s_cbranch_execz .LBB109_194
; %bb.193:                              ;   in Loop: Header=BB109_2 Depth=1
	ds_read_u8 v85, v83 offset:1
	s_waitcnt lgkmcnt(1)
	v_mov_b32_e32 v82, v80
.LBB109_194:                            ;   in Loop: Header=BB109_2 Depth=1
	s_or_b64 exec, exec, s[28:29]
	v_add_u32_e32 v86, 1, v84
	v_cndmask_b32_e64 v80, v80, v81, s[26:27]
	v_add_u32_e32 v81, 1, v83
	v_cndmask_b32_e64 v86, v86, v84, s[26:27]
	v_cndmask_b32_e64 v81, v83, v81, s[26:27]
	;; [unrolled: 1-line block ×4, first 2 shown]
	v_cmp_ge_i32_e64 s[16:17], v86, v23
	s_waitcnt lgkmcnt(0)
	v_cmp_lt_u16_sdwa s[2:3], v85, v82 src0_sel:BYTE_0 src1_sel:BYTE_0
	v_cndmask_b32_sdwa v76, v76, v77, vcc dst_sel:BYTE_1 dst_unused:UNUSED_PAD src0_sel:DWORD src1_sel:DWORD
	v_cndmask_b32_e32 v77, v79, v78, vcc
	v_cmp_lt_i32_e32 vcc, v81, v24
	s_or_b64 s[2:3], s[16:17], s[2:3]
	v_perm_b32 v53, v53, v54, s88
	v_perm_b32 v52, v55, v52, s88
	;; [unrolled: 1-line block ×4, first 2 shown]
	s_and_b64 vcc, vcc, s[2:3]
	v_lshl_or_b32 v53, v52, 16, v53
	v_lshl_or_b32 v52, v2, 16, v1
	v_cndmask_b32_e64 v83, v84, v83, s[26:27]
	v_cndmask_b32_e64 v72, v72, v73, s[24:25]
	;; [unrolled: 1-line block ×9, first 2 shown]
	v_cndmask_b32_e32 v59, v86, v81, vcc
	s_barrier
	ds_write_b64 v5, v[52:53]
	s_waitcnt lgkmcnt(0)
	s_barrier
	ds_read_u8 v1, v56
	ds_read_u8 v52, v59
	;; [unrolled: 1-line block ×8, first 2 shown]
	v_lshlrev_b16_e32 v56, 8, v60
	v_cndmask_b32_e32 v57, v82, v85, vcc
	v_or_b32_sdwa v56, v58, v56 dst_sel:DWORD dst_unused:UNUSED_PAD src0_sel:BYTE_0 src1_sel:DWORD
	v_lshlrev_b16_e32 v58, 8, v68
	v_or_b32_sdwa v58, v64, v58 dst_sel:WORD_1 dst_unused:UNUSED_PAD src0_sel:BYTE_0 src1_sel:DWORD
	v_lshlrev_b16_e32 v57, 8, v57
	v_or_b32_sdwa v56, v56, v58 dst_sel:DWORD dst_unused:UNUSED_PAD src0_sel:WORD_0 src1_sel:DWORD
	v_or_b32_sdwa v58, v72, v76 dst_sel:DWORD dst_unused:UNUSED_PAD src0_sel:BYTE_0 src1_sel:DWORD
	v_or_b32_sdwa v57, v80, v57 dst_sel:WORD_1 dst_unused:UNUSED_PAD src0_sel:BYTE_0 src1_sel:DWORD
	v_or_b32_sdwa v57, v58, v57 dst_sel:DWORD dst_unused:UNUSED_PAD src0_sel:WORD_0 src1_sel:DWORD
	s_waitcnt lgkmcnt(0)
	s_barrier
	ds_write_b64 v5, v[56:57]
	v_mov_b32_e32 v57, v45
	s_waitcnt lgkmcnt(0)
	s_barrier
	s_and_saveexec_b64 s[16:17], s[12:13]
	s_cbranch_execz .LBB109_198
; %bb.195:                              ;   in Loop: Header=BB109_2 Depth=1
	s_mov_b64 s[18:19], 0
	v_mov_b32_e32 v57, v45
	v_mov_b32_e32 v56, v46
.LBB109_196:                            ;   Parent Loop BB109_2 Depth=1
                                        ; =>  This Inner Loop Header: Depth=2
	v_sub_u32_e32 v58, v56, v57
	v_lshrrev_b32_e32 v58, 1, v58
	v_add_u32_e32 v58, v58, v57
	v_add_u32_e32 v59, v12, v58
	v_xad_u32 v60, v58, -1, v47
	ds_read_u8 v59, v59
	ds_read_u8 v60, v60
	v_add_u32_e32 v61, 1, v58
	s_waitcnt lgkmcnt(0)
	v_cmp_lt_u16_e32 vcc, v60, v59
	v_cndmask_b32_e32 v56, v56, v58, vcc
	v_cndmask_b32_e32 v57, v61, v57, vcc
	v_cmp_ge_i32_e32 vcc, v57, v56
	s_or_b64 s[18:19], vcc, s[18:19]
	s_andn2_b64 exec, exec, s[18:19]
	s_cbranch_execnz .LBB109_196
; %bb.197:                              ;   in Loop: Header=BB109_2 Depth=1
	s_or_b64 exec, exec, s[18:19]
.LBB109_198:                            ;   in Loop: Header=BB109_2 Depth=1
	s_or_b64 exec, exec, s[16:17]
	v_add_u32_e32 v56, v57, v12
	v_sub_u32_e32 v57, v47, v57
	ds_read_u8 v58, v56
	ds_read_u8 v59, v57
	v_cmp_le_i32_e64 s[16:17], v25, v56
	v_cmp_gt_i32_e32 vcc, v26, v57
                                        ; implicit-def: $vgpr60
	s_waitcnt lgkmcnt(0)
	v_cmp_lt_u16_sdwa s[2:3], v59, v58 src0_sel:BYTE_0 src1_sel:BYTE_0
	s_or_b64 s[2:3], s[16:17], s[2:3]
	s_and_b64 s[16:17], vcc, s[2:3]
	s_xor_b64 s[2:3], s[16:17], -1
	s_and_saveexec_b64 s[18:19], s[2:3]
	s_xor_b64 s[18:19], exec, s[18:19]
; %bb.199:                              ;   in Loop: Header=BB109_2 Depth=1
	ds_read_u8 v60, v56 offset:1
; %bb.200:                              ;   in Loop: Header=BB109_2 Depth=1
	s_or_saveexec_b64 s[18:19], s[18:19]
	v_mov_b32_e32 v61, v59
	s_xor_b64 exec, exec, s[18:19]
	s_cbranch_execz .LBB109_202
; %bb.201:                              ;   in Loop: Header=BB109_2 Depth=1
	ds_read_u8 v61, v57 offset:1
	s_waitcnt lgkmcnt(1)
	v_mov_b32_e32 v60, v58
.LBB109_202:                            ;   in Loop: Header=BB109_2 Depth=1
	s_or_b64 exec, exec, s[18:19]
	v_add_u32_e32 v63, 1, v56
	v_add_u32_e32 v62, 1, v57
	v_cndmask_b32_e64 v63, v63, v56, s[16:17]
	v_cndmask_b32_e64 v62, v57, v62, s[16:17]
	v_cmp_ge_i32_e64 s[18:19], v63, v25
	s_waitcnt lgkmcnt(0)
	v_cmp_lt_u16_sdwa s[2:3], v61, v60 src0_sel:BYTE_0 src1_sel:BYTE_0
	v_cmp_lt_i32_e32 vcc, v62, v26
	s_or_b64 s[2:3], s[18:19], s[2:3]
	s_and_b64 s[18:19], vcc, s[2:3]
	s_xor_b64 s[2:3], s[18:19], -1
                                        ; implicit-def: $vgpr64
	s_and_saveexec_b64 s[20:21], s[2:3]
	s_xor_b64 s[20:21], exec, s[20:21]
; %bb.203:                              ;   in Loop: Header=BB109_2 Depth=1
	ds_read_u8 v64, v63 offset:1
; %bb.204:                              ;   in Loop: Header=BB109_2 Depth=1
	s_or_saveexec_b64 s[20:21], s[20:21]
	v_mov_b32_e32 v65, v61
	s_xor_b64 exec, exec, s[20:21]
	s_cbranch_execz .LBB109_206
; %bb.205:                              ;   in Loop: Header=BB109_2 Depth=1
	ds_read_u8 v65, v62 offset:1
	s_waitcnt lgkmcnt(1)
	v_mov_b32_e32 v64, v60
.LBB109_206:                            ;   in Loop: Header=BB109_2 Depth=1
	s_or_b64 exec, exec, s[20:21]
	v_add_u32_e32 v67, 1, v63
	v_add_u32_e32 v66, 1, v62
	v_cndmask_b32_e64 v67, v67, v63, s[18:19]
	v_cndmask_b32_e64 v66, v62, v66, s[18:19]
	v_cmp_ge_i32_e64 s[20:21], v67, v25
	s_waitcnt lgkmcnt(0)
	v_cmp_lt_u16_sdwa s[2:3], v65, v64 src0_sel:BYTE_0 src1_sel:BYTE_0
	v_cmp_lt_i32_e32 vcc, v66, v26
	s_or_b64 s[2:3], s[20:21], s[2:3]
	s_and_b64 s[20:21], vcc, s[2:3]
	s_xor_b64 s[2:3], s[20:21], -1
                                        ; implicit-def: $vgpr68
	s_and_saveexec_b64 s[22:23], s[2:3]
	s_xor_b64 s[22:23], exec, s[22:23]
; %bb.207:                              ;   in Loop: Header=BB109_2 Depth=1
	ds_read_u8 v68, v67 offset:1
; %bb.208:                              ;   in Loop: Header=BB109_2 Depth=1
	s_or_saveexec_b64 s[22:23], s[22:23]
	v_mov_b32_e32 v69, v65
	s_xor_b64 exec, exec, s[22:23]
	s_cbranch_execz .LBB109_210
; %bb.209:                              ;   in Loop: Header=BB109_2 Depth=1
	ds_read_u8 v69, v66 offset:1
	s_waitcnt lgkmcnt(1)
	v_mov_b32_e32 v68, v64
.LBB109_210:                            ;   in Loop: Header=BB109_2 Depth=1
	s_or_b64 exec, exec, s[22:23]
	v_add_u32_e32 v71, 1, v67
	v_add_u32_e32 v70, 1, v66
	v_cndmask_b32_e64 v71, v71, v67, s[20:21]
	v_cndmask_b32_e64 v70, v66, v70, s[20:21]
	v_cmp_ge_i32_e64 s[22:23], v71, v25
	s_waitcnt lgkmcnt(0)
	v_cmp_lt_u16_sdwa s[2:3], v69, v68 src0_sel:BYTE_0 src1_sel:BYTE_0
	v_cmp_lt_i32_e32 vcc, v70, v26
	s_or_b64 s[2:3], s[22:23], s[2:3]
	s_and_b64 s[22:23], vcc, s[2:3]
	s_xor_b64 s[2:3], s[22:23], -1
                                        ; implicit-def: $vgpr72
	s_and_saveexec_b64 s[24:25], s[2:3]
	s_xor_b64 s[24:25], exec, s[24:25]
; %bb.211:                              ;   in Loop: Header=BB109_2 Depth=1
	ds_read_u8 v72, v71 offset:1
; %bb.212:                              ;   in Loop: Header=BB109_2 Depth=1
	s_or_saveexec_b64 s[24:25], s[24:25]
	v_mov_b32_e32 v73, v69
	s_xor_b64 exec, exec, s[24:25]
	s_cbranch_execz .LBB109_214
; %bb.213:                              ;   in Loop: Header=BB109_2 Depth=1
	ds_read_u8 v73, v70 offset:1
	s_waitcnt lgkmcnt(1)
	v_mov_b32_e32 v72, v68
.LBB109_214:                            ;   in Loop: Header=BB109_2 Depth=1
	s_or_b64 exec, exec, s[24:25]
	v_add_u32_e32 v75, 1, v71
	v_add_u32_e32 v74, 1, v70
	v_cndmask_b32_e64 v75, v75, v71, s[22:23]
	v_cndmask_b32_e64 v74, v70, v74, s[22:23]
	v_cmp_ge_i32_e64 s[24:25], v75, v25
	s_waitcnt lgkmcnt(0)
	v_cmp_lt_u16_sdwa s[2:3], v73, v72 src0_sel:BYTE_0 src1_sel:BYTE_0
	v_cmp_lt_i32_e32 vcc, v74, v26
	s_or_b64 s[2:3], s[24:25], s[2:3]
	s_and_b64 s[24:25], vcc, s[2:3]
	s_xor_b64 s[2:3], s[24:25], -1
                                        ; implicit-def: $vgpr76
	s_and_saveexec_b64 s[26:27], s[2:3]
	s_xor_b64 s[26:27], exec, s[26:27]
; %bb.215:                              ;   in Loop: Header=BB109_2 Depth=1
	ds_read_u8 v76, v75 offset:1
; %bb.216:                              ;   in Loop: Header=BB109_2 Depth=1
	s_or_saveexec_b64 s[26:27], s[26:27]
	v_mov_b32_e32 v77, v73
	s_xor_b64 exec, exec, s[26:27]
	s_cbranch_execz .LBB109_218
; %bb.217:                              ;   in Loop: Header=BB109_2 Depth=1
	ds_read_u8 v77, v74 offset:1
	s_waitcnt lgkmcnt(1)
	v_mov_b32_e32 v76, v72
.LBB109_218:                            ;   in Loop: Header=BB109_2 Depth=1
	s_or_b64 exec, exec, s[26:27]
	v_add_u32_e32 v79, 1, v75
	v_add_u32_e32 v78, 1, v74
	v_cndmask_b32_e64 v79, v79, v75, s[24:25]
	v_cndmask_b32_e64 v78, v74, v78, s[24:25]
	v_cmp_ge_i32_e64 s[26:27], v79, v25
	s_waitcnt lgkmcnt(0)
	v_cmp_lt_u16_sdwa s[2:3], v77, v76 src0_sel:BYTE_0 src1_sel:BYTE_0
	v_cmp_lt_i32_e32 vcc, v78, v26
	s_or_b64 s[2:3], s[26:27], s[2:3]
	s_and_b64 vcc, vcc, s[2:3]
	s_xor_b64 s[2:3], vcc, -1
                                        ; implicit-def: $vgpr80
	s_and_saveexec_b64 s[26:27], s[2:3]
	s_xor_b64 s[26:27], exec, s[26:27]
; %bb.219:                              ;   in Loop: Header=BB109_2 Depth=1
	ds_read_u8 v80, v79 offset:1
; %bb.220:                              ;   in Loop: Header=BB109_2 Depth=1
	s_or_saveexec_b64 s[26:27], s[26:27]
	v_mov_b32_e32 v81, v77
	s_xor_b64 exec, exec, s[26:27]
	s_cbranch_execz .LBB109_222
; %bb.221:                              ;   in Loop: Header=BB109_2 Depth=1
	ds_read_u8 v81, v78 offset:1
	s_waitcnt lgkmcnt(1)
	v_mov_b32_e32 v80, v76
.LBB109_222:                            ;   in Loop: Header=BB109_2 Depth=1
	s_or_b64 exec, exec, s[26:27]
	v_add_u32_e32 v84, 1, v79
	v_add_u32_e32 v82, 1, v78
	v_cndmask_b32_e32 v84, v84, v79, vcc
	v_cndmask_b32_e32 v83, v78, v82, vcc
	v_cmp_ge_i32_e64 s[28:29], v84, v25
	s_waitcnt lgkmcnt(0)
	v_cmp_lt_u16_sdwa s[2:3], v81, v80 src0_sel:BYTE_0 src1_sel:BYTE_0
	v_cmp_lt_i32_e64 s[26:27], v83, v26
	s_or_b64 s[2:3], s[28:29], s[2:3]
	s_and_b64 s[26:27], s[26:27], s[2:3]
	s_xor_b64 s[2:3], s[26:27], -1
                                        ; implicit-def: $vgpr82
	s_and_saveexec_b64 s[28:29], s[2:3]
	s_xor_b64 s[28:29], exec, s[28:29]
; %bb.223:                              ;   in Loop: Header=BB109_2 Depth=1
	ds_read_u8 v82, v84 offset:1
; %bb.224:                              ;   in Loop: Header=BB109_2 Depth=1
	s_or_saveexec_b64 s[28:29], s[28:29]
	v_mov_b32_e32 v85, v81
	s_xor_b64 exec, exec, s[28:29]
	s_cbranch_execz .LBB109_226
; %bb.225:                              ;   in Loop: Header=BB109_2 Depth=1
	ds_read_u8 v85, v83 offset:1
	s_waitcnt lgkmcnt(1)
	v_mov_b32_e32 v82, v80
.LBB109_226:                            ;   in Loop: Header=BB109_2 Depth=1
	s_or_b64 exec, exec, s[28:29]
	v_add_u32_e32 v86, 1, v84
	v_cndmask_b32_e64 v80, v80, v81, s[26:27]
	v_add_u32_e32 v81, 1, v83
	v_cndmask_b32_e64 v86, v86, v84, s[26:27]
	v_cndmask_b32_e64 v81, v83, v81, s[26:27]
	;; [unrolled: 1-line block ×4, first 2 shown]
	v_cmp_ge_i32_e64 s[16:17], v86, v25
	s_waitcnt lgkmcnt(0)
	v_cmp_lt_u16_sdwa s[2:3], v85, v82 src0_sel:BYTE_0 src1_sel:BYTE_0
	v_cndmask_b32_sdwa v76, v76, v77, vcc dst_sel:BYTE_1 dst_unused:UNUSED_PAD src0_sel:DWORD src1_sel:DWORD
	v_cndmask_b32_e32 v77, v79, v78, vcc
	v_cmp_lt_i32_e32 vcc, v81, v26
	s_or_b64 s[2:3], s[16:17], s[2:3]
	v_perm_b32 v53, v53, v54, s88
	v_perm_b32 v52, v55, v52, s88
	;; [unrolled: 1-line block ×4, first 2 shown]
	s_and_b64 vcc, vcc, s[2:3]
	v_lshl_or_b32 v53, v52, 16, v53
	v_lshl_or_b32 v52, v2, 16, v1
	v_cndmask_b32_e64 v83, v84, v83, s[26:27]
	v_cndmask_b32_e64 v72, v72, v73, s[24:25]
	;; [unrolled: 1-line block ×9, first 2 shown]
	v_cndmask_b32_e32 v59, v86, v81, vcc
	s_barrier
	ds_write_b64 v5, v[52:53]
	s_waitcnt lgkmcnt(0)
	s_barrier
	ds_read_u8 v1, v56
	ds_read_u8 v52, v59
	;; [unrolled: 1-line block ×8, first 2 shown]
	v_lshlrev_b16_e32 v56, 8, v60
	v_cndmask_b32_e32 v57, v82, v85, vcc
	v_or_b32_sdwa v56, v58, v56 dst_sel:DWORD dst_unused:UNUSED_PAD src0_sel:BYTE_0 src1_sel:DWORD
	v_lshlrev_b16_e32 v58, 8, v68
	v_or_b32_sdwa v58, v64, v58 dst_sel:WORD_1 dst_unused:UNUSED_PAD src0_sel:BYTE_0 src1_sel:DWORD
	v_lshlrev_b16_e32 v57, 8, v57
	v_or_b32_sdwa v56, v56, v58 dst_sel:DWORD dst_unused:UNUSED_PAD src0_sel:WORD_0 src1_sel:DWORD
	v_or_b32_sdwa v58, v72, v76 dst_sel:DWORD dst_unused:UNUSED_PAD src0_sel:BYTE_0 src1_sel:DWORD
	v_or_b32_sdwa v57, v80, v57 dst_sel:WORD_1 dst_unused:UNUSED_PAD src0_sel:BYTE_0 src1_sel:DWORD
	v_or_b32_sdwa v57, v58, v57 dst_sel:DWORD dst_unused:UNUSED_PAD src0_sel:WORD_0 src1_sel:DWORD
	s_waitcnt lgkmcnt(0)
	s_barrier
	ds_write_b64 v5, v[56:57]
	v_mov_b32_e32 v56, v49
	s_waitcnt lgkmcnt(0)
	s_barrier
	s_and_saveexec_b64 s[16:17], s[14:15]
	s_cbranch_execz .LBB109_230
; %bb.227:                              ;   in Loop: Header=BB109_2 Depth=1
	s_mov_b64 s[18:19], 0
	v_mov_b32_e32 v56, v49
	v_mov_b32_e32 v57, v50
.LBB109_228:                            ;   Parent Loop BB109_2 Depth=1
                                        ; =>  This Inner Loop Header: Depth=2
	v_sub_u32_e32 v58, v57, v56
	v_lshrrev_b32_e32 v58, 1, v58
	v_add_u32_e32 v58, v58, v56
	v_xad_u32 v59, v58, -1, v51
	ds_read_u8 v60, v58
	ds_read_u8 v59, v59
	v_add_u32_e32 v61, 1, v58
	s_waitcnt lgkmcnt(0)
	v_cmp_lt_u16_e32 vcc, v59, v60
	v_cndmask_b32_e32 v57, v57, v58, vcc
	v_cndmask_b32_e32 v56, v61, v56, vcc
	v_cmp_ge_i32_e32 vcc, v56, v57
	s_or_b64 s[18:19], vcc, s[18:19]
	s_andn2_b64 exec, exec, s[18:19]
	s_cbranch_execnz .LBB109_228
; %bb.229:                              ;   in Loop: Header=BB109_2 Depth=1
	s_or_b64 exec, exec, s[18:19]
.LBB109_230:                            ;   in Loop: Header=BB109_2 Depth=1
	s_or_b64 exec, exec, s[16:17]
	v_sub_u32_e32 v57, v51, v56
	ds_read_u8 v58, v56
	ds_read_u8 v59, v57
	v_cmp_le_i32_e64 s[16:17], v48, v56
	v_cmp_gt_i32_e32 vcc, s1, v57
                                        ; implicit-def: $vgpr60
	s_waitcnt lgkmcnt(0)
	v_cmp_lt_u16_sdwa s[2:3], v59, v58 src0_sel:BYTE_0 src1_sel:BYTE_0
	s_or_b64 s[2:3], s[16:17], s[2:3]
	s_and_b64 vcc, vcc, s[2:3]
	s_xor_b64 s[2:3], vcc, -1
	s_and_saveexec_b64 s[16:17], s[2:3]
	s_xor_b64 s[16:17], exec, s[16:17]
; %bb.231:                              ;   in Loop: Header=BB109_2 Depth=1
	ds_read_u8 v60, v56 offset:1
; %bb.232:                              ;   in Loop: Header=BB109_2 Depth=1
	s_or_saveexec_b64 s[16:17], s[16:17]
	v_mov_b32_e32 v61, v59
	s_xor_b64 exec, exec, s[16:17]
	s_cbranch_execz .LBB109_234
; %bb.233:                              ;   in Loop: Header=BB109_2 Depth=1
	ds_read_u8 v61, v57 offset:1
	s_waitcnt lgkmcnt(1)
	v_mov_b32_e32 v60, v58
.LBB109_234:                            ;   in Loop: Header=BB109_2 Depth=1
	s_or_b64 exec, exec, s[16:17]
	v_add_u32_e32 v63, 1, v56
	v_add_u32_e32 v62, 1, v57
	v_cndmask_b32_e32 v63, v63, v56, vcc
	v_cndmask_b32_e32 v62, v57, v62, vcc
	v_cmp_ge_i32_e64 s[18:19], v63, v48
	s_waitcnt lgkmcnt(0)
	v_cmp_lt_u16_sdwa s[2:3], v61, v60 src0_sel:BYTE_0 src1_sel:BYTE_0
	v_cmp_gt_i32_e64 s[16:17], s1, v62
	s_or_b64 s[2:3], s[18:19], s[2:3]
	s_and_b64 s[16:17], s[16:17], s[2:3]
	s_xor_b64 s[2:3], s[16:17], -1
                                        ; implicit-def: $vgpr64
	s_and_saveexec_b64 s[18:19], s[2:3]
	s_xor_b64 s[18:19], exec, s[18:19]
; %bb.235:                              ;   in Loop: Header=BB109_2 Depth=1
	ds_read_u8 v64, v63 offset:1
; %bb.236:                              ;   in Loop: Header=BB109_2 Depth=1
	s_or_saveexec_b64 s[18:19], s[18:19]
	v_mov_b32_e32 v65, v61
	s_xor_b64 exec, exec, s[18:19]
	s_cbranch_execz .LBB109_238
; %bb.237:                              ;   in Loop: Header=BB109_2 Depth=1
	ds_read_u8 v65, v62 offset:1
	s_waitcnt lgkmcnt(1)
	v_mov_b32_e32 v64, v60
.LBB109_238:                            ;   in Loop: Header=BB109_2 Depth=1
	s_or_b64 exec, exec, s[18:19]
	v_add_u32_e32 v67, 1, v63
	v_add_u32_e32 v66, 1, v62
	v_cndmask_b32_e64 v67, v67, v63, s[16:17]
	v_cndmask_b32_e64 v66, v62, v66, s[16:17]
	v_cmp_ge_i32_e64 s[20:21], v67, v48
	s_waitcnt lgkmcnt(0)
	v_cmp_lt_u16_sdwa s[2:3], v65, v64 src0_sel:BYTE_0 src1_sel:BYTE_0
	v_cmp_gt_i32_e64 s[18:19], s1, v66
	s_or_b64 s[2:3], s[20:21], s[2:3]
	s_and_b64 s[18:19], s[18:19], s[2:3]
	s_xor_b64 s[2:3], s[18:19], -1
                                        ; implicit-def: $vgpr68
	s_and_saveexec_b64 s[20:21], s[2:3]
	s_xor_b64 s[20:21], exec, s[20:21]
; %bb.239:                              ;   in Loop: Header=BB109_2 Depth=1
	ds_read_u8 v68, v67 offset:1
; %bb.240:                              ;   in Loop: Header=BB109_2 Depth=1
	s_or_saveexec_b64 s[20:21], s[20:21]
	v_mov_b32_e32 v69, v65
	s_xor_b64 exec, exec, s[20:21]
	s_cbranch_execz .LBB109_242
; %bb.241:                              ;   in Loop: Header=BB109_2 Depth=1
	ds_read_u8 v69, v66 offset:1
	s_waitcnt lgkmcnt(1)
	v_mov_b32_e32 v68, v64
.LBB109_242:                            ;   in Loop: Header=BB109_2 Depth=1
	s_or_b64 exec, exec, s[20:21]
	v_add_u32_e32 v71, 1, v67
	v_add_u32_e32 v70, 1, v66
	v_cndmask_b32_e64 v71, v71, v67, s[18:19]
	v_cndmask_b32_e64 v70, v66, v70, s[18:19]
	v_cmp_ge_i32_e64 s[22:23], v71, v48
	s_waitcnt lgkmcnt(0)
	v_cmp_lt_u16_sdwa s[2:3], v69, v68 src0_sel:BYTE_0 src1_sel:BYTE_0
	v_cmp_gt_i32_e64 s[20:21], s1, v70
	s_or_b64 s[2:3], s[22:23], s[2:3]
	s_and_b64 s[20:21], s[20:21], s[2:3]
	s_xor_b64 s[2:3], s[20:21], -1
                                        ; implicit-def: $vgpr72
	s_and_saveexec_b64 s[22:23], s[2:3]
	s_xor_b64 s[22:23], exec, s[22:23]
; %bb.243:                              ;   in Loop: Header=BB109_2 Depth=1
	ds_read_u8 v72, v71 offset:1
; %bb.244:                              ;   in Loop: Header=BB109_2 Depth=1
	s_or_saveexec_b64 s[22:23], s[22:23]
	v_mov_b32_e32 v73, v69
	s_xor_b64 exec, exec, s[22:23]
	s_cbranch_execz .LBB109_246
; %bb.245:                              ;   in Loop: Header=BB109_2 Depth=1
	ds_read_u8 v73, v70 offset:1
	s_waitcnt lgkmcnt(1)
	v_mov_b32_e32 v72, v68
.LBB109_246:                            ;   in Loop: Header=BB109_2 Depth=1
	s_or_b64 exec, exec, s[22:23]
	v_add_u32_e32 v75, 1, v71
	v_add_u32_e32 v74, 1, v70
	v_cndmask_b32_e64 v75, v75, v71, s[20:21]
	v_cndmask_b32_e64 v74, v70, v74, s[20:21]
	v_cmp_ge_i32_e64 s[24:25], v75, v48
	s_waitcnt lgkmcnt(0)
	v_cmp_lt_u16_sdwa s[2:3], v73, v72 src0_sel:BYTE_0 src1_sel:BYTE_0
	v_cmp_gt_i32_e64 s[22:23], s1, v74
	s_or_b64 s[2:3], s[24:25], s[2:3]
	s_and_b64 s[22:23], s[22:23], s[2:3]
	s_xor_b64 s[2:3], s[22:23], -1
                                        ; implicit-def: $vgpr76
	s_and_saveexec_b64 s[24:25], s[2:3]
	s_xor_b64 s[24:25], exec, s[24:25]
; %bb.247:                              ;   in Loop: Header=BB109_2 Depth=1
	ds_read_u8 v76, v75 offset:1
; %bb.248:                              ;   in Loop: Header=BB109_2 Depth=1
	s_or_saveexec_b64 s[24:25], s[24:25]
	v_mov_b32_e32 v77, v73
	s_xor_b64 exec, exec, s[24:25]
	s_cbranch_execz .LBB109_250
; %bb.249:                              ;   in Loop: Header=BB109_2 Depth=1
	ds_read_u8 v77, v74 offset:1
	s_waitcnt lgkmcnt(1)
	v_mov_b32_e32 v76, v72
.LBB109_250:                            ;   in Loop: Header=BB109_2 Depth=1
	s_or_b64 exec, exec, s[24:25]
	v_add_u32_e32 v79, 1, v75
	v_add_u32_e32 v78, 1, v74
	v_cndmask_b32_e64 v79, v79, v75, s[22:23]
	v_cndmask_b32_e64 v78, v74, v78, s[22:23]
	v_cmp_ge_i32_e64 s[26:27], v79, v48
	s_waitcnt lgkmcnt(0)
	v_cmp_lt_u16_sdwa s[2:3], v77, v76 src0_sel:BYTE_0 src1_sel:BYTE_0
	v_cmp_gt_i32_e64 s[24:25], s1, v78
	s_or_b64 s[2:3], s[26:27], s[2:3]
	s_and_b64 s[24:25], s[24:25], s[2:3]
	s_xor_b64 s[2:3], s[24:25], -1
                                        ; implicit-def: $vgpr80
	s_and_saveexec_b64 s[26:27], s[2:3]
	s_xor_b64 s[26:27], exec, s[26:27]
; %bb.251:                              ;   in Loop: Header=BB109_2 Depth=1
	ds_read_u8 v80, v79 offset:1
; %bb.252:                              ;   in Loop: Header=BB109_2 Depth=1
	s_or_saveexec_b64 s[26:27], s[26:27]
	v_mov_b32_e32 v81, v77
	s_xor_b64 exec, exec, s[26:27]
	s_cbranch_execz .LBB109_254
; %bb.253:                              ;   in Loop: Header=BB109_2 Depth=1
	ds_read_u8 v81, v78 offset:1
	s_waitcnt lgkmcnt(1)
	v_mov_b32_e32 v80, v76
.LBB109_254:                            ;   in Loop: Header=BB109_2 Depth=1
	s_or_b64 exec, exec, s[26:27]
	v_add_u32_e32 v83, 1, v79
	v_add_u32_e32 v82, 1, v78
	v_cndmask_b32_e64 v86, v83, v79, s[24:25]
	v_cndmask_b32_e64 v82, v78, v82, s[24:25]
	v_cmp_ge_i32_e64 s[28:29], v86, v48
	s_waitcnt lgkmcnt(0)
	v_cmp_lt_u16_sdwa s[2:3], v81, v80 src0_sel:BYTE_0 src1_sel:BYTE_0
	v_cmp_gt_i32_e64 s[26:27], s1, v82
	s_or_b64 s[2:3], s[28:29], s[2:3]
	s_and_b64 s[26:27], s[26:27], s[2:3]
	s_xor_b64 s[2:3], s[26:27], -1
                                        ; implicit-def: $vgpr85
                                        ; implicit-def: $vgpr84
	s_and_saveexec_b64 s[28:29], s[2:3]
	s_xor_b64 s[28:29], exec, s[28:29]
; %bb.255:                              ;   in Loop: Header=BB109_2 Depth=1
	ds_read_u8 v85, v86 offset:1
	v_add_u32_e32 v84, 1, v86
; %bb.256:                              ;   in Loop: Header=BB109_2 Depth=1
	s_or_saveexec_b64 s[28:29], s[28:29]
	v_mov_b32_e32 v83, v86
	v_mov_b32_e32 v87, v81
	s_xor_b64 exec, exec, s[28:29]
	s_cbranch_execz .LBB109_1
; %bb.257:                              ;   in Loop: Header=BB109_2 Depth=1
	ds_read_u8 v87, v82 offset:1
	s_waitcnt lgkmcnt(1)
	v_add_u32_e32 v85, 1, v82
	v_mov_b32_e32 v83, v82
	v_mov_b32_e32 v84, v86
	;; [unrolled: 1-line block ×4, first 2 shown]
	s_branch .LBB109_1
.LBB109_258:
	v_readlane_b32 s0, v88, 1
	v_readlane_b32 s2, v88, 3
	;; [unrolled: 1-line block ×5, first 2 shown]
	s_add_u32 s0, s2, s0
	s_addc_u32 s1, s3, 0
	v_mov_b32_e32 v1, s1
	v_add_co_u32_e32 v0, vcc, s0, v0
	v_add_u16_e32 v2, v58, v52
	v_addc_co_u32_e32 v1, vcc, 0, v1, vcc
	v_add_u16_e32 v3, v59, v55
	v_add_u16_e32 v4, v60, v57
	;; [unrolled: 1-line block ×7, first 2 shown]
	global_store_byte v[0:1], v2, off
	global_store_byte v[0:1], v3, off offset:256
	global_store_byte v[0:1], v4, off offset:512
	;; [unrolled: 1-line block ×7, first 2 shown]
	s_endpgm
	.section	.rodata,"a",@progbits
	.p2align	6, 0x0
	.amdhsa_kernel _Z17sort_pairs_kernelIhLj256ELj8EN10test_utils4lessELj10EEvPKT_PS2_T2_
		.amdhsa_group_segment_fixed_size 2049
		.amdhsa_private_segment_fixed_size 0
		.amdhsa_kernarg_size 20
		.amdhsa_user_sgpr_count 6
		.amdhsa_user_sgpr_private_segment_buffer 1
		.amdhsa_user_sgpr_dispatch_ptr 0
		.amdhsa_user_sgpr_queue_ptr 0
		.amdhsa_user_sgpr_kernarg_segment_ptr 1
		.amdhsa_user_sgpr_dispatch_id 0
		.amdhsa_user_sgpr_flat_scratch_init 0
		.amdhsa_user_sgpr_private_segment_size 0
		.amdhsa_uses_dynamic_stack 0
		.amdhsa_system_sgpr_private_segment_wavefront_offset 0
		.amdhsa_system_sgpr_workgroup_id_x 1
		.amdhsa_system_sgpr_workgroup_id_y 0
		.amdhsa_system_sgpr_workgroup_id_z 0
		.amdhsa_system_sgpr_workgroup_info 0
		.amdhsa_system_vgpr_workitem_id 0
		.amdhsa_next_free_vgpr 89
		.amdhsa_next_free_sgpr 96
		.amdhsa_reserve_vcc 1
		.amdhsa_reserve_flat_scratch 0
		.amdhsa_float_round_mode_32 0
		.amdhsa_float_round_mode_16_64 0
		.amdhsa_float_denorm_mode_32 3
		.amdhsa_float_denorm_mode_16_64 3
		.amdhsa_dx10_clamp 1
		.amdhsa_ieee_mode 1
		.amdhsa_fp16_overflow 0
		.amdhsa_exception_fp_ieee_invalid_op 0
		.amdhsa_exception_fp_denorm_src 0
		.amdhsa_exception_fp_ieee_div_zero 0
		.amdhsa_exception_fp_ieee_overflow 0
		.amdhsa_exception_fp_ieee_underflow 0
		.amdhsa_exception_fp_ieee_inexact 0
		.amdhsa_exception_int_div_zero 0
	.end_amdhsa_kernel
	.section	.text._Z17sort_pairs_kernelIhLj256ELj8EN10test_utils4lessELj10EEvPKT_PS2_T2_,"axG",@progbits,_Z17sort_pairs_kernelIhLj256ELj8EN10test_utils4lessELj10EEvPKT_PS2_T2_,comdat
.Lfunc_end109:
	.size	_Z17sort_pairs_kernelIhLj256ELj8EN10test_utils4lessELj10EEvPKT_PS2_T2_, .Lfunc_end109-_Z17sort_pairs_kernelIhLj256ELj8EN10test_utils4lessELj10EEvPKT_PS2_T2_
                                        ; -- End function
	.set _Z17sort_pairs_kernelIhLj256ELj8EN10test_utils4lessELj10EEvPKT_PS2_T2_.num_vgpr, 89
	.set _Z17sort_pairs_kernelIhLj256ELj8EN10test_utils4lessELj10EEvPKT_PS2_T2_.num_agpr, 0
	.set _Z17sort_pairs_kernelIhLj256ELj8EN10test_utils4lessELj10EEvPKT_PS2_T2_.numbered_sgpr, 96
	.set _Z17sort_pairs_kernelIhLj256ELj8EN10test_utils4lessELj10EEvPKT_PS2_T2_.num_named_barrier, 0
	.set _Z17sort_pairs_kernelIhLj256ELj8EN10test_utils4lessELj10EEvPKT_PS2_T2_.private_seg_size, 0
	.set _Z17sort_pairs_kernelIhLj256ELj8EN10test_utils4lessELj10EEvPKT_PS2_T2_.uses_vcc, 1
	.set _Z17sort_pairs_kernelIhLj256ELj8EN10test_utils4lessELj10EEvPKT_PS2_T2_.uses_flat_scratch, 0
	.set _Z17sort_pairs_kernelIhLj256ELj8EN10test_utils4lessELj10EEvPKT_PS2_T2_.has_dyn_sized_stack, 0
	.set _Z17sort_pairs_kernelIhLj256ELj8EN10test_utils4lessELj10EEvPKT_PS2_T2_.has_recursion, 0
	.set _Z17sort_pairs_kernelIhLj256ELj8EN10test_utils4lessELj10EEvPKT_PS2_T2_.has_indirect_call, 0
	.section	.AMDGPU.csdata,"",@progbits
; Kernel info:
; codeLenInByte = 13164
; TotalNumSgprs: 100
; NumVgprs: 89
; ScratchSize: 0
; MemoryBound: 0
; FloatMode: 240
; IeeeMode: 1
; LDSByteSize: 2049 bytes/workgroup (compile time only)
; SGPRBlocks: 12
; VGPRBlocks: 22
; NumSGPRsForWavesPerEU: 100
; NumVGPRsForWavesPerEU: 89
; Occupancy: 2
; WaveLimiterHint : 1
; COMPUTE_PGM_RSRC2:SCRATCH_EN: 0
; COMPUTE_PGM_RSRC2:USER_SGPR: 6
; COMPUTE_PGM_RSRC2:TRAP_HANDLER: 0
; COMPUTE_PGM_RSRC2:TGID_X_EN: 1
; COMPUTE_PGM_RSRC2:TGID_Y_EN: 0
; COMPUTE_PGM_RSRC2:TGID_Z_EN: 0
; COMPUTE_PGM_RSRC2:TIDIG_COMP_CNT: 0
	.section	.text._Z16sort_keys_kernelIhLj512ELj1EN10test_utils4lessELj10EEvPKT_PS2_T2_,"axG",@progbits,_Z16sort_keys_kernelIhLj512ELj1EN10test_utils4lessELj10EEvPKT_PS2_T2_,comdat
	.protected	_Z16sort_keys_kernelIhLj512ELj1EN10test_utils4lessELj10EEvPKT_PS2_T2_ ; -- Begin function _Z16sort_keys_kernelIhLj512ELj1EN10test_utils4lessELj10EEvPKT_PS2_T2_
	.globl	_Z16sort_keys_kernelIhLj512ELj1EN10test_utils4lessELj10EEvPKT_PS2_T2_
	.p2align	8
	.type	_Z16sort_keys_kernelIhLj512ELj1EN10test_utils4lessELj10EEvPKT_PS2_T2_,@function
_Z16sort_keys_kernelIhLj512ELj1EN10test_utils4lessELj10EEvPKT_PS2_T2_: ; @_Z16sort_keys_kernelIhLj512ELj1EN10test_utils4lessELj10EEvPKT_PS2_T2_
; %bb.0:
	s_load_dwordx4 s[20:23], s[4:5], 0x0
	s_lshl_b32 s24, s6, 9
	v_and_b32_e32 v1, 0x1fc, v0
	v_and_b32_e32 v3, 0x1f8, v0
	;; [unrolled: 1-line block ×3, first 2 shown]
	s_waitcnt lgkmcnt(0)
	s_add_u32 s0, s20, s24
	s_addc_u32 s1, s21, 0
	global_load_ubyte v53, v0, s[0:1]
	v_and_b32_e32 v7, 0x1e0, v0
	v_and_b32_e32 v9, 0x1c0, v0
	;; [unrolled: 1-line block ×4, first 2 shown]
	v_or_b32_e32 v23, 2, v1
	v_add_u32_e32 v2, 4, v1
	v_or_b32_e32 v27, 4, v3
	v_add_u32_e32 v4, 8, v3
	;; [unrolled: 2-line block ×7, first 2 shown]
	v_and_b32_e32 v24, 3, v0
	v_sub_u32_e32 v21, v2, v23
	v_and_b32_e32 v28, 7, v0
	v_sub_u32_e32 v25, v4, v27
	;; [unrolled: 2-line block ×6, first 2 shown]
	v_sub_u32_e32 v45, v14, v48
	v_and_b32_e32 v16, 0x1fe, v0
	v_sub_u32_e32 v22, v24, v21
	v_sub_u32_e32 v26, v28, v25
	;; [unrolled: 1-line block ×6, first 2 shown]
	v_sub_u32_sdwa v46, v0, v45 dst_sel:DWORD dst_unused:UNUSED_PAD src0_sel:BYTE_0 src1_sel:DWORD
	v_and_b32_e32 v20, 1, v0
	v_or_b32_e32 v17, 1, v16
	v_cmp_ge_i32_e64 s[0:1], v24, v21
	v_cmp_ge_i32_e64 s[2:3], v28, v25
	;; [unrolled: 1-line block ×6, first 2 shown]
	v_cmp_ge_i32_sdwa s[12:13], v0, v45 src0_sel:BYTE_0 src1_sel:DWORD
	v_add_u32_e32 v15, -1, v20
	v_cmp_lt_i32_e32 vcc, 0, v20
	v_sub_u32_e32 v18, v17, v16
	v_cndmask_b32_e64 v21, 0, v22, s[0:1]
	v_sub_u32_e32 v22, v23, v1
	v_cndmask_b32_e64 v25, 0, v26, s[2:3]
	;; [unrolled: 2-line block ×7, first 2 shown]
	v_sub_u32_e32 v46, v48, v13
	v_mov_b32_e32 v49, 0x100
	v_cndmask_b32_e32 v15, 0, v15, vcc
	v_min_i32_e32 v19, v20, v18
	v_add_u32_e32 v23, v23, v24
	v_min_i32_e32 v24, v24, v22
	v_add_u32_e32 v27, v27, v28
	v_min_i32_e32 v28, v28, v26
	v_add_u32_e32 v31, v31, v32
	v_min_i32_e32 v32, v32, v30
	v_add_u32_e32 v35, v35, v36
	v_min_i32_e32 v36, v36, v34
	v_add_u32_e32 v39, v39, v40
	v_min_i32_e32 v40, v40, v38
	v_add_u32_e32 v43, v43, v44
	v_min_i32_e32 v44, v44, v42
	v_min_i32_sdwa v47, v0, v46 dst_sel:DWORD dst_unused:UNUSED_PAD src0_sel:BYTE_0 src1_sel:DWORD
	v_sub_u32_e64 v50, v0, v49 clamp
	v_min_i32_e32 v51, 0x100, v0
	s_mov_b32 s25, 0
	v_cmp_lt_i32_e32 vcc, v15, v19
	v_add_u32_e32 v20, v17, v20
	v_cmp_lt_i32_e64 s[0:1], v21, v24
	v_cmp_lt_i32_e64 s[2:3], v25, v28
	;; [unrolled: 1-line block ×7, first 2 shown]
	v_add_u32_sdwa v48, v48, v0 dst_sel:DWORD dst_unused:UNUSED_PAD src0_sel:DWORD src1_sel:BYTE_0
	v_cmp_lt_i32_e64 s[14:15], v50, v51
	s_movk_i32 s26, 0x200
	v_add_u32_e32 v52, 0x100, v0
	s_branch .LBB110_2
.LBB110_1:                              ;   in Loop: Header=BB110_2 Depth=1
	s_or_b64 exec, exec, s[18:19]
	v_sub_u32_e32 v54, v52, v53
	ds_read_u8 v55, v53
	ds_read_u8 v56, v54
	v_cmp_ge_i32_e64 s[16:17], v53, v49
	v_cmp_gt_i32_e64 s[18:19], s26, v54
	s_add_i32 s25, s25, 1
	s_waitcnt lgkmcnt(0)
	v_cmp_lt_u16_sdwa s[20:21], v56, v55 src0_sel:BYTE_0 src1_sel:BYTE_0
	s_or_b64 s[16:17], s[16:17], s[20:21]
	s_and_b64 s[16:17], s[18:19], s[16:17]
	s_cmp_eq_u32 s25, 10
	v_cndmask_b32_e64 v53, v55, v56, s[16:17]
	s_cbranch_scc1 .LBB110_38
.LBB110_2:                              ; =>This Loop Header: Depth=1
                                        ;     Child Loop BB110_4 Depth 2
                                        ;     Child Loop BB110_8 Depth 2
	;; [unrolled: 1-line block ×9, first 2 shown]
	s_waitcnt vmcnt(0)
	s_barrier
	ds_write_b8 v0, v53
	v_mov_b32_e32 v53, v15
	s_waitcnt lgkmcnt(0)
	s_barrier
	s_and_saveexec_b64 s[18:19], vcc
	s_cbranch_execz .LBB110_6
; %bb.3:                                ;   in Loop: Header=BB110_2 Depth=1
	s_mov_b64 s[20:21], 0
	v_mov_b32_e32 v53, v15
	v_mov_b32_e32 v54, v19
.LBB110_4:                              ;   Parent Loop BB110_2 Depth=1
                                        ; =>  This Inner Loop Header: Depth=2
	v_sub_u32_e32 v55, v54, v53
	v_lshrrev_b32_e32 v55, 1, v55
	v_add_u32_e32 v55, v55, v53
	v_add_u32_e32 v56, v16, v55
	v_xad_u32 v57, v55, -1, v20
	ds_read_u8 v56, v56
	ds_read_u8 v57, v57
	v_add_u32_e32 v58, 1, v55
	s_waitcnt lgkmcnt(0)
	v_cmp_lt_u16_e64 s[16:17], v57, v56
	v_cndmask_b32_e64 v54, v54, v55, s[16:17]
	v_cndmask_b32_e64 v53, v58, v53, s[16:17]
	v_cmp_ge_i32_e64 s[16:17], v53, v54
	s_or_b64 s[20:21], s[16:17], s[20:21]
	s_andn2_b64 exec, exec, s[20:21]
	s_cbranch_execnz .LBB110_4
; %bb.5:                                ;   in Loop: Header=BB110_2 Depth=1
	s_or_b64 exec, exec, s[20:21]
.LBB110_6:                              ;   in Loop: Header=BB110_2 Depth=1
	s_or_b64 exec, exec, s[18:19]
	v_add_u32_e32 v55, v16, v53
	v_sub_u32_e32 v54, v20, v53
	ds_read_u8 v55, v55
	ds_read_u8 v56, v54
	v_cmp_ge_i32_e64 s[16:17], v53, v18
	v_cmp_ge_i32_e64 s[18:19], v17, v54
	s_waitcnt lgkmcnt(0)
	s_barrier
	v_cmp_lt_u16_sdwa s[20:21], v56, v55 src0_sel:BYTE_0 src1_sel:BYTE_0
	s_or_b64 s[16:17], s[16:17], s[20:21]
	s_and_b64 s[16:17], s[18:19], s[16:17]
	v_cndmask_b32_e64 v53, v55, v56, s[16:17]
	ds_write_b8 v0, v53
	v_mov_b32_e32 v53, v21
	s_waitcnt lgkmcnt(0)
	s_barrier
	s_and_saveexec_b64 s[18:19], s[0:1]
	s_cbranch_execz .LBB110_10
; %bb.7:                                ;   in Loop: Header=BB110_2 Depth=1
	s_mov_b64 s[20:21], 0
	v_mov_b32_e32 v53, v21
	v_mov_b32_e32 v54, v24
.LBB110_8:                              ;   Parent Loop BB110_2 Depth=1
                                        ; =>  This Inner Loop Header: Depth=2
	v_sub_u32_e32 v55, v54, v53
	v_lshrrev_b32_e32 v55, 1, v55
	v_add_u32_e32 v55, v55, v53
	v_add_u32_e32 v56, v1, v55
	v_xad_u32 v57, v55, -1, v23
	ds_read_u8 v56, v56
	ds_read_u8 v57, v57
	v_add_u32_e32 v58, 1, v55
	s_waitcnt lgkmcnt(0)
	v_cmp_lt_u16_e64 s[16:17], v57, v56
	v_cndmask_b32_e64 v54, v54, v55, s[16:17]
	v_cndmask_b32_e64 v53, v58, v53, s[16:17]
	v_cmp_ge_i32_e64 s[16:17], v53, v54
	s_or_b64 s[20:21], s[16:17], s[20:21]
	s_andn2_b64 exec, exec, s[20:21]
	s_cbranch_execnz .LBB110_8
; %bb.9:                                ;   in Loop: Header=BB110_2 Depth=1
	s_or_b64 exec, exec, s[20:21]
.LBB110_10:                             ;   in Loop: Header=BB110_2 Depth=1
	s_or_b64 exec, exec, s[18:19]
	v_add_u32_e32 v55, v1, v53
	v_sub_u32_e32 v54, v23, v53
	ds_read_u8 v55, v55
	ds_read_u8 v56, v54
	v_cmp_ge_i32_e64 s[16:17], v53, v22
	v_cmp_gt_i32_e64 s[18:19], v2, v54
	s_waitcnt lgkmcnt(0)
	s_barrier
	v_cmp_lt_u16_sdwa s[20:21], v56, v55 src0_sel:BYTE_0 src1_sel:BYTE_0
	s_or_b64 s[16:17], s[16:17], s[20:21]
	s_and_b64 s[16:17], s[18:19], s[16:17]
	v_cndmask_b32_e64 v53, v55, v56, s[16:17]
	ds_write_b8 v0, v53
	v_mov_b32_e32 v53, v25
	s_waitcnt lgkmcnt(0)
	s_barrier
	s_and_saveexec_b64 s[18:19], s[2:3]
	s_cbranch_execz .LBB110_14
; %bb.11:                               ;   in Loop: Header=BB110_2 Depth=1
	s_mov_b64 s[20:21], 0
	v_mov_b32_e32 v53, v25
	v_mov_b32_e32 v54, v28
.LBB110_12:                             ;   Parent Loop BB110_2 Depth=1
                                        ; =>  This Inner Loop Header: Depth=2
	v_sub_u32_e32 v55, v54, v53
	v_lshrrev_b32_e32 v55, 1, v55
	v_add_u32_e32 v55, v55, v53
	v_add_u32_e32 v56, v3, v55
	v_xad_u32 v57, v55, -1, v27
	ds_read_u8 v56, v56
	ds_read_u8 v57, v57
	v_add_u32_e32 v58, 1, v55
	s_waitcnt lgkmcnt(0)
	v_cmp_lt_u16_e64 s[16:17], v57, v56
	v_cndmask_b32_e64 v54, v54, v55, s[16:17]
	v_cndmask_b32_e64 v53, v58, v53, s[16:17]
	v_cmp_ge_i32_e64 s[16:17], v53, v54
	s_or_b64 s[20:21], s[16:17], s[20:21]
	s_andn2_b64 exec, exec, s[20:21]
	s_cbranch_execnz .LBB110_12
; %bb.13:                               ;   in Loop: Header=BB110_2 Depth=1
	s_or_b64 exec, exec, s[20:21]
.LBB110_14:                             ;   in Loop: Header=BB110_2 Depth=1
	s_or_b64 exec, exec, s[18:19]
	v_add_u32_e32 v55, v3, v53
	v_sub_u32_e32 v54, v27, v53
	ds_read_u8 v55, v55
	ds_read_u8 v56, v54
	v_cmp_ge_i32_e64 s[16:17], v53, v26
	v_cmp_gt_i32_e64 s[18:19], v4, v54
	s_waitcnt lgkmcnt(0)
	s_barrier
	v_cmp_lt_u16_sdwa s[20:21], v56, v55 src0_sel:BYTE_0 src1_sel:BYTE_0
	s_or_b64 s[16:17], s[16:17], s[20:21]
	s_and_b64 s[16:17], s[18:19], s[16:17]
	v_cndmask_b32_e64 v53, v55, v56, s[16:17]
	ds_write_b8 v0, v53
	v_mov_b32_e32 v53, v29
	s_waitcnt lgkmcnt(0)
	s_barrier
	s_and_saveexec_b64 s[18:19], s[4:5]
	s_cbranch_execz .LBB110_18
; %bb.15:                               ;   in Loop: Header=BB110_2 Depth=1
	s_mov_b64 s[20:21], 0
	v_mov_b32_e32 v53, v29
	v_mov_b32_e32 v54, v32
.LBB110_16:                             ;   Parent Loop BB110_2 Depth=1
                                        ; =>  This Inner Loop Header: Depth=2
	v_sub_u32_e32 v55, v54, v53
	v_lshrrev_b32_e32 v55, 1, v55
	v_add_u32_e32 v55, v55, v53
	v_add_u32_e32 v56, v5, v55
	v_xad_u32 v57, v55, -1, v31
	ds_read_u8 v56, v56
	ds_read_u8 v57, v57
	v_add_u32_e32 v58, 1, v55
	s_waitcnt lgkmcnt(0)
	v_cmp_lt_u16_e64 s[16:17], v57, v56
	v_cndmask_b32_e64 v54, v54, v55, s[16:17]
	v_cndmask_b32_e64 v53, v58, v53, s[16:17]
	v_cmp_ge_i32_e64 s[16:17], v53, v54
	s_or_b64 s[20:21], s[16:17], s[20:21]
	s_andn2_b64 exec, exec, s[20:21]
	s_cbranch_execnz .LBB110_16
; %bb.17:                               ;   in Loop: Header=BB110_2 Depth=1
	s_or_b64 exec, exec, s[20:21]
.LBB110_18:                             ;   in Loop: Header=BB110_2 Depth=1
	;; [unrolled: 44-line block ×6, first 2 shown]
	s_or_b64 exec, exec, s[18:19]
	v_add_u32_e32 v55, v13, v53
	v_sub_u32_e32 v54, v48, v53
	ds_read_u8 v55, v55
	ds_read_u8 v56, v54
	v_cmp_ge_i32_e64 s[16:17], v53, v46
	v_cmp_gt_i32_e64 s[18:19], v14, v54
	s_waitcnt lgkmcnt(0)
	s_barrier
	v_cmp_lt_u16_sdwa s[20:21], v56, v55 src0_sel:BYTE_0 src1_sel:BYTE_0
	s_or_b64 s[16:17], s[16:17], s[20:21]
	s_and_b64 s[16:17], s[18:19], s[16:17]
	v_cndmask_b32_e64 v53, v55, v56, s[16:17]
	ds_write_b8 v0, v53
	v_mov_b32_e32 v53, v50
	s_waitcnt lgkmcnt(0)
	s_barrier
	s_and_saveexec_b64 s[18:19], s[14:15]
	s_cbranch_execz .LBB110_1
; %bb.35:                               ;   in Loop: Header=BB110_2 Depth=1
	s_mov_b64 s[20:21], 0
	v_mov_b32_e32 v53, v50
	v_mov_b32_e32 v54, v51
.LBB110_36:                             ;   Parent Loop BB110_2 Depth=1
                                        ; =>  This Inner Loop Header: Depth=2
	v_sub_u32_e32 v55, v54, v53
	v_lshrrev_b32_e32 v55, 1, v55
	v_add_u32_e32 v55, v55, v53
	v_xad_u32 v56, v55, -1, v52
	ds_read_u8 v57, v55
	ds_read_u8 v56, v56
	v_add_u32_e32 v58, 1, v55
	s_waitcnt lgkmcnt(0)
	v_cmp_lt_u16_e64 s[16:17], v56, v57
	v_cndmask_b32_e64 v54, v54, v55, s[16:17]
	v_cndmask_b32_e64 v53, v58, v53, s[16:17]
	v_cmp_ge_i32_e64 s[16:17], v53, v54
	s_or_b64 s[20:21], s[16:17], s[20:21]
	s_andn2_b64 exec, exec, s[20:21]
	s_cbranch_execnz .LBB110_36
; %bb.37:                               ;   in Loop: Header=BB110_2 Depth=1
	s_or_b64 exec, exec, s[20:21]
	s_branch .LBB110_1
.LBB110_38:
	s_add_u32 s0, s22, s24
	s_addc_u32 s1, s23, 0
	v_mov_b32_e32 v1, s1
	v_add_co_u32_e32 v0, vcc, s0, v0
	v_addc_co_u32_e32 v1, vcc, 0, v1, vcc
	global_store_byte v[0:1], v53, off
	s_endpgm
	.section	.rodata,"a",@progbits
	.p2align	6, 0x0
	.amdhsa_kernel _Z16sort_keys_kernelIhLj512ELj1EN10test_utils4lessELj10EEvPKT_PS2_T2_
		.amdhsa_group_segment_fixed_size 513
		.amdhsa_private_segment_fixed_size 0
		.amdhsa_kernarg_size 20
		.amdhsa_user_sgpr_count 6
		.amdhsa_user_sgpr_private_segment_buffer 1
		.amdhsa_user_sgpr_dispatch_ptr 0
		.amdhsa_user_sgpr_queue_ptr 0
		.amdhsa_user_sgpr_kernarg_segment_ptr 1
		.amdhsa_user_sgpr_dispatch_id 0
		.amdhsa_user_sgpr_flat_scratch_init 0
		.amdhsa_user_sgpr_private_segment_size 0
		.amdhsa_uses_dynamic_stack 0
		.amdhsa_system_sgpr_private_segment_wavefront_offset 0
		.amdhsa_system_sgpr_workgroup_id_x 1
		.amdhsa_system_sgpr_workgroup_id_y 0
		.amdhsa_system_sgpr_workgroup_id_z 0
		.amdhsa_system_sgpr_workgroup_info 0
		.amdhsa_system_vgpr_workitem_id 0
		.amdhsa_next_free_vgpr 59
		.amdhsa_next_free_sgpr 27
		.amdhsa_reserve_vcc 1
		.amdhsa_reserve_flat_scratch 0
		.amdhsa_float_round_mode_32 0
		.amdhsa_float_round_mode_16_64 0
		.amdhsa_float_denorm_mode_32 3
		.amdhsa_float_denorm_mode_16_64 3
		.amdhsa_dx10_clamp 1
		.amdhsa_ieee_mode 1
		.amdhsa_fp16_overflow 0
		.amdhsa_exception_fp_ieee_invalid_op 0
		.amdhsa_exception_fp_denorm_src 0
		.amdhsa_exception_fp_ieee_div_zero 0
		.amdhsa_exception_fp_ieee_overflow 0
		.amdhsa_exception_fp_ieee_underflow 0
		.amdhsa_exception_fp_ieee_inexact 0
		.amdhsa_exception_int_div_zero 0
	.end_amdhsa_kernel
	.section	.text._Z16sort_keys_kernelIhLj512ELj1EN10test_utils4lessELj10EEvPKT_PS2_T2_,"axG",@progbits,_Z16sort_keys_kernelIhLj512ELj1EN10test_utils4lessELj10EEvPKT_PS2_T2_,comdat
.Lfunc_end110:
	.size	_Z16sort_keys_kernelIhLj512ELj1EN10test_utils4lessELj10EEvPKT_PS2_T2_, .Lfunc_end110-_Z16sort_keys_kernelIhLj512ELj1EN10test_utils4lessELj10EEvPKT_PS2_T2_
                                        ; -- End function
	.set _Z16sort_keys_kernelIhLj512ELj1EN10test_utils4lessELj10EEvPKT_PS2_T2_.num_vgpr, 59
	.set _Z16sort_keys_kernelIhLj512ELj1EN10test_utils4lessELj10EEvPKT_PS2_T2_.num_agpr, 0
	.set _Z16sort_keys_kernelIhLj512ELj1EN10test_utils4lessELj10EEvPKT_PS2_T2_.numbered_sgpr, 27
	.set _Z16sort_keys_kernelIhLj512ELj1EN10test_utils4lessELj10EEvPKT_PS2_T2_.num_named_barrier, 0
	.set _Z16sort_keys_kernelIhLj512ELj1EN10test_utils4lessELj10EEvPKT_PS2_T2_.private_seg_size, 0
	.set _Z16sort_keys_kernelIhLj512ELj1EN10test_utils4lessELj10EEvPKT_PS2_T2_.uses_vcc, 1
	.set _Z16sort_keys_kernelIhLj512ELj1EN10test_utils4lessELj10EEvPKT_PS2_T2_.uses_flat_scratch, 0
	.set _Z16sort_keys_kernelIhLj512ELj1EN10test_utils4lessELj10EEvPKT_PS2_T2_.has_dyn_sized_stack, 0
	.set _Z16sort_keys_kernelIhLj512ELj1EN10test_utils4lessELj10EEvPKT_PS2_T2_.has_recursion, 0
	.set _Z16sort_keys_kernelIhLj512ELj1EN10test_utils4lessELj10EEvPKT_PS2_T2_.has_indirect_call, 0
	.section	.AMDGPU.csdata,"",@progbits
; Kernel info:
; codeLenInByte = 2552
; TotalNumSgprs: 31
; NumVgprs: 59
; ScratchSize: 0
; MemoryBound: 0
; FloatMode: 240
; IeeeMode: 1
; LDSByteSize: 513 bytes/workgroup (compile time only)
; SGPRBlocks: 3
; VGPRBlocks: 14
; NumSGPRsForWavesPerEU: 31
; NumVGPRsForWavesPerEU: 59
; Occupancy: 4
; WaveLimiterHint : 0
; COMPUTE_PGM_RSRC2:SCRATCH_EN: 0
; COMPUTE_PGM_RSRC2:USER_SGPR: 6
; COMPUTE_PGM_RSRC2:TRAP_HANDLER: 0
; COMPUTE_PGM_RSRC2:TGID_X_EN: 1
; COMPUTE_PGM_RSRC2:TGID_Y_EN: 0
; COMPUTE_PGM_RSRC2:TGID_Z_EN: 0
; COMPUTE_PGM_RSRC2:TIDIG_COMP_CNT: 0
	.section	.text._Z17sort_pairs_kernelIhLj512ELj1EN10test_utils4lessELj10EEvPKT_PS2_T2_,"axG",@progbits,_Z17sort_pairs_kernelIhLj512ELj1EN10test_utils4lessELj10EEvPKT_PS2_T2_,comdat
	.protected	_Z17sort_pairs_kernelIhLj512ELj1EN10test_utils4lessELj10EEvPKT_PS2_T2_ ; -- Begin function _Z17sort_pairs_kernelIhLj512ELj1EN10test_utils4lessELj10EEvPKT_PS2_T2_
	.globl	_Z17sort_pairs_kernelIhLj512ELj1EN10test_utils4lessELj10EEvPKT_PS2_T2_
	.p2align	8
	.type	_Z17sort_pairs_kernelIhLj512ELj1EN10test_utils4lessELj10EEvPKT_PS2_T2_,@function
_Z17sort_pairs_kernelIhLj512ELj1EN10test_utils4lessELj10EEvPKT_PS2_T2_: ; @_Z17sort_pairs_kernelIhLj512ELj1EN10test_utils4lessELj10EEvPKT_PS2_T2_
; %bb.0:
	s_load_dwordx4 s[20:23], s[4:5], 0x0
	s_lshl_b32 s24, s6, 9
	v_and_b32_e32 v1, 0x1fc, v0
	v_and_b32_e32 v4, 0x1f8, v0
	;; [unrolled: 1-line block ×3, first 2 shown]
	s_waitcnt lgkmcnt(0)
	s_add_u32 s0, s20, s24
	s_addc_u32 s1, s21, 0
	global_load_ubyte v52, v0, s[0:1]
	v_and_b32_e32 v10, 0x1e0, v0
	v_and_b32_e32 v13, 0x1c0, v0
	;; [unrolled: 1-line block ×4, first 2 shown]
	v_or_b32_e32 v2, 2, v1
	v_add_u32_e32 v3, 4, v1
	v_or_b32_e32 v5, 4, v4
	v_add_u32_e32 v6, 8, v4
	;; [unrolled: 2-line block ×7, first 2 shown]
	v_and_b32_e32 v29, 3, v0
	v_sub_u32_e32 v27, v3, v2
	v_and_b32_e32 v32, 7, v0
	v_sub_u32_e32 v30, v6, v5
	;; [unrolled: 2-line block ×6, first 2 shown]
	v_sub_u32_e32 v45, v21, v20
	v_and_b32_e32 v23, 0x1fe, v0
	v_sub_u32_e32 v28, v29, v27
	v_sub_u32_e32 v31, v32, v30
	;; [unrolled: 1-line block ×6, first 2 shown]
	v_sub_u32_sdwa v46, v0, v45 dst_sel:DWORD dst_unused:UNUSED_PAD src0_sel:BYTE_0 src1_sel:DWORD
	v_and_b32_e32 v26, 1, v0
	v_or_b32_e32 v24, 1, v23
	v_cmp_ge_i32_e64 s[0:1], v29, v27
	v_cmp_ge_i32_e64 s[2:3], v32, v30
	;; [unrolled: 1-line block ×6, first 2 shown]
	v_cmp_ge_i32_sdwa s[12:13], v0, v45 src0_sel:BYTE_0 src1_sel:DWORD
	v_add_u32_e32 v22, -1, v26
	v_cmp_lt_i32_e32 vcc, 0, v26
	v_sub_u32_e32 v25, v24, v23
	v_cndmask_b32_e64 v27, 0, v28, s[0:1]
	v_sub_u32_e32 v28, v2, v1
	v_cndmask_b32_e64 v30, 0, v31, s[2:3]
	;; [unrolled: 2-line block ×7, first 2 shown]
	v_sub_u32_e32 v46, v20, v19
	v_mov_b32_e32 v47, 0x100
	v_cndmask_b32_e32 v22, 0, v22, vcc
	v_min_i32_e32 v25, v26, v25
	v_min_i32_e32 v28, v29, v28
	;; [unrolled: 1-line block ×7, first 2 shown]
	v_min_i32_sdwa v46, v0, v46 dst_sel:DWORD dst_unused:UNUSED_PAD src0_sel:BYTE_0 src1_sel:DWORD
	v_sub_u32_e64 v48, v0, v47 clamp
	v_min_i32_e32 v49, 0x100, v0
	s_mov_b32 s25, 0
	v_cmp_lt_i32_e32 vcc, v22, v25
	v_add_u32_e32 v26, v24, v26
	v_cmp_lt_i32_e64 s[0:1], v27, v28
	v_add_u32_e32 v29, v2, v29
	v_cmp_lt_i32_e64 s[2:3], v30, v31
	;; [unrolled: 2-line block ×7, first 2 shown]
	v_cmp_lt_i32_e64 s[14:15], v48, v49
	s_movk_i32 s26, 0x200
	s_waitcnt vmcnt(0)
	v_add_u16_e32 v53, 1, v52
	v_add_u32_sdwa v50, v20, v0 dst_sel:DWORD dst_unused:UNUSED_PAD src0_sel:DWORD src1_sel:BYTE_0
	v_add_u32_e32 v51, 0x100, v0
	s_branch .LBB111_2
.LBB111_1:                              ;   in Loop: Header=BB111_2 Depth=1
	s_or_b64 exec, exec, s[18:19]
	v_sub_u32_e32 v55, v51, v54
	ds_read_u8 v52, v54
	ds_read_u8 v56, v55
	v_cmp_le_i32_e64 s[16:17], v47, v54
	v_cmp_gt_i32_e64 s[18:19], s26, v55
	s_waitcnt lgkmcnt(0)
	s_barrier
	v_cmp_lt_u16_sdwa s[20:21], v56, v52 src0_sel:BYTE_0 src1_sel:BYTE_0
	s_or_b64 s[16:17], s[16:17], s[20:21]
	s_and_b64 s[16:17], s[18:19], s[16:17]
	v_cndmask_b32_e64 v54, v54, v55, s[16:17]
	ds_write_b8 v0, v53
	s_waitcnt lgkmcnt(0)
	s_barrier
	ds_read_u8 v53, v54
	s_add_i32 s25, s25, 1
	v_cndmask_b32_e64 v52, v52, v56, s[16:17]
	s_cmp_eq_u32 s25, 10
	s_cbranch_scc1 .LBB111_38
.LBB111_2:                              ; =>This Loop Header: Depth=1
                                        ;     Child Loop BB111_4 Depth 2
                                        ;     Child Loop BB111_8 Depth 2
                                        ;     Child Loop BB111_12 Depth 2
                                        ;     Child Loop BB111_16 Depth 2
                                        ;     Child Loop BB111_20 Depth 2
                                        ;     Child Loop BB111_24 Depth 2
                                        ;     Child Loop BB111_28 Depth 2
                                        ;     Child Loop BB111_32 Depth 2
                                        ;     Child Loop BB111_36 Depth 2
	s_waitcnt lgkmcnt(0)
	s_barrier
	ds_write_b8 v0, v52
	v_mov_b32_e32 v52, v22
	s_waitcnt lgkmcnt(0)
	s_barrier
	s_and_saveexec_b64 s[18:19], vcc
	s_cbranch_execz .LBB111_6
; %bb.3:                                ;   in Loop: Header=BB111_2 Depth=1
	s_mov_b64 s[20:21], 0
	v_mov_b32_e32 v52, v22
	v_mov_b32_e32 v54, v25
.LBB111_4:                              ;   Parent Loop BB111_2 Depth=1
                                        ; =>  This Inner Loop Header: Depth=2
	v_sub_u32_e32 v55, v54, v52
	v_lshrrev_b32_e32 v55, 1, v55
	v_add_u32_e32 v55, v55, v52
	v_add_u32_e32 v56, v23, v55
	v_xad_u32 v57, v55, -1, v26
	ds_read_u8 v56, v56
	ds_read_u8 v57, v57
	v_add_u32_e32 v58, 1, v55
	s_waitcnt lgkmcnt(0)
	v_cmp_lt_u16_e64 s[16:17], v57, v56
	v_cndmask_b32_e64 v54, v54, v55, s[16:17]
	v_cndmask_b32_e64 v52, v58, v52, s[16:17]
	v_cmp_ge_i32_e64 s[16:17], v52, v54
	s_or_b64 s[20:21], s[16:17], s[20:21]
	s_andn2_b64 exec, exec, s[20:21]
	s_cbranch_execnz .LBB111_4
; %bb.5:                                ;   in Loop: Header=BB111_2 Depth=1
	s_or_b64 exec, exec, s[20:21]
.LBB111_6:                              ;   in Loop: Header=BB111_2 Depth=1
	s_or_b64 exec, exec, s[18:19]
	v_add_u32_e32 v54, v52, v23
	v_sub_u32_e32 v52, v26, v52
	ds_read_u8 v55, v54
	ds_read_u8 v56, v52
	v_cmp_le_i32_e64 s[18:19], v24, v54
	v_cmp_ge_i32_e64 s[16:17], v24, v52
	s_waitcnt lgkmcnt(0)
	s_barrier
	v_cmp_lt_u16_sdwa s[20:21], v56, v55 src0_sel:BYTE_0 src1_sel:BYTE_0
	s_or_b64 s[18:19], s[18:19], s[20:21]
	s_and_b64 s[16:17], s[16:17], s[18:19]
	v_cndmask_b32_e64 v52, v54, v52, s[16:17]
	ds_write_b8 v0, v53
	s_waitcnt lgkmcnt(0)
	s_barrier
	ds_read_u8 v52, v52
	v_cndmask_b32_e64 v55, v55, v56, s[16:17]
	v_mov_b32_e32 v53, v27
	s_waitcnt lgkmcnt(0)
	s_barrier
	ds_write_b8 v0, v55
	s_waitcnt lgkmcnt(0)
	s_barrier
	s_and_saveexec_b64 s[18:19], s[0:1]
	s_cbranch_execz .LBB111_10
; %bb.7:                                ;   in Loop: Header=BB111_2 Depth=1
	s_mov_b64 s[20:21], 0
	v_mov_b32_e32 v53, v27
	v_mov_b32_e32 v54, v28
.LBB111_8:                              ;   Parent Loop BB111_2 Depth=1
                                        ; =>  This Inner Loop Header: Depth=2
	v_sub_u32_e32 v55, v54, v53
	v_lshrrev_b32_e32 v55, 1, v55
	v_add_u32_e32 v55, v55, v53
	v_add_u32_e32 v56, v1, v55
	v_xad_u32 v57, v55, -1, v29
	ds_read_u8 v56, v56
	ds_read_u8 v57, v57
	v_add_u32_e32 v58, 1, v55
	s_waitcnt lgkmcnt(0)
	v_cmp_lt_u16_e64 s[16:17], v57, v56
	v_cndmask_b32_e64 v54, v54, v55, s[16:17]
	v_cndmask_b32_e64 v53, v58, v53, s[16:17]
	v_cmp_ge_i32_e64 s[16:17], v53, v54
	s_or_b64 s[20:21], s[16:17], s[20:21]
	s_andn2_b64 exec, exec, s[20:21]
	s_cbranch_execnz .LBB111_8
; %bb.9:                                ;   in Loop: Header=BB111_2 Depth=1
	s_or_b64 exec, exec, s[20:21]
.LBB111_10:                             ;   in Loop: Header=BB111_2 Depth=1
	s_or_b64 exec, exec, s[18:19]
	v_add_u32_e32 v54, v53, v1
	v_sub_u32_e32 v53, v29, v53
	ds_read_u8 v55, v54
	ds_read_u8 v56, v53
	v_cmp_le_i32_e64 s[18:19], v2, v54
	v_cmp_gt_i32_e64 s[16:17], v3, v53
	s_waitcnt lgkmcnt(0)
	s_barrier
	v_cmp_lt_u16_sdwa s[20:21], v56, v55 src0_sel:BYTE_0 src1_sel:BYTE_0
	s_or_b64 s[18:19], s[18:19], s[20:21]
	s_and_b64 s[16:17], s[16:17], s[18:19]
	v_cndmask_b32_e64 v53, v54, v53, s[16:17]
	ds_write_b8 v0, v52
	s_waitcnt lgkmcnt(0)
	s_barrier
	ds_read_u8 v52, v53
	v_cndmask_b32_e64 v55, v55, v56, s[16:17]
	v_mov_b32_e32 v53, v30
	s_waitcnt lgkmcnt(0)
	s_barrier
	ds_write_b8 v0, v55
	s_waitcnt lgkmcnt(0)
	s_barrier
	s_and_saveexec_b64 s[18:19], s[2:3]
	s_cbranch_execz .LBB111_14
; %bb.11:                               ;   in Loop: Header=BB111_2 Depth=1
	s_mov_b64 s[20:21], 0
	v_mov_b32_e32 v53, v30
	v_mov_b32_e32 v54, v31
.LBB111_12:                             ;   Parent Loop BB111_2 Depth=1
                                        ; =>  This Inner Loop Header: Depth=2
	v_sub_u32_e32 v55, v54, v53
	v_lshrrev_b32_e32 v55, 1, v55
	v_add_u32_e32 v55, v55, v53
	v_add_u32_e32 v56, v4, v55
	v_xad_u32 v57, v55, -1, v32
	ds_read_u8 v56, v56
	ds_read_u8 v57, v57
	v_add_u32_e32 v58, 1, v55
	s_waitcnt lgkmcnt(0)
	v_cmp_lt_u16_e64 s[16:17], v57, v56
	v_cndmask_b32_e64 v54, v54, v55, s[16:17]
	v_cndmask_b32_e64 v53, v58, v53, s[16:17]
	v_cmp_ge_i32_e64 s[16:17], v53, v54
	s_or_b64 s[20:21], s[16:17], s[20:21]
	s_andn2_b64 exec, exec, s[20:21]
	s_cbranch_execnz .LBB111_12
; %bb.13:                               ;   in Loop: Header=BB111_2 Depth=1
	s_or_b64 exec, exec, s[20:21]
.LBB111_14:                             ;   in Loop: Header=BB111_2 Depth=1
	s_or_b64 exec, exec, s[18:19]
	v_add_u32_e32 v54, v53, v4
	v_sub_u32_e32 v53, v32, v53
	ds_read_u8 v55, v54
	ds_read_u8 v56, v53
	v_cmp_le_i32_e64 s[18:19], v5, v54
	v_cmp_gt_i32_e64 s[16:17], v6, v53
	s_waitcnt lgkmcnt(0)
	s_barrier
	v_cmp_lt_u16_sdwa s[20:21], v56, v55 src0_sel:BYTE_0 src1_sel:BYTE_0
	s_or_b64 s[18:19], s[18:19], s[20:21]
	s_and_b64 s[16:17], s[16:17], s[18:19]
	v_cndmask_b32_e64 v53, v54, v53, s[16:17]
	ds_write_b8 v0, v52
	s_waitcnt lgkmcnt(0)
	s_barrier
	ds_read_u8 v52, v53
	v_cndmask_b32_e64 v55, v55, v56, s[16:17]
	v_mov_b32_e32 v53, v33
	s_waitcnt lgkmcnt(0)
	s_barrier
	ds_write_b8 v0, v55
	s_waitcnt lgkmcnt(0)
	s_barrier
	s_and_saveexec_b64 s[18:19], s[4:5]
	s_cbranch_execz .LBB111_18
; %bb.15:                               ;   in Loop: Header=BB111_2 Depth=1
	s_mov_b64 s[20:21], 0
	v_mov_b32_e32 v53, v33
	v_mov_b32_e32 v54, v34
.LBB111_16:                             ;   Parent Loop BB111_2 Depth=1
                                        ; =>  This Inner Loop Header: Depth=2
	v_sub_u32_e32 v55, v54, v53
	v_lshrrev_b32_e32 v55, 1, v55
	v_add_u32_e32 v55, v55, v53
	v_add_u32_e32 v56, v7, v55
	v_xad_u32 v57, v55, -1, v35
	ds_read_u8 v56, v56
	ds_read_u8 v57, v57
	v_add_u32_e32 v58, 1, v55
	s_waitcnt lgkmcnt(0)
	v_cmp_lt_u16_e64 s[16:17], v57, v56
	v_cndmask_b32_e64 v54, v54, v55, s[16:17]
	v_cndmask_b32_e64 v53, v58, v53, s[16:17]
	v_cmp_ge_i32_e64 s[16:17], v53, v54
	s_or_b64 s[20:21], s[16:17], s[20:21]
	s_andn2_b64 exec, exec, s[20:21]
	s_cbranch_execnz .LBB111_16
; %bb.17:                               ;   in Loop: Header=BB111_2 Depth=1
	s_or_b64 exec, exec, s[20:21]
.LBB111_18:                             ;   in Loop: Header=BB111_2 Depth=1
	;; [unrolled: 51-line block ×6, first 2 shown]
	s_or_b64 exec, exec, s[18:19]
	v_add_u32_e32 v54, v53, v19
	v_sub_u32_e32 v53, v50, v53
	ds_read_u8 v55, v54
	ds_read_u8 v56, v53
	v_cmp_le_i32_e64 s[18:19], v20, v54
	v_cmp_gt_i32_e64 s[16:17], v21, v53
	s_waitcnt lgkmcnt(0)
	s_barrier
	v_cmp_lt_u16_sdwa s[20:21], v56, v55 src0_sel:BYTE_0 src1_sel:BYTE_0
	s_or_b64 s[18:19], s[18:19], s[20:21]
	s_and_b64 s[16:17], s[16:17], s[18:19]
	v_cndmask_b32_e64 v53, v54, v53, s[16:17]
	ds_write_b8 v0, v52
	s_waitcnt lgkmcnt(0)
	s_barrier
	ds_read_u8 v53, v53
	v_cndmask_b32_e64 v55, v55, v56, s[16:17]
	v_mov_b32_e32 v54, v48
	s_waitcnt lgkmcnt(0)
	s_barrier
	ds_write_b8 v0, v55
	s_waitcnt lgkmcnt(0)
	s_barrier
	s_and_saveexec_b64 s[18:19], s[14:15]
	s_cbranch_execz .LBB111_1
; %bb.35:                               ;   in Loop: Header=BB111_2 Depth=1
	s_mov_b64 s[20:21], 0
	v_mov_b32_e32 v54, v48
	v_mov_b32_e32 v52, v49
.LBB111_36:                             ;   Parent Loop BB111_2 Depth=1
                                        ; =>  This Inner Loop Header: Depth=2
	v_sub_u32_e32 v55, v52, v54
	v_lshrrev_b32_e32 v55, 1, v55
	v_add_u32_e32 v55, v55, v54
	v_xad_u32 v56, v55, -1, v51
	ds_read_u8 v57, v55
	ds_read_u8 v56, v56
	v_add_u32_e32 v58, 1, v55
	s_waitcnt lgkmcnt(0)
	v_cmp_lt_u16_e64 s[16:17], v56, v57
	v_cndmask_b32_e64 v52, v52, v55, s[16:17]
	v_cndmask_b32_e64 v54, v58, v54, s[16:17]
	v_cmp_ge_i32_e64 s[16:17], v54, v52
	s_or_b64 s[20:21], s[16:17], s[20:21]
	s_andn2_b64 exec, exec, s[20:21]
	s_cbranch_execnz .LBB111_36
; %bb.37:                               ;   in Loop: Header=BB111_2 Depth=1
	s_or_b64 exec, exec, s[20:21]
	s_branch .LBB111_1
.LBB111_38:
	s_add_u32 s0, s22, s24
	s_addc_u32 s1, s23, 0
	v_mov_b32_e32 v1, s1
	v_add_co_u32_e32 v0, vcc, s0, v0
	s_waitcnt lgkmcnt(0)
	v_add_u16_e32 v2, v52, v53
	v_addc_co_u32_e32 v1, vcc, 0, v1, vcc
	global_store_byte v[0:1], v2, off
	s_endpgm
	.section	.rodata,"a",@progbits
	.p2align	6, 0x0
	.amdhsa_kernel _Z17sort_pairs_kernelIhLj512ELj1EN10test_utils4lessELj10EEvPKT_PS2_T2_
		.amdhsa_group_segment_fixed_size 513
		.amdhsa_private_segment_fixed_size 0
		.amdhsa_kernarg_size 20
		.amdhsa_user_sgpr_count 6
		.amdhsa_user_sgpr_private_segment_buffer 1
		.amdhsa_user_sgpr_dispatch_ptr 0
		.amdhsa_user_sgpr_queue_ptr 0
		.amdhsa_user_sgpr_kernarg_segment_ptr 1
		.amdhsa_user_sgpr_dispatch_id 0
		.amdhsa_user_sgpr_flat_scratch_init 0
		.amdhsa_user_sgpr_private_segment_size 0
		.amdhsa_uses_dynamic_stack 0
		.amdhsa_system_sgpr_private_segment_wavefront_offset 0
		.amdhsa_system_sgpr_workgroup_id_x 1
		.amdhsa_system_sgpr_workgroup_id_y 0
		.amdhsa_system_sgpr_workgroup_id_z 0
		.amdhsa_system_sgpr_workgroup_info 0
		.amdhsa_system_vgpr_workitem_id 0
		.amdhsa_next_free_vgpr 59
		.amdhsa_next_free_sgpr 27
		.amdhsa_reserve_vcc 1
		.amdhsa_reserve_flat_scratch 0
		.amdhsa_float_round_mode_32 0
		.amdhsa_float_round_mode_16_64 0
		.amdhsa_float_denorm_mode_32 3
		.amdhsa_float_denorm_mode_16_64 3
		.amdhsa_dx10_clamp 1
		.amdhsa_ieee_mode 1
		.amdhsa_fp16_overflow 0
		.amdhsa_exception_fp_ieee_invalid_op 0
		.amdhsa_exception_fp_denorm_src 0
		.amdhsa_exception_fp_ieee_div_zero 0
		.amdhsa_exception_fp_ieee_overflow 0
		.amdhsa_exception_fp_ieee_underflow 0
		.amdhsa_exception_fp_ieee_inexact 0
		.amdhsa_exception_int_div_zero 0
	.end_amdhsa_kernel
	.section	.text._Z17sort_pairs_kernelIhLj512ELj1EN10test_utils4lessELj10EEvPKT_PS2_T2_,"axG",@progbits,_Z17sort_pairs_kernelIhLj512ELj1EN10test_utils4lessELj10EEvPKT_PS2_T2_,comdat
.Lfunc_end111:
	.size	_Z17sort_pairs_kernelIhLj512ELj1EN10test_utils4lessELj10EEvPKT_PS2_T2_, .Lfunc_end111-_Z17sort_pairs_kernelIhLj512ELj1EN10test_utils4lessELj10EEvPKT_PS2_T2_
                                        ; -- End function
	.set _Z17sort_pairs_kernelIhLj512ELj1EN10test_utils4lessELj10EEvPKT_PS2_T2_.num_vgpr, 59
	.set _Z17sort_pairs_kernelIhLj512ELj1EN10test_utils4lessELj10EEvPKT_PS2_T2_.num_agpr, 0
	.set _Z17sort_pairs_kernelIhLj512ELj1EN10test_utils4lessELj10EEvPKT_PS2_T2_.numbered_sgpr, 27
	.set _Z17sort_pairs_kernelIhLj512ELj1EN10test_utils4lessELj10EEvPKT_PS2_T2_.num_named_barrier, 0
	.set _Z17sort_pairs_kernelIhLj512ELj1EN10test_utils4lessELj10EEvPKT_PS2_T2_.private_seg_size, 0
	.set _Z17sort_pairs_kernelIhLj512ELj1EN10test_utils4lessELj10EEvPKT_PS2_T2_.uses_vcc, 1
	.set _Z17sort_pairs_kernelIhLj512ELj1EN10test_utils4lessELj10EEvPKT_PS2_T2_.uses_flat_scratch, 0
	.set _Z17sort_pairs_kernelIhLj512ELj1EN10test_utils4lessELj10EEvPKT_PS2_T2_.has_dyn_sized_stack, 0
	.set _Z17sort_pairs_kernelIhLj512ELj1EN10test_utils4lessELj10EEvPKT_PS2_T2_.has_recursion, 0
	.set _Z17sort_pairs_kernelIhLj512ELj1EN10test_utils4lessELj10EEvPKT_PS2_T2_.has_indirect_call, 0
	.section	.AMDGPU.csdata,"",@progbits
; Kernel info:
; codeLenInByte = 2924
; TotalNumSgprs: 31
; NumVgprs: 59
; ScratchSize: 0
; MemoryBound: 0
; FloatMode: 240
; IeeeMode: 1
; LDSByteSize: 513 bytes/workgroup (compile time only)
; SGPRBlocks: 3
; VGPRBlocks: 14
; NumSGPRsForWavesPerEU: 31
; NumVGPRsForWavesPerEU: 59
; Occupancy: 4
; WaveLimiterHint : 0
; COMPUTE_PGM_RSRC2:SCRATCH_EN: 0
; COMPUTE_PGM_RSRC2:USER_SGPR: 6
; COMPUTE_PGM_RSRC2:TRAP_HANDLER: 0
; COMPUTE_PGM_RSRC2:TGID_X_EN: 1
; COMPUTE_PGM_RSRC2:TGID_Y_EN: 0
; COMPUTE_PGM_RSRC2:TGID_Z_EN: 0
; COMPUTE_PGM_RSRC2:TIDIG_COMP_CNT: 0
	.section	.text._Z16sort_keys_kernelIhLj512ELj2EN10test_utils4lessELj10EEvPKT_PS2_T2_,"axG",@progbits,_Z16sort_keys_kernelIhLj512ELj2EN10test_utils4lessELj10EEvPKT_PS2_T2_,comdat
	.protected	_Z16sort_keys_kernelIhLj512ELj2EN10test_utils4lessELj10EEvPKT_PS2_T2_ ; -- Begin function _Z16sort_keys_kernelIhLj512ELj2EN10test_utils4lessELj10EEvPKT_PS2_T2_
	.globl	_Z16sort_keys_kernelIhLj512ELj2EN10test_utils4lessELj10EEvPKT_PS2_T2_
	.p2align	8
	.type	_Z16sort_keys_kernelIhLj512ELj2EN10test_utils4lessELj10EEvPKT_PS2_T2_,@function
_Z16sort_keys_kernelIhLj512ELj2EN10test_utils4lessELj10EEvPKT_PS2_T2_: ; @_Z16sort_keys_kernelIhLj512ELj2EN10test_utils4lessELj10EEvPKT_PS2_T2_
; %bb.0:
	s_load_dwordx4 s[20:23], s[4:5], 0x0
	s_lshl_b32 s24, s6, 10
	v_lshlrev_b32_e32 v1, 1, v0
	v_and_b32_e32 v2, 0x3fc, v1
	v_and_b32_e32 v5, 0x3f8, v1
	s_waitcnt lgkmcnt(0)
	s_add_u32 s0, s20, s24
	s_addc_u32 s1, s21, 0
	global_load_ubyte v55, v0, s[0:1] offset:512
	global_load_ubyte v54, v0, s[0:1]
	v_and_b32_e32 v8, 0x3f0, v1
	v_and_b32_e32 v11, 0x3e0, v1
	;; [unrolled: 1-line block ×6, first 2 shown]
	v_or_b32_e32 v3, 2, v2
	v_add_u32_e32 v4, 4, v2
	v_or_b32_e32 v6, 4, v5
	v_add_u32_e32 v7, 8, v5
	;; [unrolled: 2-line block ×8, first 2 shown]
	v_and_b32_e32 v28, 2, v1
	v_sub_u32_e32 v26, v4, v3
	v_and_b32_e32 v31, 6, v1
	v_sub_u32_e32 v29, v7, v6
	;; [unrolled: 2-line block ×8, first 2 shown]
	v_sub_u32_e32 v27, v28, v26
	v_sub_u32_e32 v30, v31, v29
	;; [unrolled: 1-line block ×8, first 2 shown]
	v_cmp_ge_i32_e32 vcc, v28, v26
	v_cmp_ge_i32_e64 s[0:1], v31, v29
	v_cmp_ge_i32_e64 s[2:3], v34, v32
	;; [unrolled: 1-line block ×7, first 2 shown]
	v_cndmask_b32_e32 v26, 0, v27, vcc
	v_sub_u32_e32 v27, v3, v2
	v_cndmask_b32_e64 v29, 0, v30, s[0:1]
	v_sub_u32_e32 v30, v6, v5
	v_cndmask_b32_e64 v32, 0, v33, s[2:3]
	;; [unrolled: 2-line block ×7, first 2 shown]
	v_sub_u32_e32 v48, v24, v23
	v_mov_b32_e32 v50, 0x200
	v_min_i32_e32 v27, v28, v27
	v_min_i32_e32 v30, v31, v30
	;; [unrolled: 1-line block ×8, first 2 shown]
	v_sub_u32_e64 v51, v1, v50 clamp
	v_min_i32_e32 v52, 0x200, v1
	s_mov_b32 s25, 0
	v_cmp_lt_i32_e32 vcc, v26, v27
	v_add_u32_e32 v28, v3, v28
	v_cmp_lt_i32_e64 s[0:1], v29, v30
	v_add_u32_e32 v31, v6, v31
	v_cmp_lt_i32_e64 s[2:3], v32, v33
	;; [unrolled: 2-line block ×8, first 2 shown]
	s_mov_b32 s26, 0xc0c0004
	s_movk_i32 s27, 0x400
	v_add_u32_e32 v53, 0x200, v1
	s_branch .LBB112_2
.LBB112_1:                              ;   in Loop: Header=BB112_2 Depth=1
	s_or_b64 exec, exec, s[18:19]
	v_cmp_ge_i32_e64 s[18:19], v59, v50
	s_waitcnt lgkmcnt(0)
	v_cmp_lt_u16_sdwa s[20:21], v60, v58 src0_sel:BYTE_0 src1_sel:BYTE_0
	v_cndmask_b32_e64 v54, v55, v57, s[16:17]
	v_cmp_gt_i32_e64 s[16:17], s27, v56
	s_or_b64 s[18:19], s[18:19], s[20:21]
	s_and_b64 s[16:17], s[16:17], s[18:19]
	s_add_i32 s25, s25, 1
	s_cmp_eq_u32 s25, 10
	v_cndmask_b32_e64 v55, v58, v60, s[16:17]
	s_cbranch_scc1 .LBB112_74
.LBB112_2:                              ; =>This Loop Header: Depth=1
                                        ;     Child Loop BB112_4 Depth 2
                                        ;     Child Loop BB112_12 Depth 2
	;; [unrolled: 1-line block ×9, first 2 shown]
	s_waitcnt vmcnt(0)
	v_perm_b32 v56, v55, v54, s26
	v_perm_b32 v57, v54, v55, s26
	v_cmp_lt_u16_sdwa s[16:17], v55, v54 src0_sel:BYTE_0 src1_sel:BYTE_0
	v_cndmask_b32_e64 v54, v57, v56, s[16:17]
	s_barrier
	ds_write_b8 v1, v54
	v_lshrrev_b16_e32 v54, 8, v54
	v_mov_b32_e32 v55, v26
	ds_write_b8 v1, v54 offset:1
	s_waitcnt lgkmcnt(0)
	s_barrier
	s_and_saveexec_b64 s[18:19], vcc
	s_cbranch_execz .LBB112_6
; %bb.3:                                ;   in Loop: Header=BB112_2 Depth=1
	s_mov_b64 s[20:21], 0
	v_mov_b32_e32 v55, v26
	v_mov_b32_e32 v54, v27
.LBB112_4:                              ;   Parent Loop BB112_2 Depth=1
                                        ; =>  This Inner Loop Header: Depth=2
	v_sub_u32_e32 v56, v54, v55
	v_lshrrev_b32_e32 v56, 1, v56
	v_add_u32_e32 v56, v56, v55
	v_add_u32_e32 v57, v2, v56
	v_xad_u32 v58, v56, -1, v28
	ds_read_u8 v57, v57
	ds_read_u8 v58, v58
	v_add_u32_e32 v59, 1, v56
	s_waitcnt lgkmcnt(0)
	v_cmp_lt_u16_e64 s[16:17], v58, v57
	v_cndmask_b32_e64 v54, v54, v56, s[16:17]
	v_cndmask_b32_e64 v55, v59, v55, s[16:17]
	v_cmp_ge_i32_e64 s[16:17], v55, v54
	s_or_b64 s[20:21], s[16:17], s[20:21]
	s_andn2_b64 exec, exec, s[20:21]
	s_cbranch_execnz .LBB112_4
; %bb.5:                                ;   in Loop: Header=BB112_2 Depth=1
	s_or_b64 exec, exec, s[20:21]
.LBB112_6:                              ;   in Loop: Header=BB112_2 Depth=1
	s_or_b64 exec, exec, s[18:19]
	v_add_u32_e32 v54, v55, v2
	v_sub_u32_e32 v55, v28, v55
	ds_read_u8 v56, v54
	ds_read_u8 v57, v55
	v_cmp_le_i32_e64 s[18:19], v3, v54
	v_cmp_gt_i32_e64 s[16:17], v4, v55
                                        ; implicit-def: $vgpr58
	s_waitcnt lgkmcnt(0)
	v_cmp_lt_u16_sdwa s[20:21], v57, v56 src0_sel:BYTE_0 src1_sel:BYTE_0
	s_or_b64 s[18:19], s[18:19], s[20:21]
	s_and_b64 s[16:17], s[16:17], s[18:19]
	s_xor_b64 s[18:19], s[16:17], -1
	s_and_saveexec_b64 s[20:21], s[18:19]
	s_xor_b64 s[18:19], exec, s[20:21]
; %bb.7:                                ;   in Loop: Header=BB112_2 Depth=1
	ds_read_u8 v58, v54 offset:1
; %bb.8:                                ;   in Loop: Header=BB112_2 Depth=1
	s_or_saveexec_b64 s[18:19], s[18:19]
	v_mov_b32_e32 v59, v57
	s_xor_b64 exec, exec, s[18:19]
	s_cbranch_execz .LBB112_10
; %bb.9:                                ;   in Loop: Header=BB112_2 Depth=1
	ds_read_u8 v59, v55 offset:1
	s_waitcnt lgkmcnt(1)
	v_mov_b32_e32 v58, v56
.LBB112_10:                             ;   in Loop: Header=BB112_2 Depth=1
	s_or_b64 exec, exec, s[18:19]
	v_add_u32_e32 v60, 1, v54
	v_cndmask_b32_e64 v56, v56, v57, s[16:17]
	v_add_u32_e32 v57, 1, v55
	v_cndmask_b32_e64 v54, v60, v54, s[16:17]
	v_cndmask_b32_e64 v55, v55, v57, s[16:17]
	v_cmp_ge_i32_e64 s[18:19], v54, v3
	s_waitcnt lgkmcnt(0)
	v_cmp_lt_u16_sdwa s[20:21], v59, v58 src0_sel:BYTE_0 src1_sel:BYTE_0
	v_cmp_lt_i32_e64 s[16:17], v55, v4
	s_or_b64 s[18:19], s[18:19], s[20:21]
	s_and_b64 s[16:17], s[16:17], s[18:19]
	v_mov_b32_e32 v55, v29
	v_cndmask_b32_e64 v54, v58, v59, s[16:17]
	s_barrier
	ds_write_b8 v1, v56
	ds_write_b8 v1, v54 offset:1
	s_waitcnt lgkmcnt(0)
	s_barrier
	s_and_saveexec_b64 s[18:19], s[0:1]
	s_cbranch_execz .LBB112_14
; %bb.11:                               ;   in Loop: Header=BB112_2 Depth=1
	s_mov_b64 s[20:21], 0
	v_mov_b32_e32 v55, v29
	v_mov_b32_e32 v54, v30
.LBB112_12:                             ;   Parent Loop BB112_2 Depth=1
                                        ; =>  This Inner Loop Header: Depth=2
	v_sub_u32_e32 v56, v54, v55
	v_lshrrev_b32_e32 v56, 1, v56
	v_add_u32_e32 v56, v56, v55
	v_add_u32_e32 v57, v5, v56
	v_xad_u32 v58, v56, -1, v31
	ds_read_u8 v57, v57
	ds_read_u8 v58, v58
	v_add_u32_e32 v59, 1, v56
	s_waitcnt lgkmcnt(0)
	v_cmp_lt_u16_e64 s[16:17], v58, v57
	v_cndmask_b32_e64 v54, v54, v56, s[16:17]
	v_cndmask_b32_e64 v55, v59, v55, s[16:17]
	v_cmp_ge_i32_e64 s[16:17], v55, v54
	s_or_b64 s[20:21], s[16:17], s[20:21]
	s_andn2_b64 exec, exec, s[20:21]
	s_cbranch_execnz .LBB112_12
; %bb.13:                               ;   in Loop: Header=BB112_2 Depth=1
	s_or_b64 exec, exec, s[20:21]
.LBB112_14:                             ;   in Loop: Header=BB112_2 Depth=1
	s_or_b64 exec, exec, s[18:19]
	v_add_u32_e32 v54, v55, v5
	v_sub_u32_e32 v55, v31, v55
	ds_read_u8 v56, v54
	ds_read_u8 v57, v55
	v_cmp_le_i32_e64 s[18:19], v6, v54
	v_cmp_gt_i32_e64 s[16:17], v7, v55
                                        ; implicit-def: $vgpr58
	s_waitcnt lgkmcnt(0)
	v_cmp_lt_u16_sdwa s[20:21], v57, v56 src0_sel:BYTE_0 src1_sel:BYTE_0
	s_or_b64 s[18:19], s[18:19], s[20:21]
	s_and_b64 s[16:17], s[16:17], s[18:19]
	s_xor_b64 s[18:19], s[16:17], -1
	s_and_saveexec_b64 s[20:21], s[18:19]
	s_xor_b64 s[18:19], exec, s[20:21]
; %bb.15:                               ;   in Loop: Header=BB112_2 Depth=1
	ds_read_u8 v58, v54 offset:1
; %bb.16:                               ;   in Loop: Header=BB112_2 Depth=1
	s_or_saveexec_b64 s[18:19], s[18:19]
	v_mov_b32_e32 v59, v57
	s_xor_b64 exec, exec, s[18:19]
	s_cbranch_execz .LBB112_18
; %bb.17:                               ;   in Loop: Header=BB112_2 Depth=1
	ds_read_u8 v59, v55 offset:1
	s_waitcnt lgkmcnt(1)
	v_mov_b32_e32 v58, v56
.LBB112_18:                             ;   in Loop: Header=BB112_2 Depth=1
	s_or_b64 exec, exec, s[18:19]
	v_add_u32_e32 v60, 1, v54
	v_cndmask_b32_e64 v56, v56, v57, s[16:17]
	v_add_u32_e32 v57, 1, v55
	v_cndmask_b32_e64 v54, v60, v54, s[16:17]
	v_cndmask_b32_e64 v55, v55, v57, s[16:17]
	v_cmp_ge_i32_e64 s[18:19], v54, v6
	s_waitcnt lgkmcnt(0)
	v_cmp_lt_u16_sdwa s[20:21], v59, v58 src0_sel:BYTE_0 src1_sel:BYTE_0
	v_cmp_lt_i32_e64 s[16:17], v55, v7
	s_or_b64 s[18:19], s[18:19], s[20:21]
	s_and_b64 s[16:17], s[16:17], s[18:19]
	v_mov_b32_e32 v55, v32
	v_cndmask_b32_e64 v54, v58, v59, s[16:17]
	s_barrier
	ds_write_b8 v1, v56
	ds_write_b8 v1, v54 offset:1
	s_waitcnt lgkmcnt(0)
	s_barrier
	s_and_saveexec_b64 s[18:19], s[2:3]
	s_cbranch_execz .LBB112_22
; %bb.19:                               ;   in Loop: Header=BB112_2 Depth=1
	s_mov_b64 s[20:21], 0
	v_mov_b32_e32 v55, v32
	v_mov_b32_e32 v54, v33
.LBB112_20:                             ;   Parent Loop BB112_2 Depth=1
                                        ; =>  This Inner Loop Header: Depth=2
	v_sub_u32_e32 v56, v54, v55
	v_lshrrev_b32_e32 v56, 1, v56
	v_add_u32_e32 v56, v56, v55
	v_add_u32_e32 v57, v8, v56
	v_xad_u32 v58, v56, -1, v34
	ds_read_u8 v57, v57
	ds_read_u8 v58, v58
	v_add_u32_e32 v59, 1, v56
	s_waitcnt lgkmcnt(0)
	v_cmp_lt_u16_e64 s[16:17], v58, v57
	v_cndmask_b32_e64 v54, v54, v56, s[16:17]
	v_cndmask_b32_e64 v55, v59, v55, s[16:17]
	v_cmp_ge_i32_e64 s[16:17], v55, v54
	s_or_b64 s[20:21], s[16:17], s[20:21]
	s_andn2_b64 exec, exec, s[20:21]
	s_cbranch_execnz .LBB112_20
; %bb.21:                               ;   in Loop: Header=BB112_2 Depth=1
	s_or_b64 exec, exec, s[20:21]
.LBB112_22:                             ;   in Loop: Header=BB112_2 Depth=1
	s_or_b64 exec, exec, s[18:19]
	v_add_u32_e32 v54, v55, v8
	v_sub_u32_e32 v55, v34, v55
	ds_read_u8 v56, v54
	ds_read_u8 v57, v55
	v_cmp_le_i32_e64 s[18:19], v9, v54
	v_cmp_gt_i32_e64 s[16:17], v10, v55
                                        ; implicit-def: $vgpr58
	s_waitcnt lgkmcnt(0)
	v_cmp_lt_u16_sdwa s[20:21], v57, v56 src0_sel:BYTE_0 src1_sel:BYTE_0
	s_or_b64 s[18:19], s[18:19], s[20:21]
	s_and_b64 s[16:17], s[16:17], s[18:19]
	s_xor_b64 s[18:19], s[16:17], -1
	s_and_saveexec_b64 s[20:21], s[18:19]
	s_xor_b64 s[18:19], exec, s[20:21]
; %bb.23:                               ;   in Loop: Header=BB112_2 Depth=1
	ds_read_u8 v58, v54 offset:1
; %bb.24:                               ;   in Loop: Header=BB112_2 Depth=1
	s_or_saveexec_b64 s[18:19], s[18:19]
	v_mov_b32_e32 v59, v57
	s_xor_b64 exec, exec, s[18:19]
	s_cbranch_execz .LBB112_26
; %bb.25:                               ;   in Loop: Header=BB112_2 Depth=1
	ds_read_u8 v59, v55 offset:1
	s_waitcnt lgkmcnt(1)
	v_mov_b32_e32 v58, v56
.LBB112_26:                             ;   in Loop: Header=BB112_2 Depth=1
	s_or_b64 exec, exec, s[18:19]
	v_add_u32_e32 v60, 1, v54
	v_cndmask_b32_e64 v56, v56, v57, s[16:17]
	v_add_u32_e32 v57, 1, v55
	v_cndmask_b32_e64 v54, v60, v54, s[16:17]
	v_cndmask_b32_e64 v55, v55, v57, s[16:17]
	v_cmp_ge_i32_e64 s[18:19], v54, v9
	s_waitcnt lgkmcnt(0)
	v_cmp_lt_u16_sdwa s[20:21], v59, v58 src0_sel:BYTE_0 src1_sel:BYTE_0
	v_cmp_lt_i32_e64 s[16:17], v55, v10
	s_or_b64 s[18:19], s[18:19], s[20:21]
	s_and_b64 s[16:17], s[16:17], s[18:19]
	v_mov_b32_e32 v55, v35
	v_cndmask_b32_e64 v54, v58, v59, s[16:17]
	s_barrier
	ds_write_b8 v1, v56
	ds_write_b8 v1, v54 offset:1
	s_waitcnt lgkmcnt(0)
	s_barrier
	s_and_saveexec_b64 s[18:19], s[4:5]
	s_cbranch_execz .LBB112_30
; %bb.27:                               ;   in Loop: Header=BB112_2 Depth=1
	s_mov_b64 s[20:21], 0
	v_mov_b32_e32 v55, v35
	v_mov_b32_e32 v54, v36
.LBB112_28:                             ;   Parent Loop BB112_2 Depth=1
                                        ; =>  This Inner Loop Header: Depth=2
	v_sub_u32_e32 v56, v54, v55
	v_lshrrev_b32_e32 v56, 1, v56
	v_add_u32_e32 v56, v56, v55
	v_add_u32_e32 v57, v11, v56
	v_xad_u32 v58, v56, -1, v37
	ds_read_u8 v57, v57
	ds_read_u8 v58, v58
	v_add_u32_e32 v59, 1, v56
	s_waitcnt lgkmcnt(0)
	v_cmp_lt_u16_e64 s[16:17], v58, v57
	v_cndmask_b32_e64 v54, v54, v56, s[16:17]
	v_cndmask_b32_e64 v55, v59, v55, s[16:17]
	v_cmp_ge_i32_e64 s[16:17], v55, v54
	s_or_b64 s[20:21], s[16:17], s[20:21]
	s_andn2_b64 exec, exec, s[20:21]
	s_cbranch_execnz .LBB112_28
; %bb.29:                               ;   in Loop: Header=BB112_2 Depth=1
	s_or_b64 exec, exec, s[20:21]
.LBB112_30:                             ;   in Loop: Header=BB112_2 Depth=1
	s_or_b64 exec, exec, s[18:19]
	v_add_u32_e32 v54, v55, v11
	v_sub_u32_e32 v55, v37, v55
	ds_read_u8 v56, v54
	ds_read_u8 v57, v55
	v_cmp_le_i32_e64 s[18:19], v12, v54
	v_cmp_gt_i32_e64 s[16:17], v13, v55
                                        ; implicit-def: $vgpr58
	s_waitcnt lgkmcnt(0)
	v_cmp_lt_u16_sdwa s[20:21], v57, v56 src0_sel:BYTE_0 src1_sel:BYTE_0
	s_or_b64 s[18:19], s[18:19], s[20:21]
	s_and_b64 s[16:17], s[16:17], s[18:19]
	s_xor_b64 s[18:19], s[16:17], -1
	s_and_saveexec_b64 s[20:21], s[18:19]
	s_xor_b64 s[18:19], exec, s[20:21]
; %bb.31:                               ;   in Loop: Header=BB112_2 Depth=1
	ds_read_u8 v58, v54 offset:1
; %bb.32:                               ;   in Loop: Header=BB112_2 Depth=1
	s_or_saveexec_b64 s[18:19], s[18:19]
	v_mov_b32_e32 v59, v57
	s_xor_b64 exec, exec, s[18:19]
	s_cbranch_execz .LBB112_34
; %bb.33:                               ;   in Loop: Header=BB112_2 Depth=1
	ds_read_u8 v59, v55 offset:1
	s_waitcnt lgkmcnt(1)
	v_mov_b32_e32 v58, v56
.LBB112_34:                             ;   in Loop: Header=BB112_2 Depth=1
	s_or_b64 exec, exec, s[18:19]
	v_add_u32_e32 v60, 1, v54
	v_cndmask_b32_e64 v56, v56, v57, s[16:17]
	v_add_u32_e32 v57, 1, v55
	v_cndmask_b32_e64 v54, v60, v54, s[16:17]
	v_cndmask_b32_e64 v55, v55, v57, s[16:17]
	v_cmp_ge_i32_e64 s[18:19], v54, v12
	s_waitcnt lgkmcnt(0)
	v_cmp_lt_u16_sdwa s[20:21], v59, v58 src0_sel:BYTE_0 src1_sel:BYTE_0
	v_cmp_lt_i32_e64 s[16:17], v55, v13
	s_or_b64 s[18:19], s[18:19], s[20:21]
	s_and_b64 s[16:17], s[16:17], s[18:19]
	v_mov_b32_e32 v55, v38
	v_cndmask_b32_e64 v54, v58, v59, s[16:17]
	s_barrier
	ds_write_b8 v1, v56
	ds_write_b8 v1, v54 offset:1
	s_waitcnt lgkmcnt(0)
	s_barrier
	s_and_saveexec_b64 s[18:19], s[6:7]
	s_cbranch_execz .LBB112_38
; %bb.35:                               ;   in Loop: Header=BB112_2 Depth=1
	s_mov_b64 s[20:21], 0
	v_mov_b32_e32 v55, v38
	v_mov_b32_e32 v54, v39
.LBB112_36:                             ;   Parent Loop BB112_2 Depth=1
                                        ; =>  This Inner Loop Header: Depth=2
	v_sub_u32_e32 v56, v54, v55
	v_lshrrev_b32_e32 v56, 1, v56
	v_add_u32_e32 v56, v56, v55
	v_add_u32_e32 v57, v14, v56
	v_xad_u32 v58, v56, -1, v40
	ds_read_u8 v57, v57
	ds_read_u8 v58, v58
	v_add_u32_e32 v59, 1, v56
	s_waitcnt lgkmcnt(0)
	v_cmp_lt_u16_e64 s[16:17], v58, v57
	v_cndmask_b32_e64 v54, v54, v56, s[16:17]
	v_cndmask_b32_e64 v55, v59, v55, s[16:17]
	v_cmp_ge_i32_e64 s[16:17], v55, v54
	s_or_b64 s[20:21], s[16:17], s[20:21]
	s_andn2_b64 exec, exec, s[20:21]
	s_cbranch_execnz .LBB112_36
; %bb.37:                               ;   in Loop: Header=BB112_2 Depth=1
	s_or_b64 exec, exec, s[20:21]
.LBB112_38:                             ;   in Loop: Header=BB112_2 Depth=1
	s_or_b64 exec, exec, s[18:19]
	v_add_u32_e32 v54, v55, v14
	v_sub_u32_e32 v55, v40, v55
	ds_read_u8 v56, v54
	ds_read_u8 v57, v55
	v_cmp_le_i32_e64 s[18:19], v15, v54
	v_cmp_gt_i32_e64 s[16:17], v16, v55
                                        ; implicit-def: $vgpr58
	s_waitcnt lgkmcnt(0)
	v_cmp_lt_u16_sdwa s[20:21], v57, v56 src0_sel:BYTE_0 src1_sel:BYTE_0
	s_or_b64 s[18:19], s[18:19], s[20:21]
	s_and_b64 s[16:17], s[16:17], s[18:19]
	s_xor_b64 s[18:19], s[16:17], -1
	s_and_saveexec_b64 s[20:21], s[18:19]
	s_xor_b64 s[18:19], exec, s[20:21]
; %bb.39:                               ;   in Loop: Header=BB112_2 Depth=1
	ds_read_u8 v58, v54 offset:1
; %bb.40:                               ;   in Loop: Header=BB112_2 Depth=1
	s_or_saveexec_b64 s[18:19], s[18:19]
	v_mov_b32_e32 v59, v57
	s_xor_b64 exec, exec, s[18:19]
	s_cbranch_execz .LBB112_42
; %bb.41:                               ;   in Loop: Header=BB112_2 Depth=1
	ds_read_u8 v59, v55 offset:1
	s_waitcnt lgkmcnt(1)
	v_mov_b32_e32 v58, v56
.LBB112_42:                             ;   in Loop: Header=BB112_2 Depth=1
	s_or_b64 exec, exec, s[18:19]
	v_add_u32_e32 v60, 1, v54
	v_cndmask_b32_e64 v56, v56, v57, s[16:17]
	v_add_u32_e32 v57, 1, v55
	v_cndmask_b32_e64 v54, v60, v54, s[16:17]
	v_cndmask_b32_e64 v55, v55, v57, s[16:17]
	v_cmp_ge_i32_e64 s[18:19], v54, v15
	s_waitcnt lgkmcnt(0)
	v_cmp_lt_u16_sdwa s[20:21], v59, v58 src0_sel:BYTE_0 src1_sel:BYTE_0
	v_cmp_lt_i32_e64 s[16:17], v55, v16
	s_or_b64 s[18:19], s[18:19], s[20:21]
	s_and_b64 s[16:17], s[16:17], s[18:19]
	v_mov_b32_e32 v55, v41
	v_cndmask_b32_e64 v54, v58, v59, s[16:17]
	s_barrier
	ds_write_b8 v1, v56
	ds_write_b8 v1, v54 offset:1
	s_waitcnt lgkmcnt(0)
	s_barrier
	s_and_saveexec_b64 s[18:19], s[8:9]
	s_cbranch_execz .LBB112_46
; %bb.43:                               ;   in Loop: Header=BB112_2 Depth=1
	s_mov_b64 s[20:21], 0
	v_mov_b32_e32 v55, v41
	v_mov_b32_e32 v54, v42
.LBB112_44:                             ;   Parent Loop BB112_2 Depth=1
                                        ; =>  This Inner Loop Header: Depth=2
	v_sub_u32_e32 v56, v54, v55
	v_lshrrev_b32_e32 v56, 1, v56
	v_add_u32_e32 v56, v56, v55
	v_add_u32_e32 v57, v17, v56
	v_xad_u32 v58, v56, -1, v43
	ds_read_u8 v57, v57
	ds_read_u8 v58, v58
	v_add_u32_e32 v59, 1, v56
	s_waitcnt lgkmcnt(0)
	v_cmp_lt_u16_e64 s[16:17], v58, v57
	v_cndmask_b32_e64 v54, v54, v56, s[16:17]
	v_cndmask_b32_e64 v55, v59, v55, s[16:17]
	v_cmp_ge_i32_e64 s[16:17], v55, v54
	s_or_b64 s[20:21], s[16:17], s[20:21]
	s_andn2_b64 exec, exec, s[20:21]
	s_cbranch_execnz .LBB112_44
; %bb.45:                               ;   in Loop: Header=BB112_2 Depth=1
	s_or_b64 exec, exec, s[20:21]
.LBB112_46:                             ;   in Loop: Header=BB112_2 Depth=1
	s_or_b64 exec, exec, s[18:19]
	v_add_u32_e32 v54, v55, v17
	v_sub_u32_e32 v55, v43, v55
	ds_read_u8 v56, v54
	ds_read_u8 v57, v55
	v_cmp_le_i32_e64 s[18:19], v18, v54
	v_cmp_gt_i32_e64 s[16:17], v19, v55
                                        ; implicit-def: $vgpr58
	s_waitcnt lgkmcnt(0)
	v_cmp_lt_u16_sdwa s[20:21], v57, v56 src0_sel:BYTE_0 src1_sel:BYTE_0
	s_or_b64 s[18:19], s[18:19], s[20:21]
	s_and_b64 s[16:17], s[16:17], s[18:19]
	s_xor_b64 s[18:19], s[16:17], -1
	s_and_saveexec_b64 s[20:21], s[18:19]
	s_xor_b64 s[18:19], exec, s[20:21]
; %bb.47:                               ;   in Loop: Header=BB112_2 Depth=1
	ds_read_u8 v58, v54 offset:1
; %bb.48:                               ;   in Loop: Header=BB112_2 Depth=1
	s_or_saveexec_b64 s[18:19], s[18:19]
	v_mov_b32_e32 v59, v57
	s_xor_b64 exec, exec, s[18:19]
	s_cbranch_execz .LBB112_50
; %bb.49:                               ;   in Loop: Header=BB112_2 Depth=1
	ds_read_u8 v59, v55 offset:1
	s_waitcnt lgkmcnt(1)
	v_mov_b32_e32 v58, v56
.LBB112_50:                             ;   in Loop: Header=BB112_2 Depth=1
	s_or_b64 exec, exec, s[18:19]
	v_add_u32_e32 v60, 1, v54
	v_cndmask_b32_e64 v56, v56, v57, s[16:17]
	v_add_u32_e32 v57, 1, v55
	v_cndmask_b32_e64 v54, v60, v54, s[16:17]
	v_cndmask_b32_e64 v55, v55, v57, s[16:17]
	v_cmp_ge_i32_e64 s[18:19], v54, v18
	s_waitcnt lgkmcnt(0)
	v_cmp_lt_u16_sdwa s[20:21], v59, v58 src0_sel:BYTE_0 src1_sel:BYTE_0
	v_cmp_lt_i32_e64 s[16:17], v55, v19
	s_or_b64 s[18:19], s[18:19], s[20:21]
	s_and_b64 s[16:17], s[16:17], s[18:19]
	v_mov_b32_e32 v55, v44
	v_cndmask_b32_e64 v54, v58, v59, s[16:17]
	s_barrier
	ds_write_b8 v1, v56
	ds_write_b8 v1, v54 offset:1
	s_waitcnt lgkmcnt(0)
	s_barrier
	s_and_saveexec_b64 s[18:19], s[10:11]
	s_cbranch_execz .LBB112_54
; %bb.51:                               ;   in Loop: Header=BB112_2 Depth=1
	s_mov_b64 s[20:21], 0
	v_mov_b32_e32 v55, v44
	v_mov_b32_e32 v54, v45
.LBB112_52:                             ;   Parent Loop BB112_2 Depth=1
                                        ; =>  This Inner Loop Header: Depth=2
	v_sub_u32_e32 v56, v54, v55
	v_lshrrev_b32_e32 v56, 1, v56
	v_add_u32_e32 v56, v56, v55
	v_add_u32_e32 v57, v20, v56
	v_xad_u32 v58, v56, -1, v46
	ds_read_u8 v57, v57
	ds_read_u8 v58, v58
	v_add_u32_e32 v59, 1, v56
	s_waitcnt lgkmcnt(0)
	v_cmp_lt_u16_e64 s[16:17], v58, v57
	v_cndmask_b32_e64 v54, v54, v56, s[16:17]
	v_cndmask_b32_e64 v55, v59, v55, s[16:17]
	v_cmp_ge_i32_e64 s[16:17], v55, v54
	s_or_b64 s[20:21], s[16:17], s[20:21]
	s_andn2_b64 exec, exec, s[20:21]
	s_cbranch_execnz .LBB112_52
; %bb.53:                               ;   in Loop: Header=BB112_2 Depth=1
	s_or_b64 exec, exec, s[20:21]
.LBB112_54:                             ;   in Loop: Header=BB112_2 Depth=1
	s_or_b64 exec, exec, s[18:19]
	v_add_u32_e32 v54, v55, v20
	v_sub_u32_e32 v55, v46, v55
	ds_read_u8 v56, v54
	ds_read_u8 v57, v55
	v_cmp_le_i32_e64 s[18:19], v21, v54
	v_cmp_gt_i32_e64 s[16:17], v22, v55
                                        ; implicit-def: $vgpr58
	s_waitcnt lgkmcnt(0)
	v_cmp_lt_u16_sdwa s[20:21], v57, v56 src0_sel:BYTE_0 src1_sel:BYTE_0
	s_or_b64 s[18:19], s[18:19], s[20:21]
	s_and_b64 s[16:17], s[16:17], s[18:19]
	s_xor_b64 s[18:19], s[16:17], -1
	s_and_saveexec_b64 s[20:21], s[18:19]
	s_xor_b64 s[18:19], exec, s[20:21]
; %bb.55:                               ;   in Loop: Header=BB112_2 Depth=1
	ds_read_u8 v58, v54 offset:1
; %bb.56:                               ;   in Loop: Header=BB112_2 Depth=1
	s_or_saveexec_b64 s[18:19], s[18:19]
	v_mov_b32_e32 v59, v57
	s_xor_b64 exec, exec, s[18:19]
	s_cbranch_execz .LBB112_58
; %bb.57:                               ;   in Loop: Header=BB112_2 Depth=1
	ds_read_u8 v59, v55 offset:1
	s_waitcnt lgkmcnt(1)
	v_mov_b32_e32 v58, v56
.LBB112_58:                             ;   in Loop: Header=BB112_2 Depth=1
	s_or_b64 exec, exec, s[18:19]
	v_add_u32_e32 v60, 1, v54
	v_cndmask_b32_e64 v56, v56, v57, s[16:17]
	v_add_u32_e32 v57, 1, v55
	v_cndmask_b32_e64 v54, v60, v54, s[16:17]
	v_cndmask_b32_e64 v55, v55, v57, s[16:17]
	v_cmp_ge_i32_e64 s[18:19], v54, v21
	s_waitcnt lgkmcnt(0)
	v_cmp_lt_u16_sdwa s[20:21], v59, v58 src0_sel:BYTE_0 src1_sel:BYTE_0
	v_cmp_lt_i32_e64 s[16:17], v55, v22
	s_or_b64 s[18:19], s[18:19], s[20:21]
	s_and_b64 s[16:17], s[16:17], s[18:19]
	v_mov_b32_e32 v55, v47
	v_cndmask_b32_e64 v54, v58, v59, s[16:17]
	s_barrier
	ds_write_b8 v1, v56
	ds_write_b8 v1, v54 offset:1
	s_waitcnt lgkmcnt(0)
	s_barrier
	s_and_saveexec_b64 s[18:19], s[12:13]
	s_cbranch_execz .LBB112_62
; %bb.59:                               ;   in Loop: Header=BB112_2 Depth=1
	s_mov_b64 s[20:21], 0
	v_mov_b32_e32 v55, v47
	v_mov_b32_e32 v54, v48
.LBB112_60:                             ;   Parent Loop BB112_2 Depth=1
                                        ; =>  This Inner Loop Header: Depth=2
	v_sub_u32_e32 v56, v54, v55
	v_lshrrev_b32_e32 v56, 1, v56
	v_add_u32_e32 v56, v56, v55
	v_add_u32_e32 v57, v23, v56
	v_xad_u32 v58, v56, -1, v49
	ds_read_u8 v57, v57
	ds_read_u8 v58, v58
	v_add_u32_e32 v59, 1, v56
	s_waitcnt lgkmcnt(0)
	v_cmp_lt_u16_e64 s[16:17], v58, v57
	v_cndmask_b32_e64 v54, v54, v56, s[16:17]
	v_cndmask_b32_e64 v55, v59, v55, s[16:17]
	v_cmp_ge_i32_e64 s[16:17], v55, v54
	s_or_b64 s[20:21], s[16:17], s[20:21]
	s_andn2_b64 exec, exec, s[20:21]
	s_cbranch_execnz .LBB112_60
; %bb.61:                               ;   in Loop: Header=BB112_2 Depth=1
	s_or_b64 exec, exec, s[20:21]
.LBB112_62:                             ;   in Loop: Header=BB112_2 Depth=1
	s_or_b64 exec, exec, s[18:19]
	v_add_u32_e32 v54, v55, v23
	v_sub_u32_e32 v55, v49, v55
	ds_read_u8 v56, v54
	ds_read_u8 v57, v55
	v_cmp_le_i32_e64 s[18:19], v24, v54
	v_cmp_gt_i32_e64 s[16:17], v25, v55
                                        ; implicit-def: $vgpr58
	s_waitcnt lgkmcnt(0)
	v_cmp_lt_u16_sdwa s[20:21], v57, v56 src0_sel:BYTE_0 src1_sel:BYTE_0
	s_or_b64 s[18:19], s[18:19], s[20:21]
	s_and_b64 s[16:17], s[16:17], s[18:19]
	s_xor_b64 s[18:19], s[16:17], -1
	s_and_saveexec_b64 s[20:21], s[18:19]
	s_xor_b64 s[18:19], exec, s[20:21]
; %bb.63:                               ;   in Loop: Header=BB112_2 Depth=1
	ds_read_u8 v58, v54 offset:1
; %bb.64:                               ;   in Loop: Header=BB112_2 Depth=1
	s_or_saveexec_b64 s[18:19], s[18:19]
	v_mov_b32_e32 v59, v57
	s_xor_b64 exec, exec, s[18:19]
	s_cbranch_execz .LBB112_66
; %bb.65:                               ;   in Loop: Header=BB112_2 Depth=1
	ds_read_u8 v59, v55 offset:1
	s_waitcnt lgkmcnt(1)
	v_mov_b32_e32 v58, v56
.LBB112_66:                             ;   in Loop: Header=BB112_2 Depth=1
	s_or_b64 exec, exec, s[18:19]
	v_add_u32_e32 v60, 1, v54
	v_cndmask_b32_e64 v56, v56, v57, s[16:17]
	v_add_u32_e32 v57, 1, v55
	v_cndmask_b32_e64 v54, v60, v54, s[16:17]
	v_cndmask_b32_e64 v55, v55, v57, s[16:17]
	v_cmp_ge_i32_e64 s[18:19], v54, v24
	s_waitcnt lgkmcnt(0)
	v_cmp_lt_u16_sdwa s[20:21], v59, v58 src0_sel:BYTE_0 src1_sel:BYTE_0
	v_cmp_lt_i32_e64 s[16:17], v55, v25
	s_or_b64 s[18:19], s[18:19], s[20:21]
	s_and_b64 s[16:17], s[16:17], s[18:19]
	v_cndmask_b32_e64 v54, v58, v59, s[16:17]
	s_barrier
	ds_write_b8 v1, v56
	ds_write_b8 v1, v54 offset:1
	v_mov_b32_e32 v54, v51
	s_waitcnt lgkmcnt(0)
	s_barrier
	s_and_saveexec_b64 s[18:19], s[14:15]
	s_cbranch_execz .LBB112_70
; %bb.67:                               ;   in Loop: Header=BB112_2 Depth=1
	s_mov_b64 s[20:21], 0
	v_mov_b32_e32 v54, v51
	v_mov_b32_e32 v55, v52
.LBB112_68:                             ;   Parent Loop BB112_2 Depth=1
                                        ; =>  This Inner Loop Header: Depth=2
	v_sub_u32_e32 v56, v55, v54
	v_lshrrev_b32_e32 v56, 1, v56
	v_add_u32_e32 v56, v56, v54
	v_xad_u32 v57, v56, -1, v53
	ds_read_u8 v58, v56
	ds_read_u8 v57, v57
	v_add_u32_e32 v59, 1, v56
	s_waitcnt lgkmcnt(0)
	v_cmp_lt_u16_e64 s[16:17], v57, v58
	v_cndmask_b32_e64 v55, v55, v56, s[16:17]
	v_cndmask_b32_e64 v54, v59, v54, s[16:17]
	v_cmp_ge_i32_e64 s[16:17], v54, v55
	s_or_b64 s[20:21], s[16:17], s[20:21]
	s_andn2_b64 exec, exec, s[20:21]
	s_cbranch_execnz .LBB112_68
; %bb.69:                               ;   in Loop: Header=BB112_2 Depth=1
	s_or_b64 exec, exec, s[20:21]
.LBB112_70:                             ;   in Loop: Header=BB112_2 Depth=1
	s_or_b64 exec, exec, s[18:19]
	v_sub_u32_e32 v56, v53, v54
	ds_read_u8 v55, v54
	ds_read_u8 v57, v56
	v_cmp_le_i32_e64 s[18:19], v50, v54
	v_cmp_gt_i32_e64 s[16:17], s27, v56
                                        ; implicit-def: $vgpr58
                                        ; implicit-def: $vgpr59
	s_waitcnt lgkmcnt(0)
	v_cmp_lt_u16_sdwa s[20:21], v57, v55 src0_sel:BYTE_0 src1_sel:BYTE_0
	s_or_b64 s[18:19], s[18:19], s[20:21]
	s_and_b64 s[16:17], s[16:17], s[18:19]
	s_xor_b64 s[18:19], s[16:17], -1
	s_and_saveexec_b64 s[20:21], s[18:19]
	s_xor_b64 s[18:19], exec, s[20:21]
; %bb.71:                               ;   in Loop: Header=BB112_2 Depth=1
	ds_read_u8 v58, v54 offset:1
	v_add_u32_e32 v59, 1, v54
                                        ; implicit-def: $vgpr54
; %bb.72:                               ;   in Loop: Header=BB112_2 Depth=1
	s_or_saveexec_b64 s[18:19], s[18:19]
	v_mov_b32_e32 v60, v57
	s_xor_b64 exec, exec, s[18:19]
	s_cbranch_execz .LBB112_1
; %bb.73:                               ;   in Loop: Header=BB112_2 Depth=1
	ds_read_u8 v60, v56 offset:1
	v_add_u32_e32 v56, 1, v56
	v_mov_b32_e32 v59, v54
	s_waitcnt lgkmcnt(1)
	v_mov_b32_e32 v58, v55
	s_branch .LBB112_1
.LBB112_74:
	s_add_u32 s0, s22, s24
	s_addc_u32 s1, s23, 0
	v_mov_b32_e32 v1, s1
	v_add_co_u32_e32 v0, vcc, s0, v0
	v_addc_co_u32_e32 v1, vcc, 0, v1, vcc
	global_store_byte v[0:1], v54, off
	global_store_byte v[0:1], v55, off offset:512
	s_endpgm
	.section	.rodata,"a",@progbits
	.p2align	6, 0x0
	.amdhsa_kernel _Z16sort_keys_kernelIhLj512ELj2EN10test_utils4lessELj10EEvPKT_PS2_T2_
		.amdhsa_group_segment_fixed_size 1025
		.amdhsa_private_segment_fixed_size 0
		.amdhsa_kernarg_size 20
		.amdhsa_user_sgpr_count 6
		.amdhsa_user_sgpr_private_segment_buffer 1
		.amdhsa_user_sgpr_dispatch_ptr 0
		.amdhsa_user_sgpr_queue_ptr 0
		.amdhsa_user_sgpr_kernarg_segment_ptr 1
		.amdhsa_user_sgpr_dispatch_id 0
		.amdhsa_user_sgpr_flat_scratch_init 0
		.amdhsa_user_sgpr_private_segment_size 0
		.amdhsa_uses_dynamic_stack 0
		.amdhsa_system_sgpr_private_segment_wavefront_offset 0
		.amdhsa_system_sgpr_workgroup_id_x 1
		.amdhsa_system_sgpr_workgroup_id_y 0
		.amdhsa_system_sgpr_workgroup_id_z 0
		.amdhsa_system_sgpr_workgroup_info 0
		.amdhsa_system_vgpr_workitem_id 0
		.amdhsa_next_free_vgpr 61
		.amdhsa_next_free_sgpr 28
		.amdhsa_reserve_vcc 1
		.amdhsa_reserve_flat_scratch 0
		.amdhsa_float_round_mode_32 0
		.amdhsa_float_round_mode_16_64 0
		.amdhsa_float_denorm_mode_32 3
		.amdhsa_float_denorm_mode_16_64 3
		.amdhsa_dx10_clamp 1
		.amdhsa_ieee_mode 1
		.amdhsa_fp16_overflow 0
		.amdhsa_exception_fp_ieee_invalid_op 0
		.amdhsa_exception_fp_denorm_src 0
		.amdhsa_exception_fp_ieee_div_zero 0
		.amdhsa_exception_fp_ieee_overflow 0
		.amdhsa_exception_fp_ieee_underflow 0
		.amdhsa_exception_fp_ieee_inexact 0
		.amdhsa_exception_int_div_zero 0
	.end_amdhsa_kernel
	.section	.text._Z16sort_keys_kernelIhLj512ELj2EN10test_utils4lessELj10EEvPKT_PS2_T2_,"axG",@progbits,_Z16sort_keys_kernelIhLj512ELj2EN10test_utils4lessELj10EEvPKT_PS2_T2_,comdat
.Lfunc_end112:
	.size	_Z16sort_keys_kernelIhLj512ELj2EN10test_utils4lessELj10EEvPKT_PS2_T2_, .Lfunc_end112-_Z16sort_keys_kernelIhLj512ELj2EN10test_utils4lessELj10EEvPKT_PS2_T2_
                                        ; -- End function
	.set _Z16sort_keys_kernelIhLj512ELj2EN10test_utils4lessELj10EEvPKT_PS2_T2_.num_vgpr, 61
	.set _Z16sort_keys_kernelIhLj512ELj2EN10test_utils4lessELj10EEvPKT_PS2_T2_.num_agpr, 0
	.set _Z16sort_keys_kernelIhLj512ELj2EN10test_utils4lessELj10EEvPKT_PS2_T2_.numbered_sgpr, 28
	.set _Z16sort_keys_kernelIhLj512ELj2EN10test_utils4lessELj10EEvPKT_PS2_T2_.num_named_barrier, 0
	.set _Z16sort_keys_kernelIhLj512ELj2EN10test_utils4lessELj10EEvPKT_PS2_T2_.private_seg_size, 0
	.set _Z16sort_keys_kernelIhLj512ELj2EN10test_utils4lessELj10EEvPKT_PS2_T2_.uses_vcc, 1
	.set _Z16sort_keys_kernelIhLj512ELj2EN10test_utils4lessELj10EEvPKT_PS2_T2_.uses_flat_scratch, 0
	.set _Z16sort_keys_kernelIhLj512ELj2EN10test_utils4lessELj10EEvPKT_PS2_T2_.has_dyn_sized_stack, 0
	.set _Z16sort_keys_kernelIhLj512ELj2EN10test_utils4lessELj10EEvPKT_PS2_T2_.has_recursion, 0
	.set _Z16sort_keys_kernelIhLj512ELj2EN10test_utils4lessELj10EEvPKT_PS2_T2_.has_indirect_call, 0
	.section	.AMDGPU.csdata,"",@progbits
; Kernel info:
; codeLenInByte = 3808
; TotalNumSgprs: 32
; NumVgprs: 61
; ScratchSize: 0
; MemoryBound: 0
; FloatMode: 240
; IeeeMode: 1
; LDSByteSize: 1025 bytes/workgroup (compile time only)
; SGPRBlocks: 3
; VGPRBlocks: 15
; NumSGPRsForWavesPerEU: 32
; NumVGPRsForWavesPerEU: 61
; Occupancy: 4
; WaveLimiterHint : 1
; COMPUTE_PGM_RSRC2:SCRATCH_EN: 0
; COMPUTE_PGM_RSRC2:USER_SGPR: 6
; COMPUTE_PGM_RSRC2:TRAP_HANDLER: 0
; COMPUTE_PGM_RSRC2:TGID_X_EN: 1
; COMPUTE_PGM_RSRC2:TGID_Y_EN: 0
; COMPUTE_PGM_RSRC2:TGID_Z_EN: 0
; COMPUTE_PGM_RSRC2:TIDIG_COMP_CNT: 0
	.section	.text._Z17sort_pairs_kernelIhLj512ELj2EN10test_utils4lessELj10EEvPKT_PS2_T2_,"axG",@progbits,_Z17sort_pairs_kernelIhLj512ELj2EN10test_utils4lessELj10EEvPKT_PS2_T2_,comdat
	.protected	_Z17sort_pairs_kernelIhLj512ELj2EN10test_utils4lessELj10EEvPKT_PS2_T2_ ; -- Begin function _Z17sort_pairs_kernelIhLj512ELj2EN10test_utils4lessELj10EEvPKT_PS2_T2_
	.globl	_Z17sort_pairs_kernelIhLj512ELj2EN10test_utils4lessELj10EEvPKT_PS2_T2_
	.p2align	8
	.type	_Z17sort_pairs_kernelIhLj512ELj2EN10test_utils4lessELj10EEvPKT_PS2_T2_,@function
_Z17sort_pairs_kernelIhLj512ELj2EN10test_utils4lessELj10EEvPKT_PS2_T2_: ; @_Z17sort_pairs_kernelIhLj512ELj2EN10test_utils4lessELj10EEvPKT_PS2_T2_
; %bb.0:
	s_load_dwordx4 s[20:23], s[4:5], 0x0
	s_lshl_b32 s26, s6, 10
	v_lshlrev_b32_e32 v1, 1, v0
	v_and_b32_e32 v2, 0x3fc, v1
	v_and_b32_e32 v5, 0x3f8, v1
	s_waitcnt lgkmcnt(0)
	s_add_u32 s0, s20, s26
	s_addc_u32 s1, s21, 0
	global_load_ubyte v57, v0, s[0:1]
	global_load_ubyte v56, v0, s[0:1] offset:512
	v_and_b32_e32 v8, 0x3f0, v1
	v_and_b32_e32 v11, 0x3e0, v1
	;; [unrolled: 1-line block ×6, first 2 shown]
	v_or_b32_e32 v3, 2, v2
	v_add_u32_e32 v4, 4, v2
	v_or_b32_e32 v6, 4, v5
	v_add_u32_e32 v7, 8, v5
	;; [unrolled: 2-line block ×8, first 2 shown]
	v_and_b32_e32 v28, 2, v1
	v_sub_u32_e32 v26, v4, v3
	v_and_b32_e32 v31, 6, v1
	v_sub_u32_e32 v29, v7, v6
	;; [unrolled: 2-line block ×8, first 2 shown]
	v_sub_u32_e32 v27, v28, v26
	v_sub_u32_e32 v30, v31, v29
	;; [unrolled: 1-line block ×8, first 2 shown]
	v_cmp_ge_i32_e32 vcc, v28, v26
	v_cmp_ge_i32_e64 s[0:1], v31, v29
	v_cmp_ge_i32_e64 s[2:3], v34, v32
	;; [unrolled: 1-line block ×7, first 2 shown]
	v_cndmask_b32_e32 v26, 0, v27, vcc
	v_sub_u32_e32 v27, v3, v2
	v_cndmask_b32_e64 v29, 0, v30, s[0:1]
	v_sub_u32_e32 v30, v6, v5
	v_cndmask_b32_e64 v32, 0, v33, s[2:3]
	;; [unrolled: 2-line block ×7, first 2 shown]
	v_sub_u32_e32 v48, v24, v23
	v_mov_b32_e32 v50, 0x200
	v_min_i32_e32 v27, v28, v27
	v_min_i32_e32 v30, v31, v30
	;; [unrolled: 1-line block ×8, first 2 shown]
	v_sub_u32_e64 v51, v1, v50 clamp
	v_min_i32_e32 v52, 0x200, v1
	s_mov_b32 s27, 0
	v_cmp_lt_i32_e32 vcc, v26, v27
	v_add_u32_e32 v28, v3, v28
	v_cmp_lt_i32_e64 s[0:1], v29, v30
	v_add_u32_e32 v31, v6, v31
	v_cmp_lt_i32_e64 s[2:3], v32, v33
	;; [unrolled: 2-line block ×8, first 2 shown]
	s_mov_b32 s28, 0xc0c0004
	s_movk_i32 s29, 0x400
	s_waitcnt vmcnt(1)
	v_add_u16_e32 v54, 1, v57
	s_waitcnt vmcnt(0)
	v_add_u16_e32 v55, 1, v56
	v_add_u32_e32 v53, 0x200, v1
	s_branch .LBB113_2
.LBB113_1:                              ;   in Loop: Header=BB113_2 Depth=1
	s_or_b64 exec, exec, s[18:19]
	v_cmp_ge_i32_e64 s[20:21], v60, v50
	s_waitcnt lgkmcnt(0)
	v_cmp_lt_u16_sdwa s[24:25], v63, v61 src0_sel:BYTE_0 src1_sel:BYTE_0
	v_cmp_gt_i32_e64 s[18:19], s29, v59
	s_or_b64 s[20:21], s[20:21], s[24:25]
	s_and_b64 s[18:19], s[18:19], s[20:21]
	v_cndmask_b32_e64 v59, v60, v59, s[18:19]
	s_barrier
	ds_write_b8 v1, v54
	ds_write_b8 v1, v55 offset:1
	s_waitcnt lgkmcnt(0)
	s_barrier
	ds_read_u8 v54, v62
	ds_read_u8 v55, v59
	s_add_i32 s27, s27, 1
	v_cndmask_b32_e64 v56, v61, v63, s[18:19]
	s_cmp_eq_u32 s27, 10
	v_cndmask_b32_e64 v57, v57, v58, s[16:17]
	s_cbranch_scc1 .LBB113_74
.LBB113_2:                              ; =>This Loop Header: Depth=1
                                        ;     Child Loop BB113_4 Depth 2
                                        ;     Child Loop BB113_12 Depth 2
	;; [unrolled: 1-line block ×9, first 2 shown]
	v_perm_b32 v58, v56, v57, s28
	v_perm_b32 v59, v57, v56, s28
	v_cmp_lt_u16_sdwa s[16:17], v56, v57 src0_sel:BYTE_0 src1_sel:BYTE_0
	v_cndmask_b32_e64 v56, v59, v58, s[16:17]
	s_waitcnt lgkmcnt(0)
	s_barrier
	ds_write_b8 v1, v56
	v_lshrrev_b16_e32 v56, 8, v56
	v_mov_b32_e32 v57, v26
	ds_write_b8 v1, v56 offset:1
	s_waitcnt lgkmcnt(0)
	s_barrier
	s_and_saveexec_b64 s[20:21], vcc
	s_cbranch_execz .LBB113_6
; %bb.3:                                ;   in Loop: Header=BB113_2 Depth=1
	s_mov_b64 s[24:25], 0
	v_mov_b32_e32 v57, v26
	v_mov_b32_e32 v56, v27
.LBB113_4:                              ;   Parent Loop BB113_2 Depth=1
                                        ; =>  This Inner Loop Header: Depth=2
	v_sub_u32_e32 v58, v56, v57
	v_lshrrev_b32_e32 v58, 1, v58
	v_add_u32_e32 v58, v58, v57
	v_add_u32_e32 v59, v2, v58
	v_xad_u32 v60, v58, -1, v28
	ds_read_u8 v59, v59
	ds_read_u8 v60, v60
	v_add_u32_e32 v61, 1, v58
	s_waitcnt lgkmcnt(0)
	v_cmp_lt_u16_e64 s[18:19], v60, v59
	v_cndmask_b32_e64 v56, v56, v58, s[18:19]
	v_cndmask_b32_e64 v57, v61, v57, s[18:19]
	v_cmp_ge_i32_e64 s[18:19], v57, v56
	s_or_b64 s[24:25], s[18:19], s[24:25]
	s_andn2_b64 exec, exec, s[24:25]
	s_cbranch_execnz .LBB113_4
; %bb.5:                                ;   in Loop: Header=BB113_2 Depth=1
	s_or_b64 exec, exec, s[24:25]
.LBB113_6:                              ;   in Loop: Header=BB113_2 Depth=1
	s_or_b64 exec, exec, s[20:21]
	v_add_u32_e32 v56, v57, v2
	v_sub_u32_e32 v57, v28, v57
	ds_read_u8 v59, v56
	ds_read_u8 v60, v57
	v_cmp_le_i32_e64 s[20:21], v3, v56
	v_cmp_gt_i32_e64 s[18:19], v4, v57
                                        ; implicit-def: $vgpr58
	s_waitcnt lgkmcnt(0)
	v_cmp_lt_u16_sdwa s[24:25], v60, v59 src0_sel:BYTE_0 src1_sel:BYTE_0
	s_or_b64 s[20:21], s[20:21], s[24:25]
	s_and_b64 s[18:19], s[18:19], s[20:21]
	s_xor_b64 s[20:21], s[18:19], -1
	s_and_saveexec_b64 s[24:25], s[20:21]
	s_xor_b64 s[20:21], exec, s[24:25]
; %bb.7:                                ;   in Loop: Header=BB113_2 Depth=1
	ds_read_u8 v58, v56 offset:1
; %bb.8:                                ;   in Loop: Header=BB113_2 Depth=1
	s_or_saveexec_b64 s[20:21], s[20:21]
	v_mov_b32_e32 v61, v60
	s_xor_b64 exec, exec, s[20:21]
	s_cbranch_execz .LBB113_10
; %bb.9:                                ;   in Loop: Header=BB113_2 Depth=1
	ds_read_u8 v61, v57 offset:1
	s_waitcnt lgkmcnt(1)
	v_mov_b32_e32 v58, v59
.LBB113_10:                             ;   in Loop: Header=BB113_2 Depth=1
	s_or_b64 exec, exec, s[20:21]
	v_add_u32_e32 v62, 1, v56
	v_cndmask_b32_e64 v59, v59, v60, s[18:19]
	v_add_u32_e32 v60, 1, v57
	v_cndmask_b32_e64 v62, v62, v56, s[18:19]
	v_cndmask_b32_e64 v60, v57, v60, s[18:19]
	v_cndmask_b32_e64 v56, v56, v57, s[18:19]
	v_perm_b32 v57, v55, v54, s28
	v_perm_b32 v54, v54, v55, s28
	v_cmp_ge_i32_e64 s[18:19], v62, v3
	s_waitcnt lgkmcnt(0)
	v_cmp_lt_u16_sdwa s[20:21], v61, v58 src0_sel:BYTE_0 src1_sel:BYTE_0
	v_cndmask_b32_e64 v54, v54, v57, s[16:17]
	v_cmp_lt_i32_e64 s[16:17], v60, v4
	s_or_b64 s[18:19], s[18:19], s[20:21]
	s_and_b64 s[16:17], s[16:17], s[18:19]
	v_cndmask_b32_e64 v55, v62, v60, s[16:17]
	s_barrier
	ds_write_b8 v1, v54
	v_lshrrev_b16_e32 v54, 8, v54
	ds_write_b8 v1, v54 offset:1
	s_waitcnt lgkmcnt(0)
	s_barrier
	ds_read_u8 v54, v56
	ds_read_u8 v55, v55
	v_cndmask_b32_e64 v57, v58, v61, s[16:17]
	s_waitcnt lgkmcnt(0)
	s_barrier
	ds_write_b8 v1, v59
	ds_write_b8 v1, v57 offset:1
	v_mov_b32_e32 v57, v29
	s_waitcnt lgkmcnt(0)
	s_barrier
	s_and_saveexec_b64 s[18:19], s[0:1]
	s_cbranch_execz .LBB113_14
; %bb.11:                               ;   in Loop: Header=BB113_2 Depth=1
	s_mov_b64 s[20:21], 0
	v_mov_b32_e32 v57, v29
	v_mov_b32_e32 v56, v30
.LBB113_12:                             ;   Parent Loop BB113_2 Depth=1
                                        ; =>  This Inner Loop Header: Depth=2
	v_sub_u32_e32 v58, v56, v57
	v_lshrrev_b32_e32 v58, 1, v58
	v_add_u32_e32 v58, v58, v57
	v_add_u32_e32 v59, v5, v58
	v_xad_u32 v60, v58, -1, v31
	ds_read_u8 v59, v59
	ds_read_u8 v60, v60
	v_add_u32_e32 v61, 1, v58
	s_waitcnt lgkmcnt(0)
	v_cmp_lt_u16_e64 s[16:17], v60, v59
	v_cndmask_b32_e64 v56, v56, v58, s[16:17]
	v_cndmask_b32_e64 v57, v61, v57, s[16:17]
	v_cmp_ge_i32_e64 s[16:17], v57, v56
	s_or_b64 s[20:21], s[16:17], s[20:21]
	s_andn2_b64 exec, exec, s[20:21]
	s_cbranch_execnz .LBB113_12
; %bb.13:                               ;   in Loop: Header=BB113_2 Depth=1
	s_or_b64 exec, exec, s[20:21]
.LBB113_14:                             ;   in Loop: Header=BB113_2 Depth=1
	s_or_b64 exec, exec, s[18:19]
	v_add_u32_e32 v56, v57, v5
	v_sub_u32_e32 v57, v31, v57
	ds_read_u8 v58, v56
	ds_read_u8 v59, v57
	v_cmp_le_i32_e64 s[18:19], v6, v56
	v_cmp_gt_i32_e64 s[16:17], v7, v57
                                        ; implicit-def: $vgpr60
	s_waitcnt lgkmcnt(0)
	v_cmp_lt_u16_sdwa s[20:21], v59, v58 src0_sel:BYTE_0 src1_sel:BYTE_0
	s_or_b64 s[18:19], s[18:19], s[20:21]
	s_and_b64 s[16:17], s[16:17], s[18:19]
	s_xor_b64 s[18:19], s[16:17], -1
	s_and_saveexec_b64 s[20:21], s[18:19]
	s_xor_b64 s[18:19], exec, s[20:21]
; %bb.15:                               ;   in Loop: Header=BB113_2 Depth=1
	ds_read_u8 v60, v56 offset:1
; %bb.16:                               ;   in Loop: Header=BB113_2 Depth=1
	s_or_saveexec_b64 s[18:19], s[18:19]
	v_mov_b32_e32 v61, v59
	s_xor_b64 exec, exec, s[18:19]
	s_cbranch_execz .LBB113_18
; %bb.17:                               ;   in Loop: Header=BB113_2 Depth=1
	ds_read_u8 v61, v57 offset:1
	s_waitcnt lgkmcnt(1)
	v_mov_b32_e32 v60, v58
.LBB113_18:                             ;   in Loop: Header=BB113_2 Depth=1
	s_or_b64 exec, exec, s[18:19]
	v_add_u32_e32 v62, 1, v56
	v_cndmask_b32_e64 v58, v58, v59, s[16:17]
	v_add_u32_e32 v59, 1, v57
	v_cndmask_b32_e64 v62, v62, v56, s[16:17]
	v_cndmask_b32_e64 v59, v57, v59, s[16:17]
	v_cmp_ge_i32_e64 s[18:19], v62, v6
	s_waitcnt lgkmcnt(0)
	v_cmp_lt_u16_sdwa s[20:21], v61, v60 src0_sel:BYTE_0 src1_sel:BYTE_0
	v_cndmask_b32_e64 v56, v56, v57, s[16:17]
	v_cmp_lt_i32_e64 s[16:17], v59, v7
	s_or_b64 s[18:19], s[18:19], s[20:21]
	s_and_b64 s[16:17], s[16:17], s[18:19]
	v_cndmask_b32_e64 v59, v62, v59, s[16:17]
	s_barrier
	ds_write_b8 v1, v54
	ds_write_b8 v1, v55 offset:1
	s_waitcnt lgkmcnt(0)
	s_barrier
	ds_read_u8 v54, v56
	ds_read_u8 v55, v59
	v_cndmask_b32_e64 v57, v60, v61, s[16:17]
	s_waitcnt lgkmcnt(0)
	s_barrier
	ds_write_b8 v1, v58
	ds_write_b8 v1, v57 offset:1
	v_mov_b32_e32 v57, v32
	s_waitcnt lgkmcnt(0)
	s_barrier
	s_and_saveexec_b64 s[18:19], s[2:3]
	s_cbranch_execz .LBB113_22
; %bb.19:                               ;   in Loop: Header=BB113_2 Depth=1
	s_mov_b64 s[20:21], 0
	v_mov_b32_e32 v57, v32
	v_mov_b32_e32 v56, v33
.LBB113_20:                             ;   Parent Loop BB113_2 Depth=1
                                        ; =>  This Inner Loop Header: Depth=2
	v_sub_u32_e32 v58, v56, v57
	v_lshrrev_b32_e32 v58, 1, v58
	v_add_u32_e32 v58, v58, v57
	v_add_u32_e32 v59, v8, v58
	v_xad_u32 v60, v58, -1, v34
	ds_read_u8 v59, v59
	ds_read_u8 v60, v60
	v_add_u32_e32 v61, 1, v58
	s_waitcnt lgkmcnt(0)
	v_cmp_lt_u16_e64 s[16:17], v60, v59
	v_cndmask_b32_e64 v56, v56, v58, s[16:17]
	v_cndmask_b32_e64 v57, v61, v57, s[16:17]
	v_cmp_ge_i32_e64 s[16:17], v57, v56
	s_or_b64 s[20:21], s[16:17], s[20:21]
	s_andn2_b64 exec, exec, s[20:21]
	s_cbranch_execnz .LBB113_20
; %bb.21:                               ;   in Loop: Header=BB113_2 Depth=1
	s_or_b64 exec, exec, s[20:21]
.LBB113_22:                             ;   in Loop: Header=BB113_2 Depth=1
	s_or_b64 exec, exec, s[18:19]
	v_add_u32_e32 v56, v57, v8
	v_sub_u32_e32 v57, v34, v57
	ds_read_u8 v58, v56
	ds_read_u8 v59, v57
	v_cmp_le_i32_e64 s[18:19], v9, v56
	v_cmp_gt_i32_e64 s[16:17], v10, v57
                                        ; implicit-def: $vgpr60
	s_waitcnt lgkmcnt(0)
	v_cmp_lt_u16_sdwa s[20:21], v59, v58 src0_sel:BYTE_0 src1_sel:BYTE_0
	s_or_b64 s[18:19], s[18:19], s[20:21]
	s_and_b64 s[16:17], s[16:17], s[18:19]
	s_xor_b64 s[18:19], s[16:17], -1
	s_and_saveexec_b64 s[20:21], s[18:19]
	s_xor_b64 s[18:19], exec, s[20:21]
; %bb.23:                               ;   in Loop: Header=BB113_2 Depth=1
	ds_read_u8 v60, v56 offset:1
; %bb.24:                               ;   in Loop: Header=BB113_2 Depth=1
	s_or_saveexec_b64 s[18:19], s[18:19]
	v_mov_b32_e32 v61, v59
	s_xor_b64 exec, exec, s[18:19]
	s_cbranch_execz .LBB113_26
; %bb.25:                               ;   in Loop: Header=BB113_2 Depth=1
	ds_read_u8 v61, v57 offset:1
	s_waitcnt lgkmcnt(1)
	v_mov_b32_e32 v60, v58
.LBB113_26:                             ;   in Loop: Header=BB113_2 Depth=1
	s_or_b64 exec, exec, s[18:19]
	v_add_u32_e32 v62, 1, v56
	v_cndmask_b32_e64 v58, v58, v59, s[16:17]
	v_add_u32_e32 v59, 1, v57
	v_cndmask_b32_e64 v62, v62, v56, s[16:17]
	v_cndmask_b32_e64 v59, v57, v59, s[16:17]
	v_cmp_ge_i32_e64 s[18:19], v62, v9
	s_waitcnt lgkmcnt(0)
	v_cmp_lt_u16_sdwa s[20:21], v61, v60 src0_sel:BYTE_0 src1_sel:BYTE_0
	v_cndmask_b32_e64 v56, v56, v57, s[16:17]
	v_cmp_lt_i32_e64 s[16:17], v59, v10
	s_or_b64 s[18:19], s[18:19], s[20:21]
	s_and_b64 s[16:17], s[16:17], s[18:19]
	v_cndmask_b32_e64 v59, v62, v59, s[16:17]
	s_barrier
	ds_write_b8 v1, v54
	ds_write_b8 v1, v55 offset:1
	s_waitcnt lgkmcnt(0)
	s_barrier
	ds_read_u8 v54, v56
	ds_read_u8 v55, v59
	v_cndmask_b32_e64 v57, v60, v61, s[16:17]
	s_waitcnt lgkmcnt(0)
	s_barrier
	ds_write_b8 v1, v58
	ds_write_b8 v1, v57 offset:1
	v_mov_b32_e32 v57, v35
	s_waitcnt lgkmcnt(0)
	s_barrier
	s_and_saveexec_b64 s[18:19], s[4:5]
	s_cbranch_execz .LBB113_30
; %bb.27:                               ;   in Loop: Header=BB113_2 Depth=1
	s_mov_b64 s[20:21], 0
	v_mov_b32_e32 v57, v35
	v_mov_b32_e32 v56, v36
.LBB113_28:                             ;   Parent Loop BB113_2 Depth=1
                                        ; =>  This Inner Loop Header: Depth=2
	v_sub_u32_e32 v58, v56, v57
	v_lshrrev_b32_e32 v58, 1, v58
	v_add_u32_e32 v58, v58, v57
	v_add_u32_e32 v59, v11, v58
	v_xad_u32 v60, v58, -1, v37
	ds_read_u8 v59, v59
	ds_read_u8 v60, v60
	v_add_u32_e32 v61, 1, v58
	s_waitcnt lgkmcnt(0)
	v_cmp_lt_u16_e64 s[16:17], v60, v59
	v_cndmask_b32_e64 v56, v56, v58, s[16:17]
	v_cndmask_b32_e64 v57, v61, v57, s[16:17]
	v_cmp_ge_i32_e64 s[16:17], v57, v56
	s_or_b64 s[20:21], s[16:17], s[20:21]
	s_andn2_b64 exec, exec, s[20:21]
	s_cbranch_execnz .LBB113_28
; %bb.29:                               ;   in Loop: Header=BB113_2 Depth=1
	s_or_b64 exec, exec, s[20:21]
.LBB113_30:                             ;   in Loop: Header=BB113_2 Depth=1
	s_or_b64 exec, exec, s[18:19]
	v_add_u32_e32 v56, v57, v11
	v_sub_u32_e32 v57, v37, v57
	ds_read_u8 v58, v56
	ds_read_u8 v59, v57
	v_cmp_le_i32_e64 s[18:19], v12, v56
	v_cmp_gt_i32_e64 s[16:17], v13, v57
                                        ; implicit-def: $vgpr60
	s_waitcnt lgkmcnt(0)
	v_cmp_lt_u16_sdwa s[20:21], v59, v58 src0_sel:BYTE_0 src1_sel:BYTE_0
	s_or_b64 s[18:19], s[18:19], s[20:21]
	s_and_b64 s[16:17], s[16:17], s[18:19]
	s_xor_b64 s[18:19], s[16:17], -1
	s_and_saveexec_b64 s[20:21], s[18:19]
	s_xor_b64 s[18:19], exec, s[20:21]
; %bb.31:                               ;   in Loop: Header=BB113_2 Depth=1
	ds_read_u8 v60, v56 offset:1
; %bb.32:                               ;   in Loop: Header=BB113_2 Depth=1
	s_or_saveexec_b64 s[18:19], s[18:19]
	v_mov_b32_e32 v61, v59
	s_xor_b64 exec, exec, s[18:19]
	s_cbranch_execz .LBB113_34
; %bb.33:                               ;   in Loop: Header=BB113_2 Depth=1
	ds_read_u8 v61, v57 offset:1
	s_waitcnt lgkmcnt(1)
	v_mov_b32_e32 v60, v58
.LBB113_34:                             ;   in Loop: Header=BB113_2 Depth=1
	s_or_b64 exec, exec, s[18:19]
	v_add_u32_e32 v62, 1, v56
	v_cndmask_b32_e64 v58, v58, v59, s[16:17]
	v_add_u32_e32 v59, 1, v57
	v_cndmask_b32_e64 v62, v62, v56, s[16:17]
	v_cndmask_b32_e64 v59, v57, v59, s[16:17]
	v_cmp_ge_i32_e64 s[18:19], v62, v12
	s_waitcnt lgkmcnt(0)
	v_cmp_lt_u16_sdwa s[20:21], v61, v60 src0_sel:BYTE_0 src1_sel:BYTE_0
	v_cndmask_b32_e64 v56, v56, v57, s[16:17]
	v_cmp_lt_i32_e64 s[16:17], v59, v13
	s_or_b64 s[18:19], s[18:19], s[20:21]
	s_and_b64 s[16:17], s[16:17], s[18:19]
	v_cndmask_b32_e64 v59, v62, v59, s[16:17]
	s_barrier
	ds_write_b8 v1, v54
	ds_write_b8 v1, v55 offset:1
	s_waitcnt lgkmcnt(0)
	s_barrier
	ds_read_u8 v54, v56
	ds_read_u8 v55, v59
	v_cndmask_b32_e64 v57, v60, v61, s[16:17]
	s_waitcnt lgkmcnt(0)
	s_barrier
	ds_write_b8 v1, v58
	ds_write_b8 v1, v57 offset:1
	v_mov_b32_e32 v57, v38
	s_waitcnt lgkmcnt(0)
	s_barrier
	s_and_saveexec_b64 s[18:19], s[6:7]
	s_cbranch_execz .LBB113_38
; %bb.35:                               ;   in Loop: Header=BB113_2 Depth=1
	s_mov_b64 s[20:21], 0
	v_mov_b32_e32 v57, v38
	v_mov_b32_e32 v56, v39
.LBB113_36:                             ;   Parent Loop BB113_2 Depth=1
                                        ; =>  This Inner Loop Header: Depth=2
	v_sub_u32_e32 v58, v56, v57
	v_lshrrev_b32_e32 v58, 1, v58
	v_add_u32_e32 v58, v58, v57
	v_add_u32_e32 v59, v14, v58
	v_xad_u32 v60, v58, -1, v40
	ds_read_u8 v59, v59
	ds_read_u8 v60, v60
	v_add_u32_e32 v61, 1, v58
	s_waitcnt lgkmcnt(0)
	v_cmp_lt_u16_e64 s[16:17], v60, v59
	v_cndmask_b32_e64 v56, v56, v58, s[16:17]
	v_cndmask_b32_e64 v57, v61, v57, s[16:17]
	v_cmp_ge_i32_e64 s[16:17], v57, v56
	s_or_b64 s[20:21], s[16:17], s[20:21]
	s_andn2_b64 exec, exec, s[20:21]
	s_cbranch_execnz .LBB113_36
; %bb.37:                               ;   in Loop: Header=BB113_2 Depth=1
	s_or_b64 exec, exec, s[20:21]
.LBB113_38:                             ;   in Loop: Header=BB113_2 Depth=1
	s_or_b64 exec, exec, s[18:19]
	v_add_u32_e32 v56, v57, v14
	v_sub_u32_e32 v57, v40, v57
	ds_read_u8 v58, v56
	ds_read_u8 v59, v57
	v_cmp_le_i32_e64 s[18:19], v15, v56
	v_cmp_gt_i32_e64 s[16:17], v16, v57
                                        ; implicit-def: $vgpr60
	s_waitcnt lgkmcnt(0)
	v_cmp_lt_u16_sdwa s[20:21], v59, v58 src0_sel:BYTE_0 src1_sel:BYTE_0
	s_or_b64 s[18:19], s[18:19], s[20:21]
	s_and_b64 s[16:17], s[16:17], s[18:19]
	s_xor_b64 s[18:19], s[16:17], -1
	s_and_saveexec_b64 s[20:21], s[18:19]
	s_xor_b64 s[18:19], exec, s[20:21]
; %bb.39:                               ;   in Loop: Header=BB113_2 Depth=1
	ds_read_u8 v60, v56 offset:1
; %bb.40:                               ;   in Loop: Header=BB113_2 Depth=1
	s_or_saveexec_b64 s[18:19], s[18:19]
	v_mov_b32_e32 v61, v59
	s_xor_b64 exec, exec, s[18:19]
	s_cbranch_execz .LBB113_42
; %bb.41:                               ;   in Loop: Header=BB113_2 Depth=1
	ds_read_u8 v61, v57 offset:1
	s_waitcnt lgkmcnt(1)
	v_mov_b32_e32 v60, v58
.LBB113_42:                             ;   in Loop: Header=BB113_2 Depth=1
	s_or_b64 exec, exec, s[18:19]
	v_add_u32_e32 v62, 1, v56
	v_cndmask_b32_e64 v58, v58, v59, s[16:17]
	v_add_u32_e32 v59, 1, v57
	v_cndmask_b32_e64 v62, v62, v56, s[16:17]
	v_cndmask_b32_e64 v59, v57, v59, s[16:17]
	v_cmp_ge_i32_e64 s[18:19], v62, v15
	s_waitcnt lgkmcnt(0)
	v_cmp_lt_u16_sdwa s[20:21], v61, v60 src0_sel:BYTE_0 src1_sel:BYTE_0
	v_cndmask_b32_e64 v56, v56, v57, s[16:17]
	v_cmp_lt_i32_e64 s[16:17], v59, v16
	s_or_b64 s[18:19], s[18:19], s[20:21]
	s_and_b64 s[16:17], s[16:17], s[18:19]
	v_cndmask_b32_e64 v59, v62, v59, s[16:17]
	s_barrier
	ds_write_b8 v1, v54
	ds_write_b8 v1, v55 offset:1
	s_waitcnt lgkmcnt(0)
	s_barrier
	ds_read_u8 v54, v56
	ds_read_u8 v55, v59
	v_cndmask_b32_e64 v57, v60, v61, s[16:17]
	s_waitcnt lgkmcnt(0)
	s_barrier
	ds_write_b8 v1, v58
	ds_write_b8 v1, v57 offset:1
	v_mov_b32_e32 v57, v41
	s_waitcnt lgkmcnt(0)
	s_barrier
	s_and_saveexec_b64 s[18:19], s[8:9]
	s_cbranch_execz .LBB113_46
; %bb.43:                               ;   in Loop: Header=BB113_2 Depth=1
	s_mov_b64 s[20:21], 0
	v_mov_b32_e32 v57, v41
	v_mov_b32_e32 v56, v42
.LBB113_44:                             ;   Parent Loop BB113_2 Depth=1
                                        ; =>  This Inner Loop Header: Depth=2
	v_sub_u32_e32 v58, v56, v57
	v_lshrrev_b32_e32 v58, 1, v58
	v_add_u32_e32 v58, v58, v57
	v_add_u32_e32 v59, v17, v58
	v_xad_u32 v60, v58, -1, v43
	ds_read_u8 v59, v59
	ds_read_u8 v60, v60
	v_add_u32_e32 v61, 1, v58
	s_waitcnt lgkmcnt(0)
	v_cmp_lt_u16_e64 s[16:17], v60, v59
	v_cndmask_b32_e64 v56, v56, v58, s[16:17]
	v_cndmask_b32_e64 v57, v61, v57, s[16:17]
	v_cmp_ge_i32_e64 s[16:17], v57, v56
	s_or_b64 s[20:21], s[16:17], s[20:21]
	s_andn2_b64 exec, exec, s[20:21]
	s_cbranch_execnz .LBB113_44
; %bb.45:                               ;   in Loop: Header=BB113_2 Depth=1
	s_or_b64 exec, exec, s[20:21]
.LBB113_46:                             ;   in Loop: Header=BB113_2 Depth=1
	s_or_b64 exec, exec, s[18:19]
	v_add_u32_e32 v56, v57, v17
	v_sub_u32_e32 v57, v43, v57
	ds_read_u8 v58, v56
	ds_read_u8 v59, v57
	v_cmp_le_i32_e64 s[18:19], v18, v56
	v_cmp_gt_i32_e64 s[16:17], v19, v57
                                        ; implicit-def: $vgpr60
	s_waitcnt lgkmcnt(0)
	v_cmp_lt_u16_sdwa s[20:21], v59, v58 src0_sel:BYTE_0 src1_sel:BYTE_0
	s_or_b64 s[18:19], s[18:19], s[20:21]
	s_and_b64 s[16:17], s[16:17], s[18:19]
	s_xor_b64 s[18:19], s[16:17], -1
	s_and_saveexec_b64 s[20:21], s[18:19]
	s_xor_b64 s[18:19], exec, s[20:21]
; %bb.47:                               ;   in Loop: Header=BB113_2 Depth=1
	ds_read_u8 v60, v56 offset:1
; %bb.48:                               ;   in Loop: Header=BB113_2 Depth=1
	s_or_saveexec_b64 s[18:19], s[18:19]
	v_mov_b32_e32 v61, v59
	s_xor_b64 exec, exec, s[18:19]
	s_cbranch_execz .LBB113_50
; %bb.49:                               ;   in Loop: Header=BB113_2 Depth=1
	ds_read_u8 v61, v57 offset:1
	s_waitcnt lgkmcnt(1)
	v_mov_b32_e32 v60, v58
.LBB113_50:                             ;   in Loop: Header=BB113_2 Depth=1
	s_or_b64 exec, exec, s[18:19]
	v_add_u32_e32 v62, 1, v56
	v_cndmask_b32_e64 v58, v58, v59, s[16:17]
	v_add_u32_e32 v59, 1, v57
	v_cndmask_b32_e64 v62, v62, v56, s[16:17]
	v_cndmask_b32_e64 v59, v57, v59, s[16:17]
	v_cmp_ge_i32_e64 s[18:19], v62, v18
	s_waitcnt lgkmcnt(0)
	v_cmp_lt_u16_sdwa s[20:21], v61, v60 src0_sel:BYTE_0 src1_sel:BYTE_0
	v_cndmask_b32_e64 v56, v56, v57, s[16:17]
	v_cmp_lt_i32_e64 s[16:17], v59, v19
	s_or_b64 s[18:19], s[18:19], s[20:21]
	s_and_b64 s[16:17], s[16:17], s[18:19]
	v_cndmask_b32_e64 v59, v62, v59, s[16:17]
	s_barrier
	ds_write_b8 v1, v54
	ds_write_b8 v1, v55 offset:1
	s_waitcnt lgkmcnt(0)
	s_barrier
	ds_read_u8 v54, v56
	ds_read_u8 v55, v59
	v_cndmask_b32_e64 v57, v60, v61, s[16:17]
	s_waitcnt lgkmcnt(0)
	s_barrier
	ds_write_b8 v1, v58
	ds_write_b8 v1, v57 offset:1
	v_mov_b32_e32 v57, v44
	s_waitcnt lgkmcnt(0)
	s_barrier
	s_and_saveexec_b64 s[18:19], s[10:11]
	s_cbranch_execz .LBB113_54
; %bb.51:                               ;   in Loop: Header=BB113_2 Depth=1
	s_mov_b64 s[20:21], 0
	v_mov_b32_e32 v57, v44
	v_mov_b32_e32 v56, v45
.LBB113_52:                             ;   Parent Loop BB113_2 Depth=1
                                        ; =>  This Inner Loop Header: Depth=2
	v_sub_u32_e32 v58, v56, v57
	v_lshrrev_b32_e32 v58, 1, v58
	v_add_u32_e32 v58, v58, v57
	v_add_u32_e32 v59, v20, v58
	v_xad_u32 v60, v58, -1, v46
	ds_read_u8 v59, v59
	ds_read_u8 v60, v60
	v_add_u32_e32 v61, 1, v58
	s_waitcnt lgkmcnt(0)
	v_cmp_lt_u16_e64 s[16:17], v60, v59
	v_cndmask_b32_e64 v56, v56, v58, s[16:17]
	v_cndmask_b32_e64 v57, v61, v57, s[16:17]
	v_cmp_ge_i32_e64 s[16:17], v57, v56
	s_or_b64 s[20:21], s[16:17], s[20:21]
	s_andn2_b64 exec, exec, s[20:21]
	s_cbranch_execnz .LBB113_52
; %bb.53:                               ;   in Loop: Header=BB113_2 Depth=1
	s_or_b64 exec, exec, s[20:21]
.LBB113_54:                             ;   in Loop: Header=BB113_2 Depth=1
	s_or_b64 exec, exec, s[18:19]
	v_add_u32_e32 v56, v57, v20
	v_sub_u32_e32 v57, v46, v57
	ds_read_u8 v58, v56
	ds_read_u8 v59, v57
	v_cmp_le_i32_e64 s[18:19], v21, v56
	v_cmp_gt_i32_e64 s[16:17], v22, v57
                                        ; implicit-def: $vgpr60
	s_waitcnt lgkmcnt(0)
	v_cmp_lt_u16_sdwa s[20:21], v59, v58 src0_sel:BYTE_0 src1_sel:BYTE_0
	s_or_b64 s[18:19], s[18:19], s[20:21]
	s_and_b64 s[16:17], s[16:17], s[18:19]
	s_xor_b64 s[18:19], s[16:17], -1
	s_and_saveexec_b64 s[20:21], s[18:19]
	s_xor_b64 s[18:19], exec, s[20:21]
; %bb.55:                               ;   in Loop: Header=BB113_2 Depth=1
	ds_read_u8 v60, v56 offset:1
; %bb.56:                               ;   in Loop: Header=BB113_2 Depth=1
	s_or_saveexec_b64 s[18:19], s[18:19]
	v_mov_b32_e32 v61, v59
	s_xor_b64 exec, exec, s[18:19]
	s_cbranch_execz .LBB113_58
; %bb.57:                               ;   in Loop: Header=BB113_2 Depth=1
	ds_read_u8 v61, v57 offset:1
	s_waitcnt lgkmcnt(1)
	v_mov_b32_e32 v60, v58
.LBB113_58:                             ;   in Loop: Header=BB113_2 Depth=1
	s_or_b64 exec, exec, s[18:19]
	v_add_u32_e32 v62, 1, v56
	v_cndmask_b32_e64 v58, v58, v59, s[16:17]
	v_add_u32_e32 v59, 1, v57
	v_cndmask_b32_e64 v62, v62, v56, s[16:17]
	v_cndmask_b32_e64 v59, v57, v59, s[16:17]
	v_cmp_ge_i32_e64 s[18:19], v62, v21
	s_waitcnt lgkmcnt(0)
	v_cmp_lt_u16_sdwa s[20:21], v61, v60 src0_sel:BYTE_0 src1_sel:BYTE_0
	v_cndmask_b32_e64 v56, v56, v57, s[16:17]
	v_cmp_lt_i32_e64 s[16:17], v59, v22
	s_or_b64 s[18:19], s[18:19], s[20:21]
	s_and_b64 s[16:17], s[16:17], s[18:19]
	v_cndmask_b32_e64 v59, v62, v59, s[16:17]
	s_barrier
	ds_write_b8 v1, v54
	ds_write_b8 v1, v55 offset:1
	s_waitcnt lgkmcnt(0)
	s_barrier
	ds_read_u8 v54, v56
	ds_read_u8 v55, v59
	v_cndmask_b32_e64 v57, v60, v61, s[16:17]
	s_waitcnt lgkmcnt(0)
	s_barrier
	ds_write_b8 v1, v58
	ds_write_b8 v1, v57 offset:1
	v_mov_b32_e32 v57, v47
	s_waitcnt lgkmcnt(0)
	s_barrier
	s_and_saveexec_b64 s[18:19], s[12:13]
	s_cbranch_execz .LBB113_62
; %bb.59:                               ;   in Loop: Header=BB113_2 Depth=1
	s_mov_b64 s[20:21], 0
	v_mov_b32_e32 v57, v47
	v_mov_b32_e32 v56, v48
.LBB113_60:                             ;   Parent Loop BB113_2 Depth=1
                                        ; =>  This Inner Loop Header: Depth=2
	v_sub_u32_e32 v58, v56, v57
	v_lshrrev_b32_e32 v58, 1, v58
	v_add_u32_e32 v58, v58, v57
	v_add_u32_e32 v59, v23, v58
	v_xad_u32 v60, v58, -1, v49
	ds_read_u8 v59, v59
	ds_read_u8 v60, v60
	v_add_u32_e32 v61, 1, v58
	s_waitcnt lgkmcnt(0)
	v_cmp_lt_u16_e64 s[16:17], v60, v59
	v_cndmask_b32_e64 v56, v56, v58, s[16:17]
	v_cndmask_b32_e64 v57, v61, v57, s[16:17]
	v_cmp_ge_i32_e64 s[16:17], v57, v56
	s_or_b64 s[20:21], s[16:17], s[20:21]
	s_andn2_b64 exec, exec, s[20:21]
	s_cbranch_execnz .LBB113_60
; %bb.61:                               ;   in Loop: Header=BB113_2 Depth=1
	s_or_b64 exec, exec, s[20:21]
.LBB113_62:                             ;   in Loop: Header=BB113_2 Depth=1
	s_or_b64 exec, exec, s[18:19]
	v_add_u32_e32 v56, v57, v23
	v_sub_u32_e32 v57, v49, v57
	ds_read_u8 v58, v56
	ds_read_u8 v59, v57
	v_cmp_le_i32_e64 s[18:19], v24, v56
	v_cmp_gt_i32_e64 s[16:17], v25, v57
                                        ; implicit-def: $vgpr60
	s_waitcnt lgkmcnt(0)
	v_cmp_lt_u16_sdwa s[20:21], v59, v58 src0_sel:BYTE_0 src1_sel:BYTE_0
	s_or_b64 s[18:19], s[18:19], s[20:21]
	s_and_b64 s[16:17], s[16:17], s[18:19]
	s_xor_b64 s[18:19], s[16:17], -1
	s_and_saveexec_b64 s[20:21], s[18:19]
	s_xor_b64 s[18:19], exec, s[20:21]
; %bb.63:                               ;   in Loop: Header=BB113_2 Depth=1
	ds_read_u8 v60, v56 offset:1
; %bb.64:                               ;   in Loop: Header=BB113_2 Depth=1
	s_or_saveexec_b64 s[18:19], s[18:19]
	v_mov_b32_e32 v61, v59
	s_xor_b64 exec, exec, s[18:19]
	s_cbranch_execz .LBB113_66
; %bb.65:                               ;   in Loop: Header=BB113_2 Depth=1
	ds_read_u8 v61, v57 offset:1
	s_waitcnt lgkmcnt(1)
	v_mov_b32_e32 v60, v58
.LBB113_66:                             ;   in Loop: Header=BB113_2 Depth=1
	s_or_b64 exec, exec, s[18:19]
	v_add_u32_e32 v62, 1, v56
	v_cndmask_b32_e64 v58, v58, v59, s[16:17]
	v_add_u32_e32 v59, 1, v57
	v_cndmask_b32_e64 v62, v62, v56, s[16:17]
	v_cndmask_b32_e64 v59, v57, v59, s[16:17]
	v_cmp_ge_i32_e64 s[18:19], v62, v24
	s_waitcnt lgkmcnt(0)
	v_cmp_lt_u16_sdwa s[20:21], v61, v60 src0_sel:BYTE_0 src1_sel:BYTE_0
	v_cndmask_b32_e64 v56, v56, v57, s[16:17]
	v_cmp_lt_i32_e64 s[16:17], v59, v25
	s_or_b64 s[18:19], s[18:19], s[20:21]
	s_and_b64 s[16:17], s[16:17], s[18:19]
	v_cndmask_b32_e64 v59, v62, v59, s[16:17]
	s_barrier
	ds_write_b8 v1, v54
	ds_write_b8 v1, v55 offset:1
	s_waitcnt lgkmcnt(0)
	s_barrier
	ds_read_u8 v54, v56
	ds_read_u8 v55, v59
	v_mov_b32_e32 v56, v51
	v_cndmask_b32_e64 v57, v60, v61, s[16:17]
	s_waitcnt lgkmcnt(0)
	s_barrier
	ds_write_b8 v1, v58
	ds_write_b8 v1, v57 offset:1
	s_waitcnt lgkmcnt(0)
	s_barrier
	s_and_saveexec_b64 s[18:19], s[14:15]
	s_cbranch_execz .LBB113_70
; %bb.67:                               ;   in Loop: Header=BB113_2 Depth=1
	s_mov_b64 s[20:21], 0
	v_mov_b32_e32 v56, v51
	v_mov_b32_e32 v57, v52
.LBB113_68:                             ;   Parent Loop BB113_2 Depth=1
                                        ; =>  This Inner Loop Header: Depth=2
	v_sub_u32_e32 v58, v57, v56
	v_lshrrev_b32_e32 v58, 1, v58
	v_add_u32_e32 v58, v58, v56
	v_xad_u32 v59, v58, -1, v53
	ds_read_u8 v60, v58
	ds_read_u8 v59, v59
	v_add_u32_e32 v61, 1, v58
	s_waitcnt lgkmcnt(0)
	v_cmp_lt_u16_e64 s[16:17], v59, v60
	v_cndmask_b32_e64 v57, v57, v58, s[16:17]
	v_cndmask_b32_e64 v56, v61, v56, s[16:17]
	v_cmp_ge_i32_e64 s[16:17], v56, v57
	s_or_b64 s[20:21], s[16:17], s[20:21]
	s_andn2_b64 exec, exec, s[20:21]
	s_cbranch_execnz .LBB113_68
; %bb.69:                               ;   in Loop: Header=BB113_2 Depth=1
	s_or_b64 exec, exec, s[20:21]
.LBB113_70:                             ;   in Loop: Header=BB113_2 Depth=1
	s_or_b64 exec, exec, s[18:19]
	v_sub_u32_e32 v59, v53, v56
	ds_read_u8 v57, v56
	ds_read_u8 v58, v59
	v_cmp_le_i32_e64 s[18:19], v50, v56
	v_cmp_gt_i32_e64 s[16:17], s29, v59
                                        ; implicit-def: $vgpr61
                                        ; implicit-def: $vgpr60
	s_waitcnt lgkmcnt(0)
	v_cmp_lt_u16_sdwa s[20:21], v58, v57 src0_sel:BYTE_0 src1_sel:BYTE_0
	s_or_b64 s[18:19], s[18:19], s[20:21]
	s_and_b64 s[16:17], s[16:17], s[18:19]
	s_xor_b64 s[18:19], s[16:17], -1
	s_and_saveexec_b64 s[20:21], s[18:19]
	s_xor_b64 s[18:19], exec, s[20:21]
; %bb.71:                               ;   in Loop: Header=BB113_2 Depth=1
	ds_read_u8 v61, v56 offset:1
	v_add_u32_e32 v60, 1, v56
; %bb.72:                               ;   in Loop: Header=BB113_2 Depth=1
	s_or_saveexec_b64 s[18:19], s[18:19]
	v_mov_b32_e32 v62, v56
	v_mov_b32_e32 v63, v58
	s_xor_b64 exec, exec, s[18:19]
	s_cbranch_execz .LBB113_1
; %bb.73:                               ;   in Loop: Header=BB113_2 Depth=1
	ds_read_u8 v63, v59 offset:1
	s_waitcnt lgkmcnt(1)
	v_add_u32_e32 v61, 1, v59
	v_mov_b32_e32 v62, v59
	v_mov_b32_e32 v60, v56
	;; [unrolled: 1-line block ×4, first 2 shown]
	s_branch .LBB113_1
.LBB113_74:
	s_add_u32 s0, s22, s26
	s_addc_u32 s1, s23, 0
	v_mov_b32_e32 v1, s1
	v_add_co_u32_e32 v0, vcc, s0, v0
	s_waitcnt lgkmcnt(1)
	v_add_u16_e32 v2, v57, v54
	v_addc_co_u32_e32 v1, vcc, 0, v1, vcc
	s_waitcnt lgkmcnt(0)
	v_add_u16_e32 v3, v56, v55
	global_store_byte v[0:1], v2, off
	global_store_byte v[0:1], v3, off offset:512
	s_endpgm
	.section	.rodata,"a",@progbits
	.p2align	6, 0x0
	.amdhsa_kernel _Z17sort_pairs_kernelIhLj512ELj2EN10test_utils4lessELj10EEvPKT_PS2_T2_
		.amdhsa_group_segment_fixed_size 1025
		.amdhsa_private_segment_fixed_size 0
		.amdhsa_kernarg_size 20
		.amdhsa_user_sgpr_count 6
		.amdhsa_user_sgpr_private_segment_buffer 1
		.amdhsa_user_sgpr_dispatch_ptr 0
		.amdhsa_user_sgpr_queue_ptr 0
		.amdhsa_user_sgpr_kernarg_segment_ptr 1
		.amdhsa_user_sgpr_dispatch_id 0
		.amdhsa_user_sgpr_flat_scratch_init 0
		.amdhsa_user_sgpr_private_segment_size 0
		.amdhsa_uses_dynamic_stack 0
		.amdhsa_system_sgpr_private_segment_wavefront_offset 0
		.amdhsa_system_sgpr_workgroup_id_x 1
		.amdhsa_system_sgpr_workgroup_id_y 0
		.amdhsa_system_sgpr_workgroup_id_z 0
		.amdhsa_system_sgpr_workgroup_info 0
		.amdhsa_system_vgpr_workitem_id 0
		.amdhsa_next_free_vgpr 64
		.amdhsa_next_free_sgpr 30
		.amdhsa_reserve_vcc 1
		.amdhsa_reserve_flat_scratch 0
		.amdhsa_float_round_mode_32 0
		.amdhsa_float_round_mode_16_64 0
		.amdhsa_float_denorm_mode_32 3
		.amdhsa_float_denorm_mode_16_64 3
		.amdhsa_dx10_clamp 1
		.amdhsa_ieee_mode 1
		.amdhsa_fp16_overflow 0
		.amdhsa_exception_fp_ieee_invalid_op 0
		.amdhsa_exception_fp_denorm_src 0
		.amdhsa_exception_fp_ieee_div_zero 0
		.amdhsa_exception_fp_ieee_overflow 0
		.amdhsa_exception_fp_ieee_underflow 0
		.amdhsa_exception_fp_ieee_inexact 0
		.amdhsa_exception_int_div_zero 0
	.end_amdhsa_kernel
	.section	.text._Z17sort_pairs_kernelIhLj512ELj2EN10test_utils4lessELj10EEvPKT_PS2_T2_,"axG",@progbits,_Z17sort_pairs_kernelIhLj512ELj2EN10test_utils4lessELj10EEvPKT_PS2_T2_,comdat
.Lfunc_end113:
	.size	_Z17sort_pairs_kernelIhLj512ELj2EN10test_utils4lessELj10EEvPKT_PS2_T2_, .Lfunc_end113-_Z17sort_pairs_kernelIhLj512ELj2EN10test_utils4lessELj10EEvPKT_PS2_T2_
                                        ; -- End function
	.set _Z17sort_pairs_kernelIhLj512ELj2EN10test_utils4lessELj10EEvPKT_PS2_T2_.num_vgpr, 64
	.set _Z17sort_pairs_kernelIhLj512ELj2EN10test_utils4lessELj10EEvPKT_PS2_T2_.num_agpr, 0
	.set _Z17sort_pairs_kernelIhLj512ELj2EN10test_utils4lessELj10EEvPKT_PS2_T2_.numbered_sgpr, 30
	.set _Z17sort_pairs_kernelIhLj512ELj2EN10test_utils4lessELj10EEvPKT_PS2_T2_.num_named_barrier, 0
	.set _Z17sort_pairs_kernelIhLj512ELj2EN10test_utils4lessELj10EEvPKT_PS2_T2_.private_seg_size, 0
	.set _Z17sort_pairs_kernelIhLj512ELj2EN10test_utils4lessELj10EEvPKT_PS2_T2_.uses_vcc, 1
	.set _Z17sort_pairs_kernelIhLj512ELj2EN10test_utils4lessELj10EEvPKT_PS2_T2_.uses_flat_scratch, 0
	.set _Z17sort_pairs_kernelIhLj512ELj2EN10test_utils4lessELj10EEvPKT_PS2_T2_.has_dyn_sized_stack, 0
	.set _Z17sort_pairs_kernelIhLj512ELj2EN10test_utils4lessELj10EEvPKT_PS2_T2_.has_recursion, 0
	.set _Z17sort_pairs_kernelIhLj512ELj2EN10test_utils4lessELj10EEvPKT_PS2_T2_.has_indirect_call, 0
	.section	.AMDGPU.csdata,"",@progbits
; Kernel info:
; codeLenInByte = 4444
; TotalNumSgprs: 34
; NumVgprs: 64
; ScratchSize: 0
; MemoryBound: 0
; FloatMode: 240
; IeeeMode: 1
; LDSByteSize: 1025 bytes/workgroup (compile time only)
; SGPRBlocks: 4
; VGPRBlocks: 15
; NumSGPRsForWavesPerEU: 34
; NumVGPRsForWavesPerEU: 64
; Occupancy: 4
; WaveLimiterHint : 1
; COMPUTE_PGM_RSRC2:SCRATCH_EN: 0
; COMPUTE_PGM_RSRC2:USER_SGPR: 6
; COMPUTE_PGM_RSRC2:TRAP_HANDLER: 0
; COMPUTE_PGM_RSRC2:TGID_X_EN: 1
; COMPUTE_PGM_RSRC2:TGID_Y_EN: 0
; COMPUTE_PGM_RSRC2:TGID_Z_EN: 0
; COMPUTE_PGM_RSRC2:TIDIG_COMP_CNT: 0
	.section	.text._Z16sort_keys_kernelIhLj512ELj3EN10test_utils4lessELj10EEvPKT_PS2_T2_,"axG",@progbits,_Z16sort_keys_kernelIhLj512ELj3EN10test_utils4lessELj10EEvPKT_PS2_T2_,comdat
	.protected	_Z16sort_keys_kernelIhLj512ELj3EN10test_utils4lessELj10EEvPKT_PS2_T2_ ; -- Begin function _Z16sort_keys_kernelIhLj512ELj3EN10test_utils4lessELj10EEvPKT_PS2_T2_
	.globl	_Z16sort_keys_kernelIhLj512ELj3EN10test_utils4lessELj10EEvPKT_PS2_T2_
	.p2align	8
	.type	_Z16sort_keys_kernelIhLj512ELj3EN10test_utils4lessELj10EEvPKT_PS2_T2_,@function
_Z16sort_keys_kernelIhLj512ELj3EN10test_utils4lessELj10EEvPKT_PS2_T2_: ; @_Z16sort_keys_kernelIhLj512ELj3EN10test_utils4lessELj10EEvPKT_PS2_T2_
; %bb.0:
	s_load_dwordx4 s[20:23], s[4:5], 0x0
	s_mul_i32 s24, s6, 0x600
	v_and_b32_e32 v1, 0x1fe, v0
	v_and_b32_e32 v2, 1, v0
	;; [unrolled: 1-line block ×3, first 2 shown]
	s_waitcnt lgkmcnt(0)
	s_add_u32 s0, s20, s24
	s_addc_u32 s1, s21, 0
	global_load_ubyte v23, v0, s[0:1] offset:512
	global_load_ubyte v24, v0, s[0:1] offset:1024
	global_load_ubyte v25, v0, s[0:1]
	v_and_b32_e32 v4, 0x1f8, v0
	v_and_b32_e32 v5, 0x1f0, v0
	s_mov_b32 s0, 0xc0c0004
	v_and_b32_e32 v6, 0x1e0, v0
	v_and_b32_e32 v7, 0x1c0, v0
	;; [unrolled: 1-line block ×3, first 2 shown]
	v_mul_u32_u24_e32 v31, 3, v1
	v_cmp_eq_u32_e32 vcc, 1, v2
	v_mul_u32_u24_e32 v2, 3, v3
	v_mul_u32_u24_e32 v3, 3, v4
	;; [unrolled: 1-line block ×3, first 2 shown]
	v_and_b32_e32 v27, 0x100, v0
	v_mul_u32_u24_e32 v5, 3, v6
	v_mul_u32_u24_e32 v6, 3, v7
	v_min_u32_e32 v34, 0x5fd, v31
	v_min_u32_e32 v7, 0x5fa, v31
	;; [unrolled: 1-line block ×6, first 2 shown]
	v_mul_u32_u24_e32 v29, 3, v27
	v_and_b32_e32 v41, 7, v0
	v_and_b32_e32 v44, 15, v0
	v_min_u32_e32 v1, 0x600, v2
	v_min_u32_e32 v37, 0x5fa, v2
	;; [unrolled: 1-line block ×11, first 2 shown]
	v_add_u32_e32 v6, 3, v34
	v_add_u32_e32 v7, 6, v7
	;; [unrolled: 1-line block ×6, first 2 shown]
	v_min_u32_e32 v27, 0x300, v29
	v_min_u32_e32 v69, 0x480, v29
	v_and_b32_e32 v38, 3, v0
	v_and_b32_e32 v47, 31, v0
	;; [unrolled: 1-line block ×3, first 2 shown]
	v_cndmask_b32_e64 v35, 0, 3, vcc
	v_mul_u32_u24_e32 v39, 3, v41
	v_mul_u32_u24_e32 v42, 3, v44
	v_add_u32_e32 v8, 6, v37
	v_add_u32_e32 v9, 12, v9
	;; [unrolled: 1-line block ×6, first 2 shown]
	v_sub_u32_e32 v32, v7, v6
	v_sub_u32_e32 v52, v11, v10
	;; [unrolled: 1-line block ×3, first 2 shown]
	v_and_b32_e32 v61, 0x7f, v0
	v_add_u32_e32 v27, 0x300, v27
	v_and_b32_e32 v67, 0xff, v0
	v_add_u32_e32 v28, 0x180, v69
	v_mul_u32_u24_e32 v36, 3, v38
	v_mul_u32_u24_e32 v45, 3, v47
	;; [unrolled: 1-line block ×3, first 2 shown]
	v_sub_u32_e32 v51, v9, v8
	v_sub_u32_e32 v19, v10, v2
	;; [unrolled: 1-line block ×8, first 2 shown]
	v_mul_u32_u24_e32 v62, 3, v61
	v_mul_u32_u24_e32 v68, 3, v67
	v_sub_u32_e32 v70, v27, v28
	v_min_u32_e32 v29, 0x600, v29
	v_min_u32_e32 v31, 0x600, v31
	v_cmp_ge_i32_e32 vcc, v35, v32
	v_cmp_ge_i32_e64 s[2:3], v39, v52
	s_waitcnt vmcnt(0)
	v_perm_b32 v23, v25, v23, s0
	v_mul_u32_u24_e32 v25, 3, v26
	v_lshl_or_b32 v63, v24, 16, v23
	v_min_u32_e32 v23, 0x480, v25
	v_min_u32_e32 v64, 0x540, v25
	v_add_u32_e32 v23, 0x180, v23
	v_add_u32_e32 v24, 0xc0, v64
	v_sub_u32_e32 v65, v23, v24
	v_min_u32_e32 v25, 0x600, v25
	v_cmp_ge_i32_e64 s[4:5], v42, v53
	v_sub_u32_e32 v18, v8, v1
	v_sub_u32_e32 v21, v15, v4
	;; [unrolled: 1-line block ×4, first 2 shown]
	v_min_i32_e32 v19, v39, v19
	v_min_i32_e32 v20, v42, v20
	v_sub_u32_e32 v59, v45, v54
	v_sub_u32_e32 v60, v48, v55
	;; [unrolled: 1-line block ×6, first 2 shown]
	v_cndmask_b32_e32 v32, 0, v33, vcc
	v_sub_u32_e32 v33, v6, v31
	v_cmp_ge_i32_e64 s[0:1], v36, v51
	v_cndmask_b32_e64 v39, 0, v57, s[2:3]
	v_cndmask_b32_e64 v42, 0, v58, s[4:5]
	v_cmp_ge_i32_e64 s[6:7], v45, v54
	v_cmp_ge_i32_e64 s[8:9], v48, v55
	;; [unrolled: 1-line block ×4, first 2 shown]
	v_mul_u32_u24_e32 v57, 3, v0
	v_mov_b32_e32 v58, 0x300
	v_min_i32_e32 v18, v36, v18
	v_min_i32_e32 v21, v45, v21
	;; [unrolled: 1-line block ×6, first 2 shown]
	v_cndmask_b32_e64 v36, 0, v56, s[0:1]
	v_cndmask_b32_e64 v45, 0, v59, s[6:7]
	;; [unrolled: 1-line block ×5, first 2 shown]
	v_sub_u32_e64 v59, v57, v58 clamp
	v_min_i32_e32 v60, 0x300, v57
	s_movk_i32 s25, 0x600
	s_mov_b32 s26, 0
	v_cmp_lt_i32_e32 vcc, v32, v33
	v_add_u32_e32 v34, v34, v35
	v_add_u32_e32 v35, v6, v35
	v_cmp_lt_i32_e64 s[0:1], v36, v18
	v_mad_u32_u24 v37, v38, 3, v37
	v_mad_u32_u24 v38, v38, 3, v8
	v_cmp_lt_i32_e64 s[2:3], v39, v19
	v_mad_u32_u24 v40, v41, 3, v40
	v_mad_u32_u24 v41, v41, 3, v10
	;; [unrolled: 3-line block ×6, first 2 shown]
	s_movk_i32 s27, 0xff
	v_cmp_lt_i32_e64 s[12:13], v54, v30
	v_mad_u32_u24 v55, v67, 3, v69
	v_mad_u32_u24 v56, v67, 3, v28
	v_cmp_lt_i32_e64 s[14:15], v59, v60
	s_mov_b32 s28, 0x7060405
	s_movk_i32 s29, 0xff00
	s_mov_b32 s30, 0xffff0000
	v_mad_u32_u24 v61, v0, 3, v58
	v_mov_b32_e32 v62, 8
	s_branch .LBB114_2
.LBB114_1:                              ;   in Loop: Header=BB114_2 Depth=1
	s_or_b64 exec, exec, s[20:21]
	v_cndmask_b32_e64 v66, v66, v67, s[18:19]
	v_cmp_ge_i32_e64 s[18:19], v69, v58
	s_waitcnt lgkmcnt(0)
	v_cmp_lt_u16_sdwa s[20:21], v71, v65 src0_sel:BYTE_0 src1_sel:BYTE_0
	v_cndmask_b32_e64 v64, v63, v64, s[16:17]
	v_cmp_gt_i32_e64 s[16:17], s25, v68
	s_or_b64 s[18:19], s[18:19], s[20:21]
	s_and_b64 s[16:17], s[16:17], s[18:19]
	v_cndmask_b32_e64 v65, v65, v71, s[16:17]
	v_lshlrev_b16_e32 v63, 8, v66
	v_and_b32_e32 v67, 0xff, v65
	v_or_b32_sdwa v63, v64, v63 dst_sel:DWORD dst_unused:UNUSED_PAD src0_sel:BYTE_0 src1_sel:DWORD
	v_lshlrev_b32_e32 v67, 16, v67
	s_add_i32 s26, s26, 1
	s_cmp_eq_u32 s26, 10
	v_or_b32_sdwa v63, v63, v67 dst_sel:DWORD dst_unused:UNUSED_PAD src0_sel:WORD_0 src1_sel:DWORD
	s_cbranch_scc1 .LBB114_110
.LBB114_2:                              ; =>This Loop Header: Depth=1
                                        ;     Child Loop BB114_4 Depth 2
                                        ;     Child Loop BB114_16 Depth 2
	;; [unrolled: 1-line block ×9, first 2 shown]
	v_lshrrev_b32_e32 v65, 8, v63
	v_perm_b32 v64, v63, v63, s28
	v_cmp_lt_u16_sdwa s[16:17], v65, v63 src0_sel:BYTE_0 src1_sel:BYTE_0
	v_cndmask_b32_e64 v64, v63, v64, s[16:17]
	v_and_b32_sdwa v66, v64, s29 dst_sel:DWORD dst_unused:UNUSED_PAD src0_sel:WORD_1 src1_sel:DWORD
	v_max_u16_sdwa v67, v65, v63 dst_sel:DWORD dst_unused:UNUSED_PAD src0_sel:BYTE_0 src1_sel:BYTE_0
	v_lshlrev_b16_sdwa v68, v62, v64 dst_sel:DWORD dst_unused:UNUSED_PAD src0_sel:DWORD src1_sel:WORD_1
	v_or_b32_sdwa v66, v67, v66 dst_sel:WORD_1 dst_unused:UNUSED_PAD src0_sel:DWORD src1_sel:DWORD
	v_min_u16_sdwa v63, v65, v63 dst_sel:DWORD dst_unused:UNUSED_PAD src0_sel:BYTE_0 src1_sel:BYTE_0
	v_and_b32_sdwa v65, v64, s27 dst_sel:DWORD dst_unused:UNUSED_PAD src0_sel:WORD_1 src1_sel:DWORD
	v_or_b32_sdwa v68, v64, v68 dst_sel:DWORD dst_unused:UNUSED_PAD src0_sel:BYTE_0 src1_sel:DWORD
	v_or_b32_sdwa v66, v68, v66 dst_sel:DWORD dst_unused:UNUSED_PAD src0_sel:WORD_0 src1_sel:DWORD
	v_cmp_lt_u16_e64 s[16:17], v65, v67
	v_cndmask_b32_e64 v64, v64, v66, s[16:17]
	v_min_u16_e32 v66, v65, v67
	v_lshlrev_b16_e32 v67, 8, v63
	v_or_b32_e32 v66, v66, v67
	v_and_b32_e32 v66, 0xffff, v66
	v_and_or_b32 v66, v64, s30, v66
	v_cmp_lt_u16_e64 s[16:17], v65, v63
	v_cndmask_b32_e64 v63, v64, v66, s[16:17]
	v_lshrrev_b32_e32 v64, 8, v63
	v_mov_b32_e32 v65, v32
	s_barrier
	ds_write_b8 v57, v63
	ds_write_b8 v57, v64 offset:1
	ds_write_b8_d16_hi v57, v63 offset:2
	s_waitcnt lgkmcnt(0)
	s_barrier
	s_and_saveexec_b64 s[18:19], vcc
	s_cbranch_execz .LBB114_6
; %bb.3:                                ;   in Loop: Header=BB114_2 Depth=1
	s_mov_b64 s[20:21], 0
	v_mov_b32_e32 v65, v32
	v_mov_b32_e32 v63, v33
.LBB114_4:                              ;   Parent Loop BB114_2 Depth=1
                                        ; =>  This Inner Loop Header: Depth=2
	v_sub_u32_e32 v64, v63, v65
	v_lshrrev_b32_e32 v64, 1, v64
	v_add_u32_e32 v64, v64, v65
	v_add_u32_e32 v66, v31, v64
	v_xad_u32 v67, v64, -1, v34
	ds_read_u8 v66, v66
	ds_read_u8 v67, v67 offset:3
	v_add_u32_e32 v68, 1, v64
	s_waitcnt lgkmcnt(0)
	v_cmp_lt_u16_e64 s[16:17], v67, v66
	v_cndmask_b32_e64 v63, v63, v64, s[16:17]
	v_cndmask_b32_e64 v65, v68, v65, s[16:17]
	v_cmp_ge_i32_e64 s[16:17], v65, v63
	s_or_b64 s[20:21], s[16:17], s[20:21]
	s_andn2_b64 exec, exec, s[20:21]
	s_cbranch_execnz .LBB114_4
; %bb.5:                                ;   in Loop: Header=BB114_2 Depth=1
	s_or_b64 exec, exec, s[20:21]
.LBB114_6:                              ;   in Loop: Header=BB114_2 Depth=1
	s_or_b64 exec, exec, s[18:19]
	v_add_u32_e32 v66, v65, v31
	v_sub_u32_e32 v69, v34, v65
	ds_read_u8 v63, v66
	ds_read_u8 v64, v69 offset:3
	v_sub_u32_e32 v68, v35, v65
	v_cmp_le_i32_e64 s[18:19], v6, v66
	v_cmp_gt_i32_e64 s[16:17], v7, v68
                                        ; implicit-def: $vgpr65
	s_waitcnt lgkmcnt(0)
	v_cmp_lt_u16_sdwa s[20:21], v64, v63 src0_sel:BYTE_0 src1_sel:BYTE_0
	s_or_b64 s[18:19], s[18:19], s[20:21]
	s_and_b64 s[16:17], s[16:17], s[18:19]
	s_xor_b64 s[18:19], s[16:17], -1
	s_and_saveexec_b64 s[20:21], s[18:19]
	s_xor_b64 s[18:19], exec, s[20:21]
; %bb.7:                                ;   in Loop: Header=BB114_2 Depth=1
	ds_read_u8 v65, v66 offset:1
                                        ; implicit-def: $vgpr69
; %bb.8:                                ;   in Loop: Header=BB114_2 Depth=1
	s_or_saveexec_b64 s[18:19], s[18:19]
	v_mov_b32_e32 v67, v64
	s_xor_b64 exec, exec, s[18:19]
	s_cbranch_execz .LBB114_10
; %bb.9:                                ;   in Loop: Header=BB114_2 Depth=1
	ds_read_u8 v67, v69 offset:4
	s_waitcnt lgkmcnt(1)
	v_mov_b32_e32 v65, v63
.LBB114_10:                             ;   in Loop: Header=BB114_2 Depth=1
	s_or_b64 exec, exec, s[18:19]
	v_add_u32_e32 v70, 1, v66
	v_add_u32_e32 v69, 1, v68
	v_cndmask_b32_e64 v66, v70, v66, s[16:17]
	v_cndmask_b32_e64 v68, v68, v69, s[16:17]
	v_cmp_ge_i32_e64 s[20:21], v66, v6
	s_waitcnt lgkmcnt(0)
	v_cmp_lt_u16_sdwa s[34:35], v67, v65 src0_sel:BYTE_0 src1_sel:BYTE_0
	v_cmp_lt_i32_e64 s[18:19], v68, v7
	s_or_b64 s[20:21], s[20:21], s[34:35]
	s_and_b64 s[18:19], s[18:19], s[20:21]
	s_xor_b64 s[20:21], s[18:19], -1
                                        ; implicit-def: $vgpr69
	s_and_saveexec_b64 s[34:35], s[20:21]
	s_xor_b64 s[20:21], exec, s[34:35]
; %bb.11:                               ;   in Loop: Header=BB114_2 Depth=1
	ds_read_u8 v69, v66 offset:1
; %bb.12:                               ;   in Loop: Header=BB114_2 Depth=1
	s_or_saveexec_b64 s[20:21], s[20:21]
	v_mov_b32_e32 v70, v67
	s_xor_b64 exec, exec, s[20:21]
	s_cbranch_execz .LBB114_14
; %bb.13:                               ;   in Loop: Header=BB114_2 Depth=1
	ds_read_u8 v70, v68 offset:1
	s_waitcnt lgkmcnt(1)
	v_mov_b32_e32 v69, v65
.LBB114_14:                             ;   in Loop: Header=BB114_2 Depth=1
	s_or_b64 exec, exec, s[20:21]
	v_add_u32_e32 v71, 1, v66
	v_cndmask_b32_e64 v65, v65, v67, s[18:19]
	v_add_u32_e32 v67, 1, v68
	v_cndmask_b32_e64 v66, v71, v66, s[18:19]
	v_cndmask_b32_e64 v67, v68, v67, s[18:19]
	v_cmp_ge_i32_e64 s[18:19], v66, v6
	s_waitcnt lgkmcnt(0)
	v_cmp_lt_u16_sdwa s[20:21], v70, v69 src0_sel:BYTE_0 src1_sel:BYTE_0
	v_cndmask_b32_e64 v63, v63, v64, s[16:17]
	v_cmp_lt_i32_e64 s[16:17], v67, v7
	s_or_b64 s[18:19], s[18:19], s[20:21]
	s_and_b64 s[16:17], s[16:17], s[18:19]
	v_cndmask_b32_e64 v64, v69, v70, s[16:17]
	s_barrier
	ds_write_b8 v57, v63
	ds_write_b8 v57, v65 offset:1
	ds_write_b8 v57, v64 offset:2
	v_mov_b32_e32 v65, v36
	s_waitcnt lgkmcnt(0)
	s_barrier
	s_and_saveexec_b64 s[18:19], s[0:1]
	s_cbranch_execz .LBB114_18
; %bb.15:                               ;   in Loop: Header=BB114_2 Depth=1
	s_mov_b64 s[20:21], 0
	v_mov_b32_e32 v65, v36
	v_mov_b32_e32 v63, v18
.LBB114_16:                             ;   Parent Loop BB114_2 Depth=1
                                        ; =>  This Inner Loop Header: Depth=2
	v_sub_u32_e32 v64, v63, v65
	v_lshrrev_b32_e32 v64, 1, v64
	v_add_u32_e32 v64, v64, v65
	v_add_u32_e32 v66, v1, v64
	v_xad_u32 v67, v64, -1, v37
	ds_read_u8 v66, v66
	ds_read_u8 v67, v67 offset:6
	v_add_u32_e32 v68, 1, v64
	s_waitcnt lgkmcnt(0)
	v_cmp_lt_u16_e64 s[16:17], v67, v66
	v_cndmask_b32_e64 v63, v63, v64, s[16:17]
	v_cndmask_b32_e64 v65, v68, v65, s[16:17]
	v_cmp_ge_i32_e64 s[16:17], v65, v63
	s_or_b64 s[20:21], s[16:17], s[20:21]
	s_andn2_b64 exec, exec, s[20:21]
	s_cbranch_execnz .LBB114_16
; %bb.17:                               ;   in Loop: Header=BB114_2 Depth=1
	s_or_b64 exec, exec, s[20:21]
.LBB114_18:                             ;   in Loop: Header=BB114_2 Depth=1
	s_or_b64 exec, exec, s[18:19]
	v_add_u32_e32 v66, v65, v1
	v_sub_u32_e32 v69, v37, v65
	ds_read_u8 v63, v66
	ds_read_u8 v64, v69 offset:6
	v_sub_u32_e32 v68, v38, v65
	v_cmp_le_i32_e64 s[18:19], v8, v66
	v_cmp_gt_i32_e64 s[16:17], v9, v68
                                        ; implicit-def: $vgpr65
	s_waitcnt lgkmcnt(0)
	v_cmp_lt_u16_sdwa s[20:21], v64, v63 src0_sel:BYTE_0 src1_sel:BYTE_0
	s_or_b64 s[18:19], s[18:19], s[20:21]
	s_and_b64 s[16:17], s[16:17], s[18:19]
	s_xor_b64 s[18:19], s[16:17], -1
	s_and_saveexec_b64 s[20:21], s[18:19]
	s_xor_b64 s[18:19], exec, s[20:21]
; %bb.19:                               ;   in Loop: Header=BB114_2 Depth=1
	ds_read_u8 v65, v66 offset:1
                                        ; implicit-def: $vgpr69
; %bb.20:                               ;   in Loop: Header=BB114_2 Depth=1
	s_or_saveexec_b64 s[18:19], s[18:19]
	v_mov_b32_e32 v67, v64
	s_xor_b64 exec, exec, s[18:19]
	s_cbranch_execz .LBB114_22
; %bb.21:                               ;   in Loop: Header=BB114_2 Depth=1
	ds_read_u8 v67, v69 offset:7
	s_waitcnt lgkmcnt(1)
	v_mov_b32_e32 v65, v63
.LBB114_22:                             ;   in Loop: Header=BB114_2 Depth=1
	s_or_b64 exec, exec, s[18:19]
	v_add_u32_e32 v70, 1, v66
	v_add_u32_e32 v69, 1, v68
	v_cndmask_b32_e64 v66, v70, v66, s[16:17]
	v_cndmask_b32_e64 v68, v68, v69, s[16:17]
	v_cmp_ge_i32_e64 s[20:21], v66, v8
	s_waitcnt lgkmcnt(0)
	v_cmp_lt_u16_sdwa s[34:35], v67, v65 src0_sel:BYTE_0 src1_sel:BYTE_0
	v_cmp_lt_i32_e64 s[18:19], v68, v9
	s_or_b64 s[20:21], s[20:21], s[34:35]
	s_and_b64 s[18:19], s[18:19], s[20:21]
	s_xor_b64 s[20:21], s[18:19], -1
                                        ; implicit-def: $vgpr69
	s_and_saveexec_b64 s[34:35], s[20:21]
	s_xor_b64 s[20:21], exec, s[34:35]
; %bb.23:                               ;   in Loop: Header=BB114_2 Depth=1
	ds_read_u8 v69, v66 offset:1
; %bb.24:                               ;   in Loop: Header=BB114_2 Depth=1
	s_or_saveexec_b64 s[20:21], s[20:21]
	v_mov_b32_e32 v70, v67
	s_xor_b64 exec, exec, s[20:21]
	s_cbranch_execz .LBB114_26
; %bb.25:                               ;   in Loop: Header=BB114_2 Depth=1
	ds_read_u8 v70, v68 offset:1
	s_waitcnt lgkmcnt(1)
	v_mov_b32_e32 v69, v65
.LBB114_26:                             ;   in Loop: Header=BB114_2 Depth=1
	s_or_b64 exec, exec, s[20:21]
	v_add_u32_e32 v71, 1, v66
	v_cndmask_b32_e64 v65, v65, v67, s[18:19]
	v_add_u32_e32 v67, 1, v68
	v_cndmask_b32_e64 v66, v71, v66, s[18:19]
	v_cndmask_b32_e64 v67, v68, v67, s[18:19]
	v_cmp_ge_i32_e64 s[18:19], v66, v8
	s_waitcnt lgkmcnt(0)
	v_cmp_lt_u16_sdwa s[20:21], v70, v69 src0_sel:BYTE_0 src1_sel:BYTE_0
	v_cndmask_b32_e64 v63, v63, v64, s[16:17]
	v_cmp_lt_i32_e64 s[16:17], v67, v9
	s_or_b64 s[18:19], s[18:19], s[20:21]
	s_and_b64 s[16:17], s[16:17], s[18:19]
	v_cndmask_b32_e64 v64, v69, v70, s[16:17]
	s_barrier
	ds_write_b8 v57, v63
	ds_write_b8 v57, v65 offset:1
	ds_write_b8 v57, v64 offset:2
	v_mov_b32_e32 v65, v39
	s_waitcnt lgkmcnt(0)
	s_barrier
	s_and_saveexec_b64 s[18:19], s[2:3]
	s_cbranch_execz .LBB114_30
; %bb.27:                               ;   in Loop: Header=BB114_2 Depth=1
	s_mov_b64 s[20:21], 0
	v_mov_b32_e32 v65, v39
	v_mov_b32_e32 v63, v19
.LBB114_28:                             ;   Parent Loop BB114_2 Depth=1
                                        ; =>  This Inner Loop Header: Depth=2
	v_sub_u32_e32 v64, v63, v65
	v_lshrrev_b32_e32 v64, 1, v64
	v_add_u32_e32 v64, v64, v65
	v_add_u32_e32 v66, v2, v64
	v_xad_u32 v67, v64, -1, v40
	ds_read_u8 v66, v66
	ds_read_u8 v67, v67 offset:12
	v_add_u32_e32 v68, 1, v64
	s_waitcnt lgkmcnt(0)
	v_cmp_lt_u16_e64 s[16:17], v67, v66
	v_cndmask_b32_e64 v63, v63, v64, s[16:17]
	v_cndmask_b32_e64 v65, v68, v65, s[16:17]
	v_cmp_ge_i32_e64 s[16:17], v65, v63
	s_or_b64 s[20:21], s[16:17], s[20:21]
	s_andn2_b64 exec, exec, s[20:21]
	s_cbranch_execnz .LBB114_28
; %bb.29:                               ;   in Loop: Header=BB114_2 Depth=1
	s_or_b64 exec, exec, s[20:21]
.LBB114_30:                             ;   in Loop: Header=BB114_2 Depth=1
	s_or_b64 exec, exec, s[18:19]
	v_add_u32_e32 v66, v65, v2
	v_sub_u32_e32 v69, v40, v65
	ds_read_u8 v63, v66
	ds_read_u8 v64, v69 offset:12
	v_sub_u32_e32 v68, v41, v65
	v_cmp_le_i32_e64 s[18:19], v10, v66
	v_cmp_gt_i32_e64 s[16:17], v11, v68
                                        ; implicit-def: $vgpr65
	s_waitcnt lgkmcnt(0)
	v_cmp_lt_u16_sdwa s[20:21], v64, v63 src0_sel:BYTE_0 src1_sel:BYTE_0
	s_or_b64 s[18:19], s[18:19], s[20:21]
	s_and_b64 s[16:17], s[16:17], s[18:19]
	s_xor_b64 s[18:19], s[16:17], -1
	s_and_saveexec_b64 s[20:21], s[18:19]
	s_xor_b64 s[18:19], exec, s[20:21]
; %bb.31:                               ;   in Loop: Header=BB114_2 Depth=1
	ds_read_u8 v65, v66 offset:1
                                        ; implicit-def: $vgpr69
; %bb.32:                               ;   in Loop: Header=BB114_2 Depth=1
	s_or_saveexec_b64 s[18:19], s[18:19]
	v_mov_b32_e32 v67, v64
	s_xor_b64 exec, exec, s[18:19]
	s_cbranch_execz .LBB114_34
; %bb.33:                               ;   in Loop: Header=BB114_2 Depth=1
	ds_read_u8 v67, v69 offset:13
	s_waitcnt lgkmcnt(1)
	v_mov_b32_e32 v65, v63
.LBB114_34:                             ;   in Loop: Header=BB114_2 Depth=1
	s_or_b64 exec, exec, s[18:19]
	v_add_u32_e32 v70, 1, v66
	v_add_u32_e32 v69, 1, v68
	v_cndmask_b32_e64 v66, v70, v66, s[16:17]
	v_cndmask_b32_e64 v68, v68, v69, s[16:17]
	v_cmp_ge_i32_e64 s[20:21], v66, v10
	s_waitcnt lgkmcnt(0)
	v_cmp_lt_u16_sdwa s[34:35], v67, v65 src0_sel:BYTE_0 src1_sel:BYTE_0
	v_cmp_lt_i32_e64 s[18:19], v68, v11
	s_or_b64 s[20:21], s[20:21], s[34:35]
	s_and_b64 s[18:19], s[18:19], s[20:21]
	s_xor_b64 s[20:21], s[18:19], -1
                                        ; implicit-def: $vgpr69
	s_and_saveexec_b64 s[34:35], s[20:21]
	s_xor_b64 s[20:21], exec, s[34:35]
; %bb.35:                               ;   in Loop: Header=BB114_2 Depth=1
	ds_read_u8 v69, v66 offset:1
; %bb.36:                               ;   in Loop: Header=BB114_2 Depth=1
	s_or_saveexec_b64 s[20:21], s[20:21]
	v_mov_b32_e32 v70, v67
	s_xor_b64 exec, exec, s[20:21]
	s_cbranch_execz .LBB114_38
; %bb.37:                               ;   in Loop: Header=BB114_2 Depth=1
	ds_read_u8 v70, v68 offset:1
	s_waitcnt lgkmcnt(1)
	v_mov_b32_e32 v69, v65
.LBB114_38:                             ;   in Loop: Header=BB114_2 Depth=1
	s_or_b64 exec, exec, s[20:21]
	v_add_u32_e32 v71, 1, v66
	v_cndmask_b32_e64 v65, v65, v67, s[18:19]
	v_add_u32_e32 v67, 1, v68
	v_cndmask_b32_e64 v66, v71, v66, s[18:19]
	v_cndmask_b32_e64 v67, v68, v67, s[18:19]
	v_cmp_ge_i32_e64 s[18:19], v66, v10
	s_waitcnt lgkmcnt(0)
	v_cmp_lt_u16_sdwa s[20:21], v70, v69 src0_sel:BYTE_0 src1_sel:BYTE_0
	v_cndmask_b32_e64 v63, v63, v64, s[16:17]
	v_cmp_lt_i32_e64 s[16:17], v67, v11
	s_or_b64 s[18:19], s[18:19], s[20:21]
	s_and_b64 s[16:17], s[16:17], s[18:19]
	v_cndmask_b32_e64 v64, v69, v70, s[16:17]
	s_barrier
	ds_write_b8 v57, v63
	ds_write_b8 v57, v65 offset:1
	ds_write_b8 v57, v64 offset:2
	v_mov_b32_e32 v65, v42
	s_waitcnt lgkmcnt(0)
	s_barrier
	s_and_saveexec_b64 s[18:19], s[4:5]
	s_cbranch_execz .LBB114_42
; %bb.39:                               ;   in Loop: Header=BB114_2 Depth=1
	s_mov_b64 s[20:21], 0
	v_mov_b32_e32 v65, v42
	v_mov_b32_e32 v63, v20
.LBB114_40:                             ;   Parent Loop BB114_2 Depth=1
                                        ; =>  This Inner Loop Header: Depth=2
	v_sub_u32_e32 v64, v63, v65
	v_lshrrev_b32_e32 v64, 1, v64
	v_add_u32_e32 v64, v64, v65
	v_add_u32_e32 v66, v3, v64
	v_xad_u32 v67, v64, -1, v43
	ds_read_u8 v66, v66
	ds_read_u8 v67, v67 offset:24
	v_add_u32_e32 v68, 1, v64
	s_waitcnt lgkmcnt(0)
	v_cmp_lt_u16_e64 s[16:17], v67, v66
	v_cndmask_b32_e64 v63, v63, v64, s[16:17]
	v_cndmask_b32_e64 v65, v68, v65, s[16:17]
	v_cmp_ge_i32_e64 s[16:17], v65, v63
	s_or_b64 s[20:21], s[16:17], s[20:21]
	s_andn2_b64 exec, exec, s[20:21]
	s_cbranch_execnz .LBB114_40
; %bb.41:                               ;   in Loop: Header=BB114_2 Depth=1
	s_or_b64 exec, exec, s[20:21]
.LBB114_42:                             ;   in Loop: Header=BB114_2 Depth=1
	s_or_b64 exec, exec, s[18:19]
	v_add_u32_e32 v66, v65, v3
	v_sub_u32_e32 v69, v43, v65
	ds_read_u8 v63, v66
	ds_read_u8 v64, v69 offset:24
	v_sub_u32_e32 v68, v44, v65
	v_cmp_le_i32_e64 s[18:19], v13, v66
	v_cmp_gt_i32_e64 s[16:17], v12, v68
                                        ; implicit-def: $vgpr65
	s_waitcnt lgkmcnt(0)
	v_cmp_lt_u16_sdwa s[20:21], v64, v63 src0_sel:BYTE_0 src1_sel:BYTE_0
	s_or_b64 s[18:19], s[18:19], s[20:21]
	s_and_b64 s[16:17], s[16:17], s[18:19]
	s_xor_b64 s[18:19], s[16:17], -1
	s_and_saveexec_b64 s[20:21], s[18:19]
	s_xor_b64 s[18:19], exec, s[20:21]
; %bb.43:                               ;   in Loop: Header=BB114_2 Depth=1
	ds_read_u8 v65, v66 offset:1
                                        ; implicit-def: $vgpr69
; %bb.44:                               ;   in Loop: Header=BB114_2 Depth=1
	s_or_saveexec_b64 s[18:19], s[18:19]
	v_mov_b32_e32 v67, v64
	s_xor_b64 exec, exec, s[18:19]
	s_cbranch_execz .LBB114_46
; %bb.45:                               ;   in Loop: Header=BB114_2 Depth=1
	ds_read_u8 v67, v69 offset:25
	s_waitcnt lgkmcnt(1)
	v_mov_b32_e32 v65, v63
.LBB114_46:                             ;   in Loop: Header=BB114_2 Depth=1
	s_or_b64 exec, exec, s[18:19]
	v_add_u32_e32 v70, 1, v66
	v_add_u32_e32 v69, 1, v68
	v_cndmask_b32_e64 v66, v70, v66, s[16:17]
	v_cndmask_b32_e64 v68, v68, v69, s[16:17]
	v_cmp_ge_i32_e64 s[20:21], v66, v13
	s_waitcnt lgkmcnt(0)
	v_cmp_lt_u16_sdwa s[34:35], v67, v65 src0_sel:BYTE_0 src1_sel:BYTE_0
	v_cmp_lt_i32_e64 s[18:19], v68, v12
	s_or_b64 s[20:21], s[20:21], s[34:35]
	s_and_b64 s[18:19], s[18:19], s[20:21]
	s_xor_b64 s[20:21], s[18:19], -1
                                        ; implicit-def: $vgpr69
	s_and_saveexec_b64 s[34:35], s[20:21]
	s_xor_b64 s[20:21], exec, s[34:35]
; %bb.47:                               ;   in Loop: Header=BB114_2 Depth=1
	ds_read_u8 v69, v66 offset:1
; %bb.48:                               ;   in Loop: Header=BB114_2 Depth=1
	s_or_saveexec_b64 s[20:21], s[20:21]
	v_mov_b32_e32 v70, v67
	s_xor_b64 exec, exec, s[20:21]
	s_cbranch_execz .LBB114_50
; %bb.49:                               ;   in Loop: Header=BB114_2 Depth=1
	ds_read_u8 v70, v68 offset:1
	s_waitcnt lgkmcnt(1)
	v_mov_b32_e32 v69, v65
.LBB114_50:                             ;   in Loop: Header=BB114_2 Depth=1
	s_or_b64 exec, exec, s[20:21]
	v_add_u32_e32 v71, 1, v66
	v_cndmask_b32_e64 v65, v65, v67, s[18:19]
	v_add_u32_e32 v67, 1, v68
	v_cndmask_b32_e64 v66, v71, v66, s[18:19]
	v_cndmask_b32_e64 v67, v68, v67, s[18:19]
	v_cmp_ge_i32_e64 s[18:19], v66, v13
	s_waitcnt lgkmcnt(0)
	v_cmp_lt_u16_sdwa s[20:21], v70, v69 src0_sel:BYTE_0 src1_sel:BYTE_0
	v_cndmask_b32_e64 v63, v63, v64, s[16:17]
	v_cmp_lt_i32_e64 s[16:17], v67, v12
	s_or_b64 s[18:19], s[18:19], s[20:21]
	s_and_b64 s[16:17], s[16:17], s[18:19]
	v_cndmask_b32_e64 v64, v69, v70, s[16:17]
	s_barrier
	ds_write_b8 v57, v63
	ds_write_b8 v57, v65 offset:1
	ds_write_b8 v57, v64 offset:2
	v_mov_b32_e32 v65, v45
	s_waitcnt lgkmcnt(0)
	s_barrier
	s_and_saveexec_b64 s[18:19], s[6:7]
	s_cbranch_execz .LBB114_54
; %bb.51:                               ;   in Loop: Header=BB114_2 Depth=1
	s_mov_b64 s[20:21], 0
	v_mov_b32_e32 v65, v45
	v_mov_b32_e32 v63, v21
.LBB114_52:                             ;   Parent Loop BB114_2 Depth=1
                                        ; =>  This Inner Loop Header: Depth=2
	v_sub_u32_e32 v64, v63, v65
	v_lshrrev_b32_e32 v64, 1, v64
	v_add_u32_e32 v64, v64, v65
	v_add_u32_e32 v66, v4, v64
	v_xad_u32 v67, v64, -1, v46
	ds_read_u8 v66, v66
	ds_read_u8 v67, v67 offset:48
	v_add_u32_e32 v68, 1, v64
	s_waitcnt lgkmcnt(0)
	v_cmp_lt_u16_e64 s[16:17], v67, v66
	v_cndmask_b32_e64 v63, v63, v64, s[16:17]
	v_cndmask_b32_e64 v65, v68, v65, s[16:17]
	v_cmp_ge_i32_e64 s[16:17], v65, v63
	s_or_b64 s[20:21], s[16:17], s[20:21]
	s_andn2_b64 exec, exec, s[20:21]
	s_cbranch_execnz .LBB114_52
; %bb.53:                               ;   in Loop: Header=BB114_2 Depth=1
	s_or_b64 exec, exec, s[20:21]
.LBB114_54:                             ;   in Loop: Header=BB114_2 Depth=1
	s_or_b64 exec, exec, s[18:19]
	v_add_u32_e32 v66, v65, v4
	v_sub_u32_e32 v69, v46, v65
	ds_read_u8 v63, v66
	ds_read_u8 v64, v69 offset:48
	v_sub_u32_e32 v68, v47, v65
	v_cmp_le_i32_e64 s[18:19], v15, v66
	v_cmp_gt_i32_e64 s[16:17], v14, v68
                                        ; implicit-def: $vgpr65
	s_waitcnt lgkmcnt(0)
	v_cmp_lt_u16_sdwa s[20:21], v64, v63 src0_sel:BYTE_0 src1_sel:BYTE_0
	s_or_b64 s[18:19], s[18:19], s[20:21]
	s_and_b64 s[16:17], s[16:17], s[18:19]
	s_xor_b64 s[18:19], s[16:17], -1
	s_and_saveexec_b64 s[20:21], s[18:19]
	s_xor_b64 s[18:19], exec, s[20:21]
; %bb.55:                               ;   in Loop: Header=BB114_2 Depth=1
	ds_read_u8 v65, v66 offset:1
                                        ; implicit-def: $vgpr69
; %bb.56:                               ;   in Loop: Header=BB114_2 Depth=1
	s_or_saveexec_b64 s[18:19], s[18:19]
	v_mov_b32_e32 v67, v64
	s_xor_b64 exec, exec, s[18:19]
	s_cbranch_execz .LBB114_58
; %bb.57:                               ;   in Loop: Header=BB114_2 Depth=1
	ds_read_u8 v67, v69 offset:49
	s_waitcnt lgkmcnt(1)
	v_mov_b32_e32 v65, v63
.LBB114_58:                             ;   in Loop: Header=BB114_2 Depth=1
	s_or_b64 exec, exec, s[18:19]
	v_add_u32_e32 v70, 1, v66
	v_add_u32_e32 v69, 1, v68
	v_cndmask_b32_e64 v66, v70, v66, s[16:17]
	v_cndmask_b32_e64 v68, v68, v69, s[16:17]
	v_cmp_ge_i32_e64 s[20:21], v66, v15
	s_waitcnt lgkmcnt(0)
	v_cmp_lt_u16_sdwa s[34:35], v67, v65 src0_sel:BYTE_0 src1_sel:BYTE_0
	v_cmp_lt_i32_e64 s[18:19], v68, v14
	s_or_b64 s[20:21], s[20:21], s[34:35]
	s_and_b64 s[18:19], s[18:19], s[20:21]
	s_xor_b64 s[20:21], s[18:19], -1
                                        ; implicit-def: $vgpr69
	s_and_saveexec_b64 s[34:35], s[20:21]
	s_xor_b64 s[20:21], exec, s[34:35]
; %bb.59:                               ;   in Loop: Header=BB114_2 Depth=1
	ds_read_u8 v69, v66 offset:1
; %bb.60:                               ;   in Loop: Header=BB114_2 Depth=1
	s_or_saveexec_b64 s[20:21], s[20:21]
	v_mov_b32_e32 v70, v67
	s_xor_b64 exec, exec, s[20:21]
	s_cbranch_execz .LBB114_62
; %bb.61:                               ;   in Loop: Header=BB114_2 Depth=1
	ds_read_u8 v70, v68 offset:1
	s_waitcnt lgkmcnt(1)
	v_mov_b32_e32 v69, v65
.LBB114_62:                             ;   in Loop: Header=BB114_2 Depth=1
	s_or_b64 exec, exec, s[20:21]
	v_add_u32_e32 v71, 1, v66
	v_cndmask_b32_e64 v65, v65, v67, s[18:19]
	v_add_u32_e32 v67, 1, v68
	v_cndmask_b32_e64 v66, v71, v66, s[18:19]
	v_cndmask_b32_e64 v67, v68, v67, s[18:19]
	v_cmp_ge_i32_e64 s[18:19], v66, v15
	s_waitcnt lgkmcnt(0)
	v_cmp_lt_u16_sdwa s[20:21], v70, v69 src0_sel:BYTE_0 src1_sel:BYTE_0
	v_cndmask_b32_e64 v63, v63, v64, s[16:17]
	v_cmp_lt_i32_e64 s[16:17], v67, v14
	s_or_b64 s[18:19], s[18:19], s[20:21]
	s_and_b64 s[16:17], s[16:17], s[18:19]
	v_cndmask_b32_e64 v64, v69, v70, s[16:17]
	s_barrier
	ds_write_b8 v57, v63
	ds_write_b8 v57, v65 offset:1
	ds_write_b8 v57, v64 offset:2
	v_mov_b32_e32 v65, v48
	s_waitcnt lgkmcnt(0)
	s_barrier
	s_and_saveexec_b64 s[18:19], s[8:9]
	s_cbranch_execz .LBB114_66
; %bb.63:                               ;   in Loop: Header=BB114_2 Depth=1
	s_mov_b64 s[20:21], 0
	v_mov_b32_e32 v65, v48
	v_mov_b32_e32 v63, v22
.LBB114_64:                             ;   Parent Loop BB114_2 Depth=1
                                        ; =>  This Inner Loop Header: Depth=2
	v_sub_u32_e32 v64, v63, v65
	v_lshrrev_b32_e32 v64, 1, v64
	v_add_u32_e32 v64, v64, v65
	v_add_u32_e32 v66, v5, v64
	v_xad_u32 v67, v64, -1, v49
	ds_read_u8 v66, v66
	ds_read_u8 v67, v67 offset:96
	v_add_u32_e32 v68, 1, v64
	s_waitcnt lgkmcnt(0)
	v_cmp_lt_u16_e64 s[16:17], v67, v66
	v_cndmask_b32_e64 v63, v63, v64, s[16:17]
	v_cndmask_b32_e64 v65, v68, v65, s[16:17]
	v_cmp_ge_i32_e64 s[16:17], v65, v63
	s_or_b64 s[20:21], s[16:17], s[20:21]
	s_andn2_b64 exec, exec, s[20:21]
	s_cbranch_execnz .LBB114_64
; %bb.65:                               ;   in Loop: Header=BB114_2 Depth=1
	s_or_b64 exec, exec, s[20:21]
.LBB114_66:                             ;   in Loop: Header=BB114_2 Depth=1
	s_or_b64 exec, exec, s[18:19]
	v_add_u32_e32 v66, v65, v5
	v_sub_u32_e32 v69, v49, v65
	ds_read_u8 v63, v66
	ds_read_u8 v64, v69 offset:96
	v_sub_u32_e32 v68, v50, v65
	v_cmp_le_i32_e64 s[18:19], v17, v66
	v_cmp_gt_i32_e64 s[16:17], v16, v68
                                        ; implicit-def: $vgpr65
	s_waitcnt lgkmcnt(0)
	v_cmp_lt_u16_sdwa s[20:21], v64, v63 src0_sel:BYTE_0 src1_sel:BYTE_0
	s_or_b64 s[18:19], s[18:19], s[20:21]
	s_and_b64 s[16:17], s[16:17], s[18:19]
	s_xor_b64 s[18:19], s[16:17], -1
	s_and_saveexec_b64 s[20:21], s[18:19]
	s_xor_b64 s[18:19], exec, s[20:21]
; %bb.67:                               ;   in Loop: Header=BB114_2 Depth=1
	ds_read_u8 v65, v66 offset:1
                                        ; implicit-def: $vgpr69
; %bb.68:                               ;   in Loop: Header=BB114_2 Depth=1
	s_or_saveexec_b64 s[18:19], s[18:19]
	v_mov_b32_e32 v67, v64
	s_xor_b64 exec, exec, s[18:19]
	s_cbranch_execz .LBB114_70
; %bb.69:                               ;   in Loop: Header=BB114_2 Depth=1
	ds_read_u8 v67, v69 offset:97
	s_waitcnt lgkmcnt(1)
	v_mov_b32_e32 v65, v63
.LBB114_70:                             ;   in Loop: Header=BB114_2 Depth=1
	s_or_b64 exec, exec, s[18:19]
	v_add_u32_e32 v70, 1, v66
	v_add_u32_e32 v69, 1, v68
	v_cndmask_b32_e64 v66, v70, v66, s[16:17]
	v_cndmask_b32_e64 v68, v68, v69, s[16:17]
	v_cmp_ge_i32_e64 s[20:21], v66, v17
	s_waitcnt lgkmcnt(0)
	v_cmp_lt_u16_sdwa s[34:35], v67, v65 src0_sel:BYTE_0 src1_sel:BYTE_0
	v_cmp_lt_i32_e64 s[18:19], v68, v16
	s_or_b64 s[20:21], s[20:21], s[34:35]
	s_and_b64 s[18:19], s[18:19], s[20:21]
	s_xor_b64 s[20:21], s[18:19], -1
                                        ; implicit-def: $vgpr69
	s_and_saveexec_b64 s[34:35], s[20:21]
	s_xor_b64 s[20:21], exec, s[34:35]
; %bb.71:                               ;   in Loop: Header=BB114_2 Depth=1
	ds_read_u8 v69, v66 offset:1
; %bb.72:                               ;   in Loop: Header=BB114_2 Depth=1
	s_or_saveexec_b64 s[20:21], s[20:21]
	v_mov_b32_e32 v70, v67
	s_xor_b64 exec, exec, s[20:21]
	s_cbranch_execz .LBB114_74
; %bb.73:                               ;   in Loop: Header=BB114_2 Depth=1
	ds_read_u8 v70, v68 offset:1
	s_waitcnt lgkmcnt(1)
	v_mov_b32_e32 v69, v65
.LBB114_74:                             ;   in Loop: Header=BB114_2 Depth=1
	s_or_b64 exec, exec, s[20:21]
	v_add_u32_e32 v71, 1, v66
	v_cndmask_b32_e64 v65, v65, v67, s[18:19]
	v_add_u32_e32 v67, 1, v68
	v_cndmask_b32_e64 v66, v71, v66, s[18:19]
	v_cndmask_b32_e64 v67, v68, v67, s[18:19]
	v_cmp_ge_i32_e64 s[18:19], v66, v17
	s_waitcnt lgkmcnt(0)
	v_cmp_lt_u16_sdwa s[20:21], v70, v69 src0_sel:BYTE_0 src1_sel:BYTE_0
	v_cndmask_b32_e64 v63, v63, v64, s[16:17]
	v_cmp_lt_i32_e64 s[16:17], v67, v16
	s_or_b64 s[18:19], s[18:19], s[20:21]
	s_and_b64 s[16:17], s[16:17], s[18:19]
	v_cndmask_b32_e64 v64, v69, v70, s[16:17]
	s_barrier
	ds_write_b8 v57, v63
	ds_write_b8 v57, v65 offset:1
	ds_write_b8 v57, v64 offset:2
	v_mov_b32_e32 v65, v51
	s_waitcnt lgkmcnt(0)
	s_barrier
	s_and_saveexec_b64 s[18:19], s[10:11]
	s_cbranch_execz .LBB114_78
; %bb.75:                               ;   in Loop: Header=BB114_2 Depth=1
	s_mov_b64 s[20:21], 0
	v_mov_b32_e32 v65, v51
	v_mov_b32_e32 v63, v26
.LBB114_76:                             ;   Parent Loop BB114_2 Depth=1
                                        ; =>  This Inner Loop Header: Depth=2
	v_sub_u32_e32 v64, v63, v65
	v_lshrrev_b32_e32 v64, 1, v64
	v_add_u32_e32 v64, v64, v65
	v_add_u32_e32 v66, v25, v64
	v_xad_u32 v67, v64, -1, v52
	ds_read_u8 v66, v66
	ds_read_u8 v67, v67 offset:192
	v_add_u32_e32 v68, 1, v64
	s_waitcnt lgkmcnt(0)
	v_cmp_lt_u16_e64 s[16:17], v67, v66
	v_cndmask_b32_e64 v63, v63, v64, s[16:17]
	v_cndmask_b32_e64 v65, v68, v65, s[16:17]
	v_cmp_ge_i32_e64 s[16:17], v65, v63
	s_or_b64 s[20:21], s[16:17], s[20:21]
	s_andn2_b64 exec, exec, s[20:21]
	s_cbranch_execnz .LBB114_76
; %bb.77:                               ;   in Loop: Header=BB114_2 Depth=1
	s_or_b64 exec, exec, s[20:21]
.LBB114_78:                             ;   in Loop: Header=BB114_2 Depth=1
	s_or_b64 exec, exec, s[18:19]
	v_add_u32_e32 v66, v65, v25
	v_sub_u32_e32 v69, v52, v65
	ds_read_u8 v63, v66
	ds_read_u8 v64, v69 offset:192
	v_sub_u32_e32 v68, v53, v65
	v_cmp_le_i32_e64 s[18:19], v24, v66
	v_cmp_gt_i32_e64 s[16:17], v23, v68
                                        ; implicit-def: $vgpr65
	s_waitcnt lgkmcnt(0)
	v_cmp_lt_u16_sdwa s[20:21], v64, v63 src0_sel:BYTE_0 src1_sel:BYTE_0
	s_or_b64 s[18:19], s[18:19], s[20:21]
	s_and_b64 s[16:17], s[16:17], s[18:19]
	s_xor_b64 s[18:19], s[16:17], -1
	s_and_saveexec_b64 s[20:21], s[18:19]
	s_xor_b64 s[18:19], exec, s[20:21]
; %bb.79:                               ;   in Loop: Header=BB114_2 Depth=1
	ds_read_u8 v65, v66 offset:1
                                        ; implicit-def: $vgpr69
; %bb.80:                               ;   in Loop: Header=BB114_2 Depth=1
	s_or_saveexec_b64 s[18:19], s[18:19]
	v_mov_b32_e32 v67, v64
	s_xor_b64 exec, exec, s[18:19]
	s_cbranch_execz .LBB114_82
; %bb.81:                               ;   in Loop: Header=BB114_2 Depth=1
	ds_read_u8 v67, v69 offset:193
	s_waitcnt lgkmcnt(1)
	v_mov_b32_e32 v65, v63
.LBB114_82:                             ;   in Loop: Header=BB114_2 Depth=1
	s_or_b64 exec, exec, s[18:19]
	v_add_u32_e32 v70, 1, v66
	v_add_u32_e32 v69, 1, v68
	v_cndmask_b32_e64 v66, v70, v66, s[16:17]
	v_cndmask_b32_e64 v68, v68, v69, s[16:17]
	v_cmp_ge_i32_e64 s[20:21], v66, v24
	s_waitcnt lgkmcnt(0)
	v_cmp_lt_u16_sdwa s[34:35], v67, v65 src0_sel:BYTE_0 src1_sel:BYTE_0
	v_cmp_lt_i32_e64 s[18:19], v68, v23
	s_or_b64 s[20:21], s[20:21], s[34:35]
	s_and_b64 s[18:19], s[18:19], s[20:21]
	s_xor_b64 s[20:21], s[18:19], -1
                                        ; implicit-def: $vgpr69
	s_and_saveexec_b64 s[34:35], s[20:21]
	s_xor_b64 s[20:21], exec, s[34:35]
; %bb.83:                               ;   in Loop: Header=BB114_2 Depth=1
	ds_read_u8 v69, v66 offset:1
; %bb.84:                               ;   in Loop: Header=BB114_2 Depth=1
	s_or_saveexec_b64 s[20:21], s[20:21]
	v_mov_b32_e32 v70, v67
	s_xor_b64 exec, exec, s[20:21]
	s_cbranch_execz .LBB114_86
; %bb.85:                               ;   in Loop: Header=BB114_2 Depth=1
	ds_read_u8 v70, v68 offset:1
	s_waitcnt lgkmcnt(1)
	v_mov_b32_e32 v69, v65
.LBB114_86:                             ;   in Loop: Header=BB114_2 Depth=1
	s_or_b64 exec, exec, s[20:21]
	v_add_u32_e32 v71, 1, v66
	v_cndmask_b32_e64 v65, v65, v67, s[18:19]
	v_add_u32_e32 v67, 1, v68
	v_cndmask_b32_e64 v66, v71, v66, s[18:19]
	v_cndmask_b32_e64 v67, v68, v67, s[18:19]
	v_cmp_ge_i32_e64 s[18:19], v66, v24
	s_waitcnt lgkmcnt(0)
	v_cmp_lt_u16_sdwa s[20:21], v70, v69 src0_sel:BYTE_0 src1_sel:BYTE_0
	v_cndmask_b32_e64 v63, v63, v64, s[16:17]
	v_cmp_lt_i32_e64 s[16:17], v67, v23
	s_or_b64 s[18:19], s[18:19], s[20:21]
	s_and_b64 s[16:17], s[16:17], s[18:19]
	v_cndmask_b32_e64 v64, v69, v70, s[16:17]
	s_barrier
	ds_write_b8 v57, v63
	ds_write_b8 v57, v65 offset:1
	ds_write_b8 v57, v64 offset:2
	v_mov_b32_e32 v65, v54
	s_waitcnt lgkmcnt(0)
	s_barrier
	s_and_saveexec_b64 s[18:19], s[12:13]
	s_cbranch_execz .LBB114_90
; %bb.87:                               ;   in Loop: Header=BB114_2 Depth=1
	s_mov_b64 s[20:21], 0
	v_mov_b32_e32 v65, v54
	v_mov_b32_e32 v63, v30
.LBB114_88:                             ;   Parent Loop BB114_2 Depth=1
                                        ; =>  This Inner Loop Header: Depth=2
	v_sub_u32_e32 v64, v63, v65
	v_lshrrev_b32_e32 v64, 1, v64
	v_add_u32_e32 v64, v64, v65
	v_add_u32_e32 v66, v29, v64
	v_xad_u32 v67, v64, -1, v55
	ds_read_u8 v66, v66
	ds_read_u8 v67, v67 offset:384
	v_add_u32_e32 v68, 1, v64
	s_waitcnt lgkmcnt(0)
	v_cmp_lt_u16_e64 s[16:17], v67, v66
	v_cndmask_b32_e64 v63, v63, v64, s[16:17]
	v_cndmask_b32_e64 v65, v68, v65, s[16:17]
	v_cmp_ge_i32_e64 s[16:17], v65, v63
	s_or_b64 s[20:21], s[16:17], s[20:21]
	s_andn2_b64 exec, exec, s[20:21]
	s_cbranch_execnz .LBB114_88
; %bb.89:                               ;   in Loop: Header=BB114_2 Depth=1
	s_or_b64 exec, exec, s[20:21]
.LBB114_90:                             ;   in Loop: Header=BB114_2 Depth=1
	s_or_b64 exec, exec, s[18:19]
	v_add_u32_e32 v66, v65, v29
	v_sub_u32_e32 v69, v55, v65
	ds_read_u8 v63, v66
	ds_read_u8 v64, v69 offset:384
	v_sub_u32_e32 v68, v56, v65
	v_cmp_le_i32_e64 s[18:19], v28, v66
	v_cmp_gt_i32_e64 s[16:17], v27, v68
                                        ; implicit-def: $vgpr65
	s_waitcnt lgkmcnt(0)
	v_cmp_lt_u16_sdwa s[20:21], v64, v63 src0_sel:BYTE_0 src1_sel:BYTE_0
	s_or_b64 s[18:19], s[18:19], s[20:21]
	s_and_b64 s[16:17], s[16:17], s[18:19]
	s_xor_b64 s[18:19], s[16:17], -1
	s_and_saveexec_b64 s[20:21], s[18:19]
	s_xor_b64 s[18:19], exec, s[20:21]
; %bb.91:                               ;   in Loop: Header=BB114_2 Depth=1
	ds_read_u8 v65, v66 offset:1
                                        ; implicit-def: $vgpr69
; %bb.92:                               ;   in Loop: Header=BB114_2 Depth=1
	s_or_saveexec_b64 s[18:19], s[18:19]
	v_mov_b32_e32 v67, v64
	s_xor_b64 exec, exec, s[18:19]
	s_cbranch_execz .LBB114_94
; %bb.93:                               ;   in Loop: Header=BB114_2 Depth=1
	ds_read_u8 v67, v69 offset:385
	s_waitcnt lgkmcnt(1)
	v_mov_b32_e32 v65, v63
.LBB114_94:                             ;   in Loop: Header=BB114_2 Depth=1
	s_or_b64 exec, exec, s[18:19]
	v_add_u32_e32 v70, 1, v66
	v_add_u32_e32 v69, 1, v68
	v_cndmask_b32_e64 v66, v70, v66, s[16:17]
	v_cndmask_b32_e64 v68, v68, v69, s[16:17]
	v_cmp_ge_i32_e64 s[20:21], v66, v28
	s_waitcnt lgkmcnt(0)
	v_cmp_lt_u16_sdwa s[34:35], v67, v65 src0_sel:BYTE_0 src1_sel:BYTE_0
	v_cmp_lt_i32_e64 s[18:19], v68, v27
	s_or_b64 s[20:21], s[20:21], s[34:35]
	s_and_b64 s[18:19], s[18:19], s[20:21]
	s_xor_b64 s[20:21], s[18:19], -1
                                        ; implicit-def: $vgpr69
	s_and_saveexec_b64 s[34:35], s[20:21]
	s_xor_b64 s[20:21], exec, s[34:35]
; %bb.95:                               ;   in Loop: Header=BB114_2 Depth=1
	ds_read_u8 v69, v66 offset:1
; %bb.96:                               ;   in Loop: Header=BB114_2 Depth=1
	s_or_saveexec_b64 s[20:21], s[20:21]
	v_mov_b32_e32 v70, v67
	s_xor_b64 exec, exec, s[20:21]
	s_cbranch_execz .LBB114_98
; %bb.97:                               ;   in Loop: Header=BB114_2 Depth=1
	ds_read_u8 v70, v68 offset:1
	s_waitcnt lgkmcnt(1)
	v_mov_b32_e32 v69, v65
.LBB114_98:                             ;   in Loop: Header=BB114_2 Depth=1
	s_or_b64 exec, exec, s[20:21]
	v_add_u32_e32 v71, 1, v66
	v_cndmask_b32_e64 v65, v65, v67, s[18:19]
	v_add_u32_e32 v67, 1, v68
	v_cndmask_b32_e64 v66, v71, v66, s[18:19]
	v_cndmask_b32_e64 v67, v68, v67, s[18:19]
	v_cmp_ge_i32_e64 s[18:19], v66, v28
	s_waitcnt lgkmcnt(0)
	v_cmp_lt_u16_sdwa s[20:21], v70, v69 src0_sel:BYTE_0 src1_sel:BYTE_0
	v_cndmask_b32_e64 v63, v63, v64, s[16:17]
	v_cmp_lt_i32_e64 s[16:17], v67, v27
	s_or_b64 s[18:19], s[18:19], s[20:21]
	s_and_b64 s[16:17], s[16:17], s[18:19]
	v_cndmask_b32_e64 v64, v69, v70, s[16:17]
	s_barrier
	ds_write_b8 v57, v63
	ds_write_b8 v57, v65 offset:1
	ds_write_b8 v57, v64 offset:2
	v_mov_b32_e32 v65, v59
	s_waitcnt lgkmcnt(0)
	s_barrier
	s_and_saveexec_b64 s[18:19], s[14:15]
	s_cbranch_execz .LBB114_102
; %bb.99:                               ;   in Loop: Header=BB114_2 Depth=1
	s_mov_b64 s[20:21], 0
	v_mov_b32_e32 v65, v59
	v_mov_b32_e32 v63, v60
.LBB114_100:                            ;   Parent Loop BB114_2 Depth=1
                                        ; =>  This Inner Loop Header: Depth=2
	v_sub_u32_e32 v64, v63, v65
	v_lshrrev_b32_e32 v64, 1, v64
	v_add_u32_e32 v64, v64, v65
	v_xad_u32 v66, v64, -1, v57
	ds_read_u8 v67, v64
	ds_read_u8 v66, v66 offset:768
	v_add_u32_e32 v68, 1, v64
	s_waitcnt lgkmcnt(0)
	v_cmp_lt_u16_e64 s[16:17], v66, v67
	v_cndmask_b32_e64 v63, v63, v64, s[16:17]
	v_cndmask_b32_e64 v65, v68, v65, s[16:17]
	v_cmp_ge_i32_e64 s[16:17], v65, v63
	s_or_b64 s[20:21], s[16:17], s[20:21]
	s_andn2_b64 exec, exec, s[20:21]
	s_cbranch_execnz .LBB114_100
; %bb.101:                              ;   in Loop: Header=BB114_2 Depth=1
	s_or_b64 exec, exec, s[20:21]
.LBB114_102:                            ;   in Loop: Header=BB114_2 Depth=1
	s_or_b64 exec, exec, s[18:19]
	v_sub_u32_e32 v69, v57, v65
	ds_read_u8 v63, v65
	ds_read_u8 v64, v69 offset:768
	v_sub_u32_e32 v68, v61, v65
	v_cmp_le_i32_e64 s[18:19], v58, v65
	v_cmp_gt_i32_e64 s[16:17], s25, v68
                                        ; implicit-def: $vgpr66
	s_waitcnt lgkmcnt(0)
	v_cmp_lt_u16_sdwa s[20:21], v64, v63 src0_sel:BYTE_0 src1_sel:BYTE_0
	s_or_b64 s[18:19], s[18:19], s[20:21]
	s_and_b64 s[16:17], s[16:17], s[18:19]
	s_xor_b64 s[18:19], s[16:17], -1
	s_and_saveexec_b64 s[20:21], s[18:19]
	s_xor_b64 s[18:19], exec, s[20:21]
; %bb.103:                              ;   in Loop: Header=BB114_2 Depth=1
	ds_read_u8 v66, v65 offset:1
                                        ; implicit-def: $vgpr69
; %bb.104:                              ;   in Loop: Header=BB114_2 Depth=1
	s_or_saveexec_b64 s[18:19], s[18:19]
	v_mov_b32_e32 v67, v64
	s_xor_b64 exec, exec, s[18:19]
	s_cbranch_execz .LBB114_106
; %bb.105:                              ;   in Loop: Header=BB114_2 Depth=1
	ds_read_u8 v67, v69 offset:769
	s_waitcnt lgkmcnt(1)
	v_mov_b32_e32 v66, v63
.LBB114_106:                            ;   in Loop: Header=BB114_2 Depth=1
	s_or_b64 exec, exec, s[18:19]
	v_add_u32_e32 v70, 1, v65
	v_add_u32_e32 v69, 1, v68
	v_cndmask_b32_e64 v70, v70, v65, s[16:17]
	v_cndmask_b32_e64 v68, v68, v69, s[16:17]
	v_cmp_ge_i32_e64 s[20:21], v70, v58
	s_waitcnt lgkmcnt(0)
	v_cmp_lt_u16_sdwa s[34:35], v67, v66 src0_sel:BYTE_0 src1_sel:BYTE_0
	v_cmp_gt_i32_e64 s[18:19], s25, v68
	s_or_b64 s[20:21], s[20:21], s[34:35]
	s_and_b64 s[18:19], s[18:19], s[20:21]
	s_xor_b64 s[20:21], s[18:19], -1
                                        ; implicit-def: $vgpr65
                                        ; implicit-def: $vgpr69
	s_and_saveexec_b64 s[34:35], s[20:21]
	s_xor_b64 s[20:21], exec, s[34:35]
; %bb.107:                              ;   in Loop: Header=BB114_2 Depth=1
	ds_read_u8 v65, v70 offset:1
	v_add_u32_e32 v69, 1, v70
                                        ; implicit-def: $vgpr70
; %bb.108:                              ;   in Loop: Header=BB114_2 Depth=1
	s_or_saveexec_b64 s[20:21], s[20:21]
	v_mov_b32_e32 v71, v67
	s_xor_b64 exec, exec, s[20:21]
	s_cbranch_execz .LBB114_1
; %bb.109:                              ;   in Loop: Header=BB114_2 Depth=1
	ds_read_u8 v71, v68 offset:1
	v_add_u32_e32 v68, 1, v68
	v_mov_b32_e32 v69, v70
	s_waitcnt lgkmcnt(1)
	v_mov_b32_e32 v65, v66
	s_branch .LBB114_1
.LBB114_110:
	s_add_u32 s0, s22, s24
	s_addc_u32 s1, s23, 0
	v_mov_b32_e32 v1, s1
	v_add_co_u32_e32 v0, vcc, s0, v0
	v_addc_co_u32_e32 v1, vcc, 0, v1, vcc
	global_store_byte v[0:1], v64, off
	global_store_byte v[0:1], v66, off offset:512
	global_store_byte v[0:1], v65, off offset:1024
	s_endpgm
	.section	.rodata,"a",@progbits
	.p2align	6, 0x0
	.amdhsa_kernel _Z16sort_keys_kernelIhLj512ELj3EN10test_utils4lessELj10EEvPKT_PS2_T2_
		.amdhsa_group_segment_fixed_size 1537
		.amdhsa_private_segment_fixed_size 0
		.amdhsa_kernarg_size 20
		.amdhsa_user_sgpr_count 6
		.amdhsa_user_sgpr_private_segment_buffer 1
		.amdhsa_user_sgpr_dispatch_ptr 0
		.amdhsa_user_sgpr_queue_ptr 0
		.amdhsa_user_sgpr_kernarg_segment_ptr 1
		.amdhsa_user_sgpr_dispatch_id 0
		.amdhsa_user_sgpr_flat_scratch_init 0
		.amdhsa_user_sgpr_private_segment_size 0
		.amdhsa_uses_dynamic_stack 0
		.amdhsa_system_sgpr_private_segment_wavefront_offset 0
		.amdhsa_system_sgpr_workgroup_id_x 1
		.amdhsa_system_sgpr_workgroup_id_y 0
		.amdhsa_system_sgpr_workgroup_id_z 0
		.amdhsa_system_sgpr_workgroup_info 0
		.amdhsa_system_vgpr_workitem_id 0
		.amdhsa_next_free_vgpr 72
		.amdhsa_next_free_sgpr 36
		.amdhsa_reserve_vcc 1
		.amdhsa_reserve_flat_scratch 0
		.amdhsa_float_round_mode_32 0
		.amdhsa_float_round_mode_16_64 0
		.amdhsa_float_denorm_mode_32 3
		.amdhsa_float_denorm_mode_16_64 3
		.amdhsa_dx10_clamp 1
		.amdhsa_ieee_mode 1
		.amdhsa_fp16_overflow 0
		.amdhsa_exception_fp_ieee_invalid_op 0
		.amdhsa_exception_fp_denorm_src 0
		.amdhsa_exception_fp_ieee_div_zero 0
		.amdhsa_exception_fp_ieee_overflow 0
		.amdhsa_exception_fp_ieee_underflow 0
		.amdhsa_exception_fp_ieee_inexact 0
		.amdhsa_exception_int_div_zero 0
	.end_amdhsa_kernel
	.section	.text._Z16sort_keys_kernelIhLj512ELj3EN10test_utils4lessELj10EEvPKT_PS2_T2_,"axG",@progbits,_Z16sort_keys_kernelIhLj512ELj3EN10test_utils4lessELj10EEvPKT_PS2_T2_,comdat
.Lfunc_end114:
	.size	_Z16sort_keys_kernelIhLj512ELj3EN10test_utils4lessELj10EEvPKT_PS2_T2_, .Lfunc_end114-_Z16sort_keys_kernelIhLj512ELj3EN10test_utils4lessELj10EEvPKT_PS2_T2_
                                        ; -- End function
	.set _Z16sort_keys_kernelIhLj512ELj3EN10test_utils4lessELj10EEvPKT_PS2_T2_.num_vgpr, 72
	.set _Z16sort_keys_kernelIhLj512ELj3EN10test_utils4lessELj10EEvPKT_PS2_T2_.num_agpr, 0
	.set _Z16sort_keys_kernelIhLj512ELj3EN10test_utils4lessELj10EEvPKT_PS2_T2_.numbered_sgpr, 36
	.set _Z16sort_keys_kernelIhLj512ELj3EN10test_utils4lessELj10EEvPKT_PS2_T2_.num_named_barrier, 0
	.set _Z16sort_keys_kernelIhLj512ELj3EN10test_utils4lessELj10EEvPKT_PS2_T2_.private_seg_size, 0
	.set _Z16sort_keys_kernelIhLj512ELj3EN10test_utils4lessELj10EEvPKT_PS2_T2_.uses_vcc, 1
	.set _Z16sort_keys_kernelIhLj512ELj3EN10test_utils4lessELj10EEvPKT_PS2_T2_.uses_flat_scratch, 0
	.set _Z16sort_keys_kernelIhLj512ELj3EN10test_utils4lessELj10EEvPKT_PS2_T2_.has_dyn_sized_stack, 0
	.set _Z16sort_keys_kernelIhLj512ELj3EN10test_utils4lessELj10EEvPKT_PS2_T2_.has_recursion, 0
	.set _Z16sort_keys_kernelIhLj512ELj3EN10test_utils4lessELj10EEvPKT_PS2_T2_.has_indirect_call, 0
	.section	.AMDGPU.csdata,"",@progbits
; Kernel info:
; codeLenInByte = 5604
; TotalNumSgprs: 40
; NumVgprs: 72
; ScratchSize: 0
; MemoryBound: 0
; FloatMode: 240
; IeeeMode: 1
; LDSByteSize: 1537 bytes/workgroup (compile time only)
; SGPRBlocks: 4
; VGPRBlocks: 17
; NumSGPRsForWavesPerEU: 40
; NumVGPRsForWavesPerEU: 72
; Occupancy: 3
; WaveLimiterHint : 1
; COMPUTE_PGM_RSRC2:SCRATCH_EN: 0
; COMPUTE_PGM_RSRC2:USER_SGPR: 6
; COMPUTE_PGM_RSRC2:TRAP_HANDLER: 0
; COMPUTE_PGM_RSRC2:TGID_X_EN: 1
; COMPUTE_PGM_RSRC2:TGID_Y_EN: 0
; COMPUTE_PGM_RSRC2:TGID_Z_EN: 0
; COMPUTE_PGM_RSRC2:TIDIG_COMP_CNT: 0
	.section	.text._Z17sort_pairs_kernelIhLj512ELj3EN10test_utils4lessELj10EEvPKT_PS2_T2_,"axG",@progbits,_Z17sort_pairs_kernelIhLj512ELj3EN10test_utils4lessELj10EEvPKT_PS2_T2_,comdat
	.protected	_Z17sort_pairs_kernelIhLj512ELj3EN10test_utils4lessELj10EEvPKT_PS2_T2_ ; -- Begin function _Z17sort_pairs_kernelIhLj512ELj3EN10test_utils4lessELj10EEvPKT_PS2_T2_
	.globl	_Z17sort_pairs_kernelIhLj512ELj3EN10test_utils4lessELj10EEvPKT_PS2_T2_
	.p2align	8
	.type	_Z17sort_pairs_kernelIhLj512ELj3EN10test_utils4lessELj10EEvPKT_PS2_T2_,@function
_Z17sort_pairs_kernelIhLj512ELj3EN10test_utils4lessELj10EEvPKT_PS2_T2_: ; @_Z17sort_pairs_kernelIhLj512ELj3EN10test_utils4lessELj10EEvPKT_PS2_T2_
; %bb.0:
	s_load_dwordx4 s[28:31], s[4:5], 0x0
	s_mul_i32 s33, s6, 0x600
	v_and_b32_e32 v1, 0x1fc, v0
	v_and_b32_e32 v2, 0x1f8, v0
	v_and_b32_e32 v3, 0x1f0, v0
	s_waitcnt lgkmcnt(0)
	s_add_u32 s0, s28, s33
	s_addc_u32 s1, s29, 0
	global_load_ubyte v31, v0, s[0:1]
	global_load_ubyte v32, v0, s[0:1] offset:512
	global_load_ubyte v33, v0, s[0:1] offset:1024
	s_mov_b32 s28, 0xc0c0004
	v_and_b32_e32 v4, 0x1e0, v0
	v_and_b32_e32 v5, 0x1c0, v0
	v_and_b32_e32 v6, 0x180, v0
	v_and_b32_e32 v29, 0x1fe, v0
	v_mul_u32_u24_e32 v7, 3, v1
	v_mul_u32_u24_e32 v2, 3, v2
	;; [unrolled: 1-line block ×7, first 2 shown]
	v_and_b32_e32 v30, 1, v0
	v_min_u32_e32 v1, 0x600, v7
	v_min_u32_e32 v37, 0x5fa, v7
	;; [unrolled: 1-line block ×15, first 2 shown]
	v_and_b32_e32 v38, 3, v0
	v_and_b32_e32 v41, 7, v0
	;; [unrolled: 1-line block ×6, first 2 shown]
	v_add_u32_e32 v6, 6, v37
	v_add_u32_e32 v7, 12, v7
	v_add_u32_e32 v8, 12, v40
	v_add_u32_e32 v9, 24, v9
	v_add_u32_e32 v10, 48, v10
	v_add_u32_e32 v11, 24, v43
	v_add_u32_e32 v12, 0x60, v12
	v_add_u32_e32 v13, 48, v46
	v_add_u32_e32 v14, 0xc0, v14
	v_add_u32_e32 v15, 0x60, v49
	v_add_u32_e32 v16, 0x180, v16
	v_add_u32_e32 v17, 0xc0, v52
	v_and_b32_e32 v70, 0xff, v0
	v_add_u32_e32 v29, 6, v29
	v_cmp_eq_u32_e32 vcc, 1, v30
	v_add_u32_e32 v30, 3, v75
	v_mul_u32_u24_e32 v36, 3, v38
	v_mul_u32_u24_e32 v39, 3, v41
	;; [unrolled: 1-line block ×6, first 2 shown]
	v_min_u32_e32 v2, 0x600, v2
	v_min_u32_e32 v3, 0x600, v3
	;; [unrolled: 1-line block ×4, first 2 shown]
	v_sub_u32_e32 v54, v7, v6
	v_sub_u32_e32 v55, v9, v8
	;; [unrolled: 1-line block ×6, first 2 shown]
	v_min_u32_e32 v23, 0x600, v23
	v_mul_u32_u24_e32 v71, 3, v70
	v_cndmask_b32_e64 v35, 0, 3, vcc
	v_sub_u32_e32 v76, v29, v30
	v_sub_u32_e32 v18, v6, v1
	;; [unrolled: 1-line block ×8, first 2 shown]
	s_waitcnt vmcnt(2)
	v_add_u16_e32 v64, 1, v31
	s_waitcnt vmcnt(1)
	v_perm_b32 v24, v31, v32, s28
	s_waitcnt vmcnt(0)
	v_lshlrev_b32_e32 v25, 16, v33
	v_or_b32_e32 v66, v24, v25
	v_and_b32_e32 v25, 0x100, v0
	v_mul_u32_u24_e32 v27, 3, v25
	v_min_u32_e32 v25, 0x300, v27
	v_min_u32_e32 v72, 0x480, v27
	v_add_u32_e32 v25, 0x300, v25
	v_add_u32_e32 v26, 0x180, v72
	v_sub_u32_e32 v73, v25, v26
	v_min_u32_e32 v27, 0x600, v27
	v_min_u32_e32 v31, 0x600, v34
	v_sub_u32_e32 v62, v42, v56
	v_sub_u32_e32 v67, v45, v57
	;; [unrolled: 1-line block ×8, first 2 shown]
	v_add_u16_e32 v63, 1, v33
	v_cmp_ge_i32_e32 vcc, v35, v76
	v_sub_u32_e32 v33, v30, v31
	v_cmp_ge_i32_e64 s[0:1], v36, v54
	v_cmp_ge_i32_e64 s[2:3], v39, v55
	;; [unrolled: 1-line block ×7, first 2 shown]
	v_mul_u32_u24_e32 v57, 3, v0
	v_mov_b32_e32 v58, 0x300
	v_min_i32_e32 v18, v36, v18
	v_min_i32_e32 v19, v39, v19
	;; [unrolled: 1-line block ×7, first 2 shown]
	v_add_u16_e32 v65, 1, v32
	v_cndmask_b32_e32 v32, 0, v77, vcc
	v_min_i32_e32 v33, v35, v33
	v_cndmask_b32_e64 v36, 0, v60, s[0:1]
	v_cndmask_b32_e64 v39, 0, v61, s[2:3]
	;; [unrolled: 1-line block ×7, first 2 shown]
	v_sub_u32_e64 v59, v57, v58 clamp
	v_min_i32_e32 v60, 0x300, v57
	s_movk_i32 s29, 0x600
	s_mov_b32 s34, 0
	v_cmp_lt_i32_e32 vcc, v32, v33
	v_add_u32_e32 v34, v75, v35
	v_add_u32_e32 v35, v30, v35
	v_cmp_lt_i32_e64 s[0:1], v36, v18
	v_mad_u32_u24 v37, v38, 3, v37
	v_mad_u32_u24 v38, v38, 3, v6
	v_cmp_lt_i32_e64 s[2:3], v39, v19
	v_mad_u32_u24 v40, v41, 3, v40
	v_mad_u32_u24 v41, v41, 3, v8
	;; [unrolled: 3-line block ×6, first 2 shown]
	s_movk_i32 s35, 0xff
	v_cmp_lt_i32_e64 s[12:13], v54, v28
	v_mad_u32_u24 v55, v70, 3, v72
	v_mad_u32_u24 v56, v70, 3, v26
	v_cmp_lt_i32_e64 s[14:15], v59, v60
	s_mov_b32 s36, 0x7060405
	s_movk_i32 s37, 0xff00
	s_mov_b32 s38, 0xffff0000
	s_mov_b32 s39, 0xc0c0001
	;; [unrolled: 1-line block ×3, first 2 shown]
	v_mad_u32_u24 v61, v0, 3, v58
	v_mov_b32_e32 v62, 8
	s_branch .LBB115_2
.LBB115_1:                              ;   in Loop: Header=BB115_2 Depth=1
	s_or_b64 exec, exec, s[20:21]
	v_cndmask_b32_e64 v68, v68, v69, s[16:17]
	v_cndmask_b32_e64 v69, v70, v71, s[18:19]
	v_cmp_ge_i32_e64 s[18:19], v73, v58
	s_waitcnt lgkmcnt(0)
	v_cmp_lt_u16_sdwa s[20:21], v77, v75 src0_sel:BYTE_0 src1_sel:BYTE_0
	v_cndmask_b32_e64 v66, v66, v67, s[16:17]
	v_cmp_gt_i32_e64 s[16:17], s29, v72
	s_or_b64 s[18:19], s[18:19], s[20:21]
	s_and_b64 s[16:17], s[16:17], s[18:19]
	v_cndmask_b32_e64 v72, v73, v72, s[16:17]
	s_barrier
	ds_write_b8 v57, v63
	ds_write_b8 v57, v65 offset:1
	ds_write_b8 v57, v64 offset:2
	s_waitcnt lgkmcnt(0)
	s_barrier
	ds_read_u8 v64, v66
	ds_read_u8 v65, v74
	;; [unrolled: 1-line block ×3, first 2 shown]
	v_cndmask_b32_e64 v67, v75, v77, s[16:17]
	v_lshlrev_b16_e32 v70, 8, v69
	v_and_b32_e32 v71, 0xff, v67
	v_or_b32_sdwa v70, v68, v70 dst_sel:DWORD dst_unused:UNUSED_PAD src0_sel:BYTE_0 src1_sel:DWORD
	v_lshlrev_b32_e32 v66, 16, v71
	s_add_i32 s34, s34, 1
	s_cmp_eq_u32 s34, 10
	v_or_b32_sdwa v66, v70, v66 dst_sel:DWORD dst_unused:UNUSED_PAD src0_sel:WORD_0 src1_sel:DWORD
	s_cbranch_scc1 .LBB115_110
.LBB115_2:                              ; =>This Loop Header: Depth=1
                                        ;     Child Loop BB115_4 Depth 2
                                        ;     Child Loop BB115_16 Depth 2
	;; [unrolled: 1-line block ×9, first 2 shown]
	v_lshrrev_b32_e32 v68, 8, v66
	v_perm_b32 v67, v66, v66, s36
	v_cmp_lt_u16_sdwa s[16:17], v68, v66 src0_sel:BYTE_0 src1_sel:BYTE_0
	v_cndmask_b32_e64 v67, v66, v67, s[16:17]
	v_and_b32_sdwa v69, v67, s37 dst_sel:DWORD dst_unused:UNUSED_PAD src0_sel:WORD_1 src1_sel:DWORD
	v_max_u16_sdwa v66, v68, v66 dst_sel:DWORD dst_unused:UNUSED_PAD src0_sel:BYTE_0 src1_sel:BYTE_0
	v_lshlrev_b16_sdwa v70, v62, v67 dst_sel:DWORD dst_unused:UNUSED_PAD src0_sel:DWORD src1_sel:WORD_1
	v_or_b32_sdwa v68, v66, v69 dst_sel:WORD_1 dst_unused:UNUSED_PAD src0_sel:DWORD src1_sel:DWORD
	v_and_b32_sdwa v69, v67, s35 dst_sel:DWORD dst_unused:UNUSED_PAD src0_sel:WORD_1 src1_sel:DWORD
	v_or_b32_sdwa v70, v67, v70 dst_sel:DWORD dst_unused:UNUSED_PAD src0_sel:BYTE_0 src1_sel:DWORD
	v_or_b32_sdwa v68, v70, v68 dst_sel:DWORD dst_unused:UNUSED_PAD src0_sel:WORD_0 src1_sel:DWORD
	v_cmp_lt_u16_e64 s[18:19], v69, v66
	v_cndmask_b32_e64 v67, v67, v68, s[18:19]
	v_lshlrev_b16_e32 v68, 8, v67
	v_min_u16_e32 v66, v69, v66
	v_or_b32_e32 v68, v66, v68
	v_and_b32_e32 v68, 0xffff, v68
	v_and_or_b32 v68, v67, s38, v68
	v_cmp_lt_u16_sdwa s[20:21], v66, v67 src0_sel:DWORD src1_sel:BYTE_0
	v_cndmask_b32_e64 v66, v67, v68, s[20:21]
	v_lshrrev_b32_e32 v67, 8, v66
	v_mov_b32_e32 v68, v32
	s_waitcnt lgkmcnt(0)
	s_barrier
	ds_write_b8 v57, v66
	ds_write_b8 v57, v67 offset:1
	ds_write_b8_d16_hi v57, v66 offset:2
	s_waitcnt lgkmcnt(0)
	s_barrier
	s_and_saveexec_b64 s[24:25], vcc
	s_cbranch_execz .LBB115_6
; %bb.3:                                ;   in Loop: Header=BB115_2 Depth=1
	s_mov_b64 s[26:27], 0
	v_mov_b32_e32 v68, v32
	v_mov_b32_e32 v66, v33
.LBB115_4:                              ;   Parent Loop BB115_2 Depth=1
                                        ; =>  This Inner Loop Header: Depth=2
	v_sub_u32_e32 v67, v66, v68
	v_lshrrev_b32_e32 v67, 1, v67
	v_add_u32_e32 v67, v67, v68
	v_add_u32_e32 v69, v31, v67
	v_xad_u32 v70, v67, -1, v34
	ds_read_u8 v69, v69
	ds_read_u8 v70, v70 offset:3
	v_add_u32_e32 v71, 1, v67
	s_waitcnt lgkmcnt(0)
	v_cmp_lt_u16_e64 s[22:23], v70, v69
	v_cndmask_b32_e64 v66, v66, v67, s[22:23]
	v_cndmask_b32_e64 v68, v71, v68, s[22:23]
	v_cmp_ge_i32_e64 s[22:23], v68, v66
	s_or_b64 s[26:27], s[22:23], s[26:27]
	s_andn2_b64 exec, exec, s[26:27]
	s_cbranch_execnz .LBB115_4
; %bb.5:                                ;   in Loop: Header=BB115_2 Depth=1
	s_or_b64 exec, exec, s[26:27]
.LBB115_6:                              ;   in Loop: Header=BB115_2 Depth=1
	s_or_b64 exec, exec, s[24:25]
	v_add_u32_e32 v66, v68, v31
	v_sub_u32_e32 v71, v34, v68
	ds_read_u8 v67, v66
	ds_read_u8 v69, v71 offset:3
	v_sub_u32_e32 v68, v35, v68
	v_cmp_le_i32_e64 s[24:25], v30, v66
	v_cmp_gt_i32_e64 s[22:23], v29, v68
                                        ; implicit-def: $vgpr70
	s_waitcnt lgkmcnt(0)
	v_cmp_lt_u16_sdwa s[26:27], v69, v67 src0_sel:BYTE_0 src1_sel:BYTE_0
	s_or_b64 s[24:25], s[24:25], s[26:27]
	s_and_b64 s[22:23], s[22:23], s[24:25]
	s_xor_b64 s[24:25], s[22:23], -1
	s_and_saveexec_b64 s[26:27], s[24:25]
	s_xor_b64 s[24:25], exec, s[26:27]
; %bb.7:                                ;   in Loop: Header=BB115_2 Depth=1
	ds_read_u8 v70, v66 offset:1
                                        ; implicit-def: $vgpr71
; %bb.8:                                ;   in Loop: Header=BB115_2 Depth=1
	s_or_saveexec_b64 s[24:25], s[24:25]
	v_mov_b32_e32 v72, v69
	s_xor_b64 exec, exec, s[24:25]
	s_cbranch_execz .LBB115_10
; %bb.9:                                ;   in Loop: Header=BB115_2 Depth=1
	ds_read_u8 v72, v71 offset:4
	s_waitcnt lgkmcnt(1)
	v_mov_b32_e32 v70, v67
.LBB115_10:                             ;   in Loop: Header=BB115_2 Depth=1
	s_or_b64 exec, exec, s[24:25]
	v_add_u32_e32 v74, 1, v66
	v_add_u32_e32 v71, 1, v68
	v_cndmask_b32_e64 v74, v74, v66, s[22:23]
	v_cndmask_b32_e64 v73, v68, v71, s[22:23]
	v_cmp_ge_i32_e64 s[26:27], v74, v30
	s_waitcnt lgkmcnt(0)
	v_cmp_lt_u16_sdwa s[42:43], v72, v70 src0_sel:BYTE_0 src1_sel:BYTE_0
	v_cmp_lt_i32_e64 s[24:25], v73, v29
	s_or_b64 s[26:27], s[26:27], s[42:43]
	s_and_b64 s[24:25], s[24:25], s[26:27]
	s_xor_b64 s[26:27], s[24:25], -1
                                        ; implicit-def: $vgpr71
	s_and_saveexec_b64 s[42:43], s[26:27]
	s_xor_b64 s[26:27], exec, s[42:43]
; %bb.11:                               ;   in Loop: Header=BB115_2 Depth=1
	ds_read_u8 v71, v74 offset:1
; %bb.12:                               ;   in Loop: Header=BB115_2 Depth=1
	s_or_saveexec_b64 s[26:27], s[26:27]
	v_mov_b32_e32 v75, v72
	s_xor_b64 exec, exec, s[26:27]
	s_cbranch_execz .LBB115_14
; %bb.13:                               ;   in Loop: Header=BB115_2 Depth=1
	ds_read_u8 v75, v73 offset:1
	s_waitcnt lgkmcnt(1)
	v_mov_b32_e32 v71, v70
.LBB115_14:                             ;   in Loop: Header=BB115_2 Depth=1
	s_or_b64 exec, exec, s[26:27]
	v_cndmask_b32_e64 v66, v66, v68, s[22:23]
	v_perm_b32 v68, v65, v64, s28
	v_perm_b32 v64, v64, v65, s28
	v_and_b32_e32 v65, 0xff, v63
	v_cndmask_b32_e64 v64, v64, v68, s[16:17]
	v_lshlrev_b32_e32 v65, 16, v65
	v_lshrrev_b16_e32 v68, 8, v64
	v_or_b32_e32 v65, v64, v65
	v_perm_b32 v63, v64, v63, s28
	v_lshlrev_b32_e32 v64, 16, v68
	v_or_b32_e32 v63, v63, v64
	v_cndmask_b32_e64 v63, v65, v63, s[18:19]
	v_add_u32_e32 v76, 1, v74
	v_perm_b32 v64, 0, v63, s39
	v_cndmask_b32_e64 v70, v70, v72, s[24:25]
	v_add_u32_e32 v72, 1, v73
	v_cndmask_b32_e64 v76, v76, v74, s[24:25]
	v_and_or_b32 v64, v63, s40, v64
	v_cndmask_b32_e64 v72, v73, v72, s[24:25]
	v_cndmask_b32_e64 v63, v63, v64, s[20:21]
	v_cmp_ge_i32_e64 s[18:19], v76, v30
	s_waitcnt lgkmcnt(0)
	v_cmp_lt_u16_sdwa s[20:21], v75, v71 src0_sel:BYTE_0 src1_sel:BYTE_0
	v_cmp_lt_i32_e64 s[16:17], v72, v29
	s_or_b64 s[18:19], s[18:19], s[20:21]
	s_and_b64 s[16:17], s[16:17], s[18:19]
	v_cndmask_b32_e64 v64, v76, v72, s[16:17]
	v_lshrrev_b32_e32 v65, 8, v63
	v_cndmask_b32_e64 v73, v74, v73, s[24:25]
	s_barrier
	ds_write_b8 v57, v63
	ds_write_b8 v57, v65 offset:1
	ds_write_b8_d16_hi v57, v63 offset:2
	s_waitcnt lgkmcnt(0)
	s_barrier
	ds_read_u8 v63, v66
	ds_read_u8 v64, v64
	;; [unrolled: 1-line block ×3, first 2 shown]
	v_cndmask_b32_e64 v67, v67, v69, s[22:23]
	v_cndmask_b32_e64 v68, v71, v75, s[16:17]
	s_waitcnt lgkmcnt(0)
	s_barrier
	ds_write_b8 v57, v67
	ds_write_b8 v57, v70 offset:1
	ds_write_b8 v57, v68 offset:2
	v_mov_b32_e32 v68, v36
	s_waitcnt lgkmcnt(0)
	s_barrier
	s_and_saveexec_b64 s[18:19], s[0:1]
	s_cbranch_execz .LBB115_18
; %bb.15:                               ;   in Loop: Header=BB115_2 Depth=1
	s_mov_b64 s[20:21], 0
	v_mov_b32_e32 v68, v36
	v_mov_b32_e32 v66, v18
.LBB115_16:                             ;   Parent Loop BB115_2 Depth=1
                                        ; =>  This Inner Loop Header: Depth=2
	v_sub_u32_e32 v67, v66, v68
	v_lshrrev_b32_e32 v67, 1, v67
	v_add_u32_e32 v67, v67, v68
	v_add_u32_e32 v69, v1, v67
	v_xad_u32 v70, v67, -1, v37
	ds_read_u8 v69, v69
	ds_read_u8 v70, v70 offset:6
	v_add_u32_e32 v71, 1, v67
	s_waitcnt lgkmcnt(0)
	v_cmp_lt_u16_e64 s[16:17], v70, v69
	v_cndmask_b32_e64 v66, v66, v67, s[16:17]
	v_cndmask_b32_e64 v68, v71, v68, s[16:17]
	v_cmp_ge_i32_e64 s[16:17], v68, v66
	s_or_b64 s[20:21], s[16:17], s[20:21]
	s_andn2_b64 exec, exec, s[20:21]
	s_cbranch_execnz .LBB115_16
; %bb.17:                               ;   in Loop: Header=BB115_2 Depth=1
	s_or_b64 exec, exec, s[20:21]
.LBB115_18:                             ;   in Loop: Header=BB115_2 Depth=1
	s_or_b64 exec, exec, s[18:19]
	v_add_u32_e32 v66, v68, v1
	v_sub_u32_e32 v72, v37, v68
	ds_read_u8 v67, v66
	ds_read_u8 v69, v72 offset:6
	v_sub_u32_e32 v68, v38, v68
	v_cmp_le_i32_e64 s[18:19], v6, v66
	v_cmp_gt_i32_e64 s[16:17], v7, v68
                                        ; implicit-def: $vgpr70
	s_waitcnt lgkmcnt(0)
	v_cmp_lt_u16_sdwa s[20:21], v69, v67 src0_sel:BYTE_0 src1_sel:BYTE_0
	s_or_b64 s[18:19], s[18:19], s[20:21]
	s_and_b64 s[16:17], s[16:17], s[18:19]
	s_xor_b64 s[18:19], s[16:17], -1
	s_and_saveexec_b64 s[20:21], s[18:19]
	s_xor_b64 s[18:19], exec, s[20:21]
; %bb.19:                               ;   in Loop: Header=BB115_2 Depth=1
	ds_read_u8 v70, v66 offset:1
                                        ; implicit-def: $vgpr72
; %bb.20:                               ;   in Loop: Header=BB115_2 Depth=1
	s_or_saveexec_b64 s[18:19], s[18:19]
	v_mov_b32_e32 v71, v69
	s_xor_b64 exec, exec, s[18:19]
	s_cbranch_execz .LBB115_22
; %bb.21:                               ;   in Loop: Header=BB115_2 Depth=1
	ds_read_u8 v71, v72 offset:7
	s_waitcnt lgkmcnt(1)
	v_mov_b32_e32 v70, v67
.LBB115_22:                             ;   in Loop: Header=BB115_2 Depth=1
	s_or_b64 exec, exec, s[18:19]
	v_add_u32_e32 v73, 1, v66
	v_add_u32_e32 v72, 1, v68
	v_cndmask_b32_e64 v73, v73, v66, s[16:17]
	v_cndmask_b32_e64 v72, v68, v72, s[16:17]
	v_cmp_ge_i32_e64 s[20:21], v73, v6
	s_waitcnt lgkmcnt(0)
	v_cmp_lt_u16_sdwa s[22:23], v71, v70 src0_sel:BYTE_0 src1_sel:BYTE_0
	v_cmp_lt_i32_e64 s[18:19], v72, v7
	s_or_b64 s[20:21], s[20:21], s[22:23]
	s_and_b64 s[18:19], s[18:19], s[20:21]
	s_xor_b64 s[20:21], s[18:19], -1
                                        ; implicit-def: $vgpr74
	s_and_saveexec_b64 s[22:23], s[20:21]
	s_xor_b64 s[20:21], exec, s[22:23]
; %bb.23:                               ;   in Loop: Header=BB115_2 Depth=1
	ds_read_u8 v74, v73 offset:1
; %bb.24:                               ;   in Loop: Header=BB115_2 Depth=1
	s_or_saveexec_b64 s[20:21], s[20:21]
	v_mov_b32_e32 v75, v71
	s_xor_b64 exec, exec, s[20:21]
	s_cbranch_execz .LBB115_26
; %bb.25:                               ;   in Loop: Header=BB115_2 Depth=1
	ds_read_u8 v75, v72 offset:1
	s_waitcnt lgkmcnt(1)
	v_mov_b32_e32 v74, v70
.LBB115_26:                             ;   in Loop: Header=BB115_2 Depth=1
	s_or_b64 exec, exec, s[20:21]
	v_add_u32_e32 v76, 1, v73
	v_cndmask_b32_e64 v70, v70, v71, s[18:19]
	v_add_u32_e32 v71, 1, v72
	v_cndmask_b32_e64 v76, v76, v73, s[18:19]
	v_cndmask_b32_e64 v71, v72, v71, s[18:19]
	;; [unrolled: 1-line block ×3, first 2 shown]
	v_cmp_ge_i32_e64 s[18:19], v76, v6
	s_waitcnt lgkmcnt(0)
	v_cmp_lt_u16_sdwa s[20:21], v75, v74 src0_sel:BYTE_0 src1_sel:BYTE_0
	v_cndmask_b32_e64 v67, v67, v69, s[16:17]
	v_cndmask_b32_e64 v66, v66, v68, s[16:17]
	v_cmp_lt_i32_e64 s[16:17], v71, v7
	s_or_b64 s[18:19], s[18:19], s[20:21]
	s_and_b64 s[16:17], s[16:17], s[18:19]
	v_cndmask_b32_e64 v69, v76, v71, s[16:17]
	s_barrier
	ds_write_b8 v57, v63
	ds_write_b8 v57, v65 offset:1
	ds_write_b8 v57, v64 offset:2
	s_waitcnt lgkmcnt(0)
	s_barrier
	ds_read_u8 v63, v66
	ds_read_u8 v64, v69
	;; [unrolled: 1-line block ×3, first 2 shown]
	v_cndmask_b32_e64 v68, v74, v75, s[16:17]
	s_waitcnt lgkmcnt(0)
	s_barrier
	ds_write_b8 v57, v67
	ds_write_b8 v57, v70 offset:1
	ds_write_b8 v57, v68 offset:2
	v_mov_b32_e32 v68, v39
	s_waitcnt lgkmcnt(0)
	s_barrier
	s_and_saveexec_b64 s[18:19], s[2:3]
	s_cbranch_execz .LBB115_30
; %bb.27:                               ;   in Loop: Header=BB115_2 Depth=1
	s_mov_b64 s[20:21], 0
	v_mov_b32_e32 v68, v39
	v_mov_b32_e32 v66, v19
.LBB115_28:                             ;   Parent Loop BB115_2 Depth=1
                                        ; =>  This Inner Loop Header: Depth=2
	v_sub_u32_e32 v67, v66, v68
	v_lshrrev_b32_e32 v67, 1, v67
	v_add_u32_e32 v67, v67, v68
	v_add_u32_e32 v69, v2, v67
	v_xad_u32 v70, v67, -1, v40
	ds_read_u8 v69, v69
	ds_read_u8 v70, v70 offset:12
	v_add_u32_e32 v71, 1, v67
	s_waitcnt lgkmcnt(0)
	v_cmp_lt_u16_e64 s[16:17], v70, v69
	v_cndmask_b32_e64 v66, v66, v67, s[16:17]
	v_cndmask_b32_e64 v68, v71, v68, s[16:17]
	v_cmp_ge_i32_e64 s[16:17], v68, v66
	s_or_b64 s[20:21], s[16:17], s[20:21]
	s_andn2_b64 exec, exec, s[20:21]
	s_cbranch_execnz .LBB115_28
; %bb.29:                               ;   in Loop: Header=BB115_2 Depth=1
	s_or_b64 exec, exec, s[20:21]
.LBB115_30:                             ;   in Loop: Header=BB115_2 Depth=1
	s_or_b64 exec, exec, s[18:19]
	v_add_u32_e32 v66, v68, v2
	v_sub_u32_e32 v72, v40, v68
	ds_read_u8 v67, v66
	ds_read_u8 v69, v72 offset:12
	v_sub_u32_e32 v68, v41, v68
	v_cmp_le_i32_e64 s[18:19], v8, v66
	v_cmp_gt_i32_e64 s[16:17], v9, v68
                                        ; implicit-def: $vgpr70
	s_waitcnt lgkmcnt(0)
	v_cmp_lt_u16_sdwa s[20:21], v69, v67 src0_sel:BYTE_0 src1_sel:BYTE_0
	s_or_b64 s[18:19], s[18:19], s[20:21]
	s_and_b64 s[16:17], s[16:17], s[18:19]
	s_xor_b64 s[18:19], s[16:17], -1
	s_and_saveexec_b64 s[20:21], s[18:19]
	s_xor_b64 s[18:19], exec, s[20:21]
; %bb.31:                               ;   in Loop: Header=BB115_2 Depth=1
	ds_read_u8 v70, v66 offset:1
                                        ; implicit-def: $vgpr72
; %bb.32:                               ;   in Loop: Header=BB115_2 Depth=1
	s_or_saveexec_b64 s[18:19], s[18:19]
	v_mov_b32_e32 v71, v69
	s_xor_b64 exec, exec, s[18:19]
	s_cbranch_execz .LBB115_34
; %bb.33:                               ;   in Loop: Header=BB115_2 Depth=1
	ds_read_u8 v71, v72 offset:13
	s_waitcnt lgkmcnt(1)
	v_mov_b32_e32 v70, v67
.LBB115_34:                             ;   in Loop: Header=BB115_2 Depth=1
	s_or_b64 exec, exec, s[18:19]
	v_add_u32_e32 v73, 1, v66
	v_add_u32_e32 v72, 1, v68
	v_cndmask_b32_e64 v73, v73, v66, s[16:17]
	v_cndmask_b32_e64 v72, v68, v72, s[16:17]
	v_cmp_ge_i32_e64 s[20:21], v73, v8
	s_waitcnt lgkmcnt(0)
	v_cmp_lt_u16_sdwa s[22:23], v71, v70 src0_sel:BYTE_0 src1_sel:BYTE_0
	v_cmp_lt_i32_e64 s[18:19], v72, v9
	s_or_b64 s[20:21], s[20:21], s[22:23]
	s_and_b64 s[18:19], s[18:19], s[20:21]
	s_xor_b64 s[20:21], s[18:19], -1
                                        ; implicit-def: $vgpr74
	s_and_saveexec_b64 s[22:23], s[20:21]
	s_xor_b64 s[20:21], exec, s[22:23]
; %bb.35:                               ;   in Loop: Header=BB115_2 Depth=1
	ds_read_u8 v74, v73 offset:1
; %bb.36:                               ;   in Loop: Header=BB115_2 Depth=1
	s_or_saveexec_b64 s[20:21], s[20:21]
	v_mov_b32_e32 v75, v71
	s_xor_b64 exec, exec, s[20:21]
	s_cbranch_execz .LBB115_38
; %bb.37:                               ;   in Loop: Header=BB115_2 Depth=1
	ds_read_u8 v75, v72 offset:1
	s_waitcnt lgkmcnt(1)
	v_mov_b32_e32 v74, v70
.LBB115_38:                             ;   in Loop: Header=BB115_2 Depth=1
	s_or_b64 exec, exec, s[20:21]
	v_add_u32_e32 v76, 1, v73
	v_cndmask_b32_e64 v70, v70, v71, s[18:19]
	v_add_u32_e32 v71, 1, v72
	v_cndmask_b32_e64 v76, v76, v73, s[18:19]
	v_cndmask_b32_e64 v71, v72, v71, s[18:19]
	;; [unrolled: 1-line block ×3, first 2 shown]
	v_cmp_ge_i32_e64 s[18:19], v76, v8
	s_waitcnt lgkmcnt(0)
	v_cmp_lt_u16_sdwa s[20:21], v75, v74 src0_sel:BYTE_0 src1_sel:BYTE_0
	v_cndmask_b32_e64 v67, v67, v69, s[16:17]
	v_cndmask_b32_e64 v66, v66, v68, s[16:17]
	v_cmp_lt_i32_e64 s[16:17], v71, v9
	s_or_b64 s[18:19], s[18:19], s[20:21]
	s_and_b64 s[16:17], s[16:17], s[18:19]
	v_cndmask_b32_e64 v69, v76, v71, s[16:17]
	s_barrier
	ds_write_b8 v57, v63
	ds_write_b8 v57, v65 offset:1
	ds_write_b8 v57, v64 offset:2
	s_waitcnt lgkmcnt(0)
	s_barrier
	ds_read_u8 v63, v66
	ds_read_u8 v64, v69
	;; [unrolled: 1-line block ×3, first 2 shown]
	v_cndmask_b32_e64 v68, v74, v75, s[16:17]
	s_waitcnt lgkmcnt(0)
	s_barrier
	ds_write_b8 v57, v67
	ds_write_b8 v57, v70 offset:1
	ds_write_b8 v57, v68 offset:2
	v_mov_b32_e32 v68, v42
	s_waitcnt lgkmcnt(0)
	s_barrier
	s_and_saveexec_b64 s[18:19], s[4:5]
	s_cbranch_execz .LBB115_42
; %bb.39:                               ;   in Loop: Header=BB115_2 Depth=1
	s_mov_b64 s[20:21], 0
	v_mov_b32_e32 v68, v42
	v_mov_b32_e32 v66, v20
.LBB115_40:                             ;   Parent Loop BB115_2 Depth=1
                                        ; =>  This Inner Loop Header: Depth=2
	v_sub_u32_e32 v67, v66, v68
	v_lshrrev_b32_e32 v67, 1, v67
	v_add_u32_e32 v67, v67, v68
	v_add_u32_e32 v69, v3, v67
	v_xad_u32 v70, v67, -1, v43
	ds_read_u8 v69, v69
	ds_read_u8 v70, v70 offset:24
	v_add_u32_e32 v71, 1, v67
	s_waitcnt lgkmcnt(0)
	v_cmp_lt_u16_e64 s[16:17], v70, v69
	v_cndmask_b32_e64 v66, v66, v67, s[16:17]
	v_cndmask_b32_e64 v68, v71, v68, s[16:17]
	v_cmp_ge_i32_e64 s[16:17], v68, v66
	s_or_b64 s[20:21], s[16:17], s[20:21]
	s_andn2_b64 exec, exec, s[20:21]
	s_cbranch_execnz .LBB115_40
; %bb.41:                               ;   in Loop: Header=BB115_2 Depth=1
	s_or_b64 exec, exec, s[20:21]
.LBB115_42:                             ;   in Loop: Header=BB115_2 Depth=1
	s_or_b64 exec, exec, s[18:19]
	v_add_u32_e32 v66, v68, v3
	v_sub_u32_e32 v72, v43, v68
	ds_read_u8 v67, v66
	ds_read_u8 v69, v72 offset:24
	v_sub_u32_e32 v68, v44, v68
	v_cmp_le_i32_e64 s[18:19], v11, v66
	v_cmp_gt_i32_e64 s[16:17], v10, v68
                                        ; implicit-def: $vgpr70
	s_waitcnt lgkmcnt(0)
	v_cmp_lt_u16_sdwa s[20:21], v69, v67 src0_sel:BYTE_0 src1_sel:BYTE_0
	s_or_b64 s[18:19], s[18:19], s[20:21]
	s_and_b64 s[16:17], s[16:17], s[18:19]
	s_xor_b64 s[18:19], s[16:17], -1
	s_and_saveexec_b64 s[20:21], s[18:19]
	s_xor_b64 s[18:19], exec, s[20:21]
; %bb.43:                               ;   in Loop: Header=BB115_2 Depth=1
	ds_read_u8 v70, v66 offset:1
                                        ; implicit-def: $vgpr72
; %bb.44:                               ;   in Loop: Header=BB115_2 Depth=1
	s_or_saveexec_b64 s[18:19], s[18:19]
	v_mov_b32_e32 v71, v69
	s_xor_b64 exec, exec, s[18:19]
	s_cbranch_execz .LBB115_46
; %bb.45:                               ;   in Loop: Header=BB115_2 Depth=1
	ds_read_u8 v71, v72 offset:25
	s_waitcnt lgkmcnt(1)
	v_mov_b32_e32 v70, v67
.LBB115_46:                             ;   in Loop: Header=BB115_2 Depth=1
	s_or_b64 exec, exec, s[18:19]
	v_add_u32_e32 v73, 1, v66
	v_add_u32_e32 v72, 1, v68
	v_cndmask_b32_e64 v73, v73, v66, s[16:17]
	v_cndmask_b32_e64 v72, v68, v72, s[16:17]
	v_cmp_ge_i32_e64 s[20:21], v73, v11
	s_waitcnt lgkmcnt(0)
	v_cmp_lt_u16_sdwa s[22:23], v71, v70 src0_sel:BYTE_0 src1_sel:BYTE_0
	v_cmp_lt_i32_e64 s[18:19], v72, v10
	s_or_b64 s[20:21], s[20:21], s[22:23]
	s_and_b64 s[18:19], s[18:19], s[20:21]
	s_xor_b64 s[20:21], s[18:19], -1
                                        ; implicit-def: $vgpr74
	s_and_saveexec_b64 s[22:23], s[20:21]
	s_xor_b64 s[20:21], exec, s[22:23]
; %bb.47:                               ;   in Loop: Header=BB115_2 Depth=1
	ds_read_u8 v74, v73 offset:1
; %bb.48:                               ;   in Loop: Header=BB115_2 Depth=1
	s_or_saveexec_b64 s[20:21], s[20:21]
	v_mov_b32_e32 v75, v71
	s_xor_b64 exec, exec, s[20:21]
	s_cbranch_execz .LBB115_50
; %bb.49:                               ;   in Loop: Header=BB115_2 Depth=1
	ds_read_u8 v75, v72 offset:1
	s_waitcnt lgkmcnt(1)
	v_mov_b32_e32 v74, v70
.LBB115_50:                             ;   in Loop: Header=BB115_2 Depth=1
	s_or_b64 exec, exec, s[20:21]
	v_add_u32_e32 v76, 1, v73
	v_cndmask_b32_e64 v70, v70, v71, s[18:19]
	v_add_u32_e32 v71, 1, v72
	v_cndmask_b32_e64 v76, v76, v73, s[18:19]
	v_cndmask_b32_e64 v71, v72, v71, s[18:19]
	;; [unrolled: 1-line block ×3, first 2 shown]
	v_cmp_ge_i32_e64 s[18:19], v76, v11
	s_waitcnt lgkmcnt(0)
	v_cmp_lt_u16_sdwa s[20:21], v75, v74 src0_sel:BYTE_0 src1_sel:BYTE_0
	v_cndmask_b32_e64 v67, v67, v69, s[16:17]
	v_cndmask_b32_e64 v66, v66, v68, s[16:17]
	v_cmp_lt_i32_e64 s[16:17], v71, v10
	s_or_b64 s[18:19], s[18:19], s[20:21]
	s_and_b64 s[16:17], s[16:17], s[18:19]
	v_cndmask_b32_e64 v69, v76, v71, s[16:17]
	s_barrier
	ds_write_b8 v57, v63
	ds_write_b8 v57, v65 offset:1
	ds_write_b8 v57, v64 offset:2
	s_waitcnt lgkmcnt(0)
	s_barrier
	ds_read_u8 v63, v66
	ds_read_u8 v64, v69
	;; [unrolled: 1-line block ×3, first 2 shown]
	v_cndmask_b32_e64 v68, v74, v75, s[16:17]
	s_waitcnt lgkmcnt(0)
	s_barrier
	ds_write_b8 v57, v67
	ds_write_b8 v57, v70 offset:1
	ds_write_b8 v57, v68 offset:2
	v_mov_b32_e32 v68, v45
	s_waitcnt lgkmcnt(0)
	s_barrier
	s_and_saveexec_b64 s[18:19], s[6:7]
	s_cbranch_execz .LBB115_54
; %bb.51:                               ;   in Loop: Header=BB115_2 Depth=1
	s_mov_b64 s[20:21], 0
	v_mov_b32_e32 v68, v45
	v_mov_b32_e32 v66, v21
.LBB115_52:                             ;   Parent Loop BB115_2 Depth=1
                                        ; =>  This Inner Loop Header: Depth=2
	v_sub_u32_e32 v67, v66, v68
	v_lshrrev_b32_e32 v67, 1, v67
	v_add_u32_e32 v67, v67, v68
	v_add_u32_e32 v69, v4, v67
	v_xad_u32 v70, v67, -1, v46
	ds_read_u8 v69, v69
	ds_read_u8 v70, v70 offset:48
	v_add_u32_e32 v71, 1, v67
	s_waitcnt lgkmcnt(0)
	v_cmp_lt_u16_e64 s[16:17], v70, v69
	v_cndmask_b32_e64 v66, v66, v67, s[16:17]
	v_cndmask_b32_e64 v68, v71, v68, s[16:17]
	v_cmp_ge_i32_e64 s[16:17], v68, v66
	s_or_b64 s[20:21], s[16:17], s[20:21]
	s_andn2_b64 exec, exec, s[20:21]
	s_cbranch_execnz .LBB115_52
; %bb.53:                               ;   in Loop: Header=BB115_2 Depth=1
	s_or_b64 exec, exec, s[20:21]
.LBB115_54:                             ;   in Loop: Header=BB115_2 Depth=1
	s_or_b64 exec, exec, s[18:19]
	v_add_u32_e32 v66, v68, v4
	v_sub_u32_e32 v72, v46, v68
	ds_read_u8 v67, v66
	ds_read_u8 v69, v72 offset:48
	v_sub_u32_e32 v68, v47, v68
	v_cmp_le_i32_e64 s[18:19], v13, v66
	v_cmp_gt_i32_e64 s[16:17], v12, v68
                                        ; implicit-def: $vgpr70
	s_waitcnt lgkmcnt(0)
	v_cmp_lt_u16_sdwa s[20:21], v69, v67 src0_sel:BYTE_0 src1_sel:BYTE_0
	s_or_b64 s[18:19], s[18:19], s[20:21]
	s_and_b64 s[16:17], s[16:17], s[18:19]
	s_xor_b64 s[18:19], s[16:17], -1
	s_and_saveexec_b64 s[20:21], s[18:19]
	s_xor_b64 s[18:19], exec, s[20:21]
; %bb.55:                               ;   in Loop: Header=BB115_2 Depth=1
	ds_read_u8 v70, v66 offset:1
                                        ; implicit-def: $vgpr72
; %bb.56:                               ;   in Loop: Header=BB115_2 Depth=1
	s_or_saveexec_b64 s[18:19], s[18:19]
	v_mov_b32_e32 v71, v69
	s_xor_b64 exec, exec, s[18:19]
	s_cbranch_execz .LBB115_58
; %bb.57:                               ;   in Loop: Header=BB115_2 Depth=1
	ds_read_u8 v71, v72 offset:49
	s_waitcnt lgkmcnt(1)
	v_mov_b32_e32 v70, v67
.LBB115_58:                             ;   in Loop: Header=BB115_2 Depth=1
	s_or_b64 exec, exec, s[18:19]
	v_add_u32_e32 v73, 1, v66
	v_add_u32_e32 v72, 1, v68
	v_cndmask_b32_e64 v73, v73, v66, s[16:17]
	v_cndmask_b32_e64 v72, v68, v72, s[16:17]
	v_cmp_ge_i32_e64 s[20:21], v73, v13
	s_waitcnt lgkmcnt(0)
	v_cmp_lt_u16_sdwa s[22:23], v71, v70 src0_sel:BYTE_0 src1_sel:BYTE_0
	v_cmp_lt_i32_e64 s[18:19], v72, v12
	s_or_b64 s[20:21], s[20:21], s[22:23]
	s_and_b64 s[18:19], s[18:19], s[20:21]
	s_xor_b64 s[20:21], s[18:19], -1
                                        ; implicit-def: $vgpr74
	s_and_saveexec_b64 s[22:23], s[20:21]
	s_xor_b64 s[20:21], exec, s[22:23]
; %bb.59:                               ;   in Loop: Header=BB115_2 Depth=1
	ds_read_u8 v74, v73 offset:1
; %bb.60:                               ;   in Loop: Header=BB115_2 Depth=1
	s_or_saveexec_b64 s[20:21], s[20:21]
	v_mov_b32_e32 v75, v71
	s_xor_b64 exec, exec, s[20:21]
	s_cbranch_execz .LBB115_62
; %bb.61:                               ;   in Loop: Header=BB115_2 Depth=1
	ds_read_u8 v75, v72 offset:1
	s_waitcnt lgkmcnt(1)
	v_mov_b32_e32 v74, v70
.LBB115_62:                             ;   in Loop: Header=BB115_2 Depth=1
	s_or_b64 exec, exec, s[20:21]
	v_add_u32_e32 v76, 1, v73
	v_cndmask_b32_e64 v70, v70, v71, s[18:19]
	v_add_u32_e32 v71, 1, v72
	v_cndmask_b32_e64 v76, v76, v73, s[18:19]
	v_cndmask_b32_e64 v71, v72, v71, s[18:19]
	;; [unrolled: 1-line block ×3, first 2 shown]
	v_cmp_ge_i32_e64 s[18:19], v76, v13
	s_waitcnt lgkmcnt(0)
	v_cmp_lt_u16_sdwa s[20:21], v75, v74 src0_sel:BYTE_0 src1_sel:BYTE_0
	v_cndmask_b32_e64 v67, v67, v69, s[16:17]
	v_cndmask_b32_e64 v66, v66, v68, s[16:17]
	v_cmp_lt_i32_e64 s[16:17], v71, v12
	s_or_b64 s[18:19], s[18:19], s[20:21]
	s_and_b64 s[16:17], s[16:17], s[18:19]
	v_cndmask_b32_e64 v69, v76, v71, s[16:17]
	s_barrier
	ds_write_b8 v57, v63
	ds_write_b8 v57, v65 offset:1
	ds_write_b8 v57, v64 offset:2
	s_waitcnt lgkmcnt(0)
	s_barrier
	ds_read_u8 v63, v66
	ds_read_u8 v64, v69
	;; [unrolled: 1-line block ×3, first 2 shown]
	v_cndmask_b32_e64 v68, v74, v75, s[16:17]
	s_waitcnt lgkmcnt(0)
	s_barrier
	ds_write_b8 v57, v67
	ds_write_b8 v57, v70 offset:1
	ds_write_b8 v57, v68 offset:2
	v_mov_b32_e32 v68, v48
	s_waitcnt lgkmcnt(0)
	s_barrier
	s_and_saveexec_b64 s[18:19], s[8:9]
	s_cbranch_execz .LBB115_66
; %bb.63:                               ;   in Loop: Header=BB115_2 Depth=1
	s_mov_b64 s[20:21], 0
	v_mov_b32_e32 v68, v48
	v_mov_b32_e32 v66, v22
.LBB115_64:                             ;   Parent Loop BB115_2 Depth=1
                                        ; =>  This Inner Loop Header: Depth=2
	v_sub_u32_e32 v67, v66, v68
	v_lshrrev_b32_e32 v67, 1, v67
	v_add_u32_e32 v67, v67, v68
	v_add_u32_e32 v69, v5, v67
	v_xad_u32 v70, v67, -1, v49
	ds_read_u8 v69, v69
	ds_read_u8 v70, v70 offset:96
	v_add_u32_e32 v71, 1, v67
	s_waitcnt lgkmcnt(0)
	v_cmp_lt_u16_e64 s[16:17], v70, v69
	v_cndmask_b32_e64 v66, v66, v67, s[16:17]
	v_cndmask_b32_e64 v68, v71, v68, s[16:17]
	v_cmp_ge_i32_e64 s[16:17], v68, v66
	s_or_b64 s[20:21], s[16:17], s[20:21]
	s_andn2_b64 exec, exec, s[20:21]
	s_cbranch_execnz .LBB115_64
; %bb.65:                               ;   in Loop: Header=BB115_2 Depth=1
	s_or_b64 exec, exec, s[20:21]
.LBB115_66:                             ;   in Loop: Header=BB115_2 Depth=1
	s_or_b64 exec, exec, s[18:19]
	v_add_u32_e32 v66, v68, v5
	v_sub_u32_e32 v72, v49, v68
	ds_read_u8 v67, v66
	ds_read_u8 v69, v72 offset:96
	v_sub_u32_e32 v68, v50, v68
	v_cmp_le_i32_e64 s[18:19], v15, v66
	v_cmp_gt_i32_e64 s[16:17], v14, v68
                                        ; implicit-def: $vgpr70
	s_waitcnt lgkmcnt(0)
	v_cmp_lt_u16_sdwa s[20:21], v69, v67 src0_sel:BYTE_0 src1_sel:BYTE_0
	s_or_b64 s[18:19], s[18:19], s[20:21]
	s_and_b64 s[16:17], s[16:17], s[18:19]
	s_xor_b64 s[18:19], s[16:17], -1
	s_and_saveexec_b64 s[20:21], s[18:19]
	s_xor_b64 s[18:19], exec, s[20:21]
; %bb.67:                               ;   in Loop: Header=BB115_2 Depth=1
	ds_read_u8 v70, v66 offset:1
                                        ; implicit-def: $vgpr72
; %bb.68:                               ;   in Loop: Header=BB115_2 Depth=1
	s_or_saveexec_b64 s[18:19], s[18:19]
	v_mov_b32_e32 v71, v69
	s_xor_b64 exec, exec, s[18:19]
	s_cbranch_execz .LBB115_70
; %bb.69:                               ;   in Loop: Header=BB115_2 Depth=1
	ds_read_u8 v71, v72 offset:97
	s_waitcnt lgkmcnt(1)
	v_mov_b32_e32 v70, v67
.LBB115_70:                             ;   in Loop: Header=BB115_2 Depth=1
	s_or_b64 exec, exec, s[18:19]
	v_add_u32_e32 v73, 1, v66
	v_add_u32_e32 v72, 1, v68
	v_cndmask_b32_e64 v73, v73, v66, s[16:17]
	v_cndmask_b32_e64 v72, v68, v72, s[16:17]
	v_cmp_ge_i32_e64 s[20:21], v73, v15
	s_waitcnt lgkmcnt(0)
	v_cmp_lt_u16_sdwa s[22:23], v71, v70 src0_sel:BYTE_0 src1_sel:BYTE_0
	v_cmp_lt_i32_e64 s[18:19], v72, v14
	s_or_b64 s[20:21], s[20:21], s[22:23]
	s_and_b64 s[18:19], s[18:19], s[20:21]
	s_xor_b64 s[20:21], s[18:19], -1
                                        ; implicit-def: $vgpr74
	s_and_saveexec_b64 s[22:23], s[20:21]
	s_xor_b64 s[20:21], exec, s[22:23]
; %bb.71:                               ;   in Loop: Header=BB115_2 Depth=1
	ds_read_u8 v74, v73 offset:1
; %bb.72:                               ;   in Loop: Header=BB115_2 Depth=1
	s_or_saveexec_b64 s[20:21], s[20:21]
	v_mov_b32_e32 v75, v71
	s_xor_b64 exec, exec, s[20:21]
	s_cbranch_execz .LBB115_74
; %bb.73:                               ;   in Loop: Header=BB115_2 Depth=1
	ds_read_u8 v75, v72 offset:1
	s_waitcnt lgkmcnt(1)
	v_mov_b32_e32 v74, v70
.LBB115_74:                             ;   in Loop: Header=BB115_2 Depth=1
	s_or_b64 exec, exec, s[20:21]
	v_add_u32_e32 v76, 1, v73
	v_cndmask_b32_e64 v70, v70, v71, s[18:19]
	v_add_u32_e32 v71, 1, v72
	v_cndmask_b32_e64 v76, v76, v73, s[18:19]
	v_cndmask_b32_e64 v71, v72, v71, s[18:19]
	;; [unrolled: 1-line block ×3, first 2 shown]
	v_cmp_ge_i32_e64 s[18:19], v76, v15
	s_waitcnt lgkmcnt(0)
	v_cmp_lt_u16_sdwa s[20:21], v75, v74 src0_sel:BYTE_0 src1_sel:BYTE_0
	v_cndmask_b32_e64 v67, v67, v69, s[16:17]
	v_cndmask_b32_e64 v66, v66, v68, s[16:17]
	v_cmp_lt_i32_e64 s[16:17], v71, v14
	s_or_b64 s[18:19], s[18:19], s[20:21]
	s_and_b64 s[16:17], s[16:17], s[18:19]
	v_cndmask_b32_e64 v69, v76, v71, s[16:17]
	s_barrier
	ds_write_b8 v57, v63
	ds_write_b8 v57, v65 offset:1
	ds_write_b8 v57, v64 offset:2
	s_waitcnt lgkmcnt(0)
	s_barrier
	ds_read_u8 v63, v66
	ds_read_u8 v64, v69
	;; [unrolled: 1-line block ×3, first 2 shown]
	v_cndmask_b32_e64 v68, v74, v75, s[16:17]
	s_waitcnt lgkmcnt(0)
	s_barrier
	ds_write_b8 v57, v67
	ds_write_b8 v57, v70 offset:1
	ds_write_b8 v57, v68 offset:2
	v_mov_b32_e32 v68, v51
	s_waitcnt lgkmcnt(0)
	s_barrier
	s_and_saveexec_b64 s[18:19], s[10:11]
	s_cbranch_execz .LBB115_78
; %bb.75:                               ;   in Loop: Header=BB115_2 Depth=1
	s_mov_b64 s[20:21], 0
	v_mov_b32_e32 v68, v51
	v_mov_b32_e32 v66, v24
.LBB115_76:                             ;   Parent Loop BB115_2 Depth=1
                                        ; =>  This Inner Loop Header: Depth=2
	v_sub_u32_e32 v67, v66, v68
	v_lshrrev_b32_e32 v67, 1, v67
	v_add_u32_e32 v67, v67, v68
	v_add_u32_e32 v69, v23, v67
	v_xad_u32 v70, v67, -1, v52
	ds_read_u8 v69, v69
	ds_read_u8 v70, v70 offset:192
	v_add_u32_e32 v71, 1, v67
	s_waitcnt lgkmcnt(0)
	v_cmp_lt_u16_e64 s[16:17], v70, v69
	v_cndmask_b32_e64 v66, v66, v67, s[16:17]
	v_cndmask_b32_e64 v68, v71, v68, s[16:17]
	v_cmp_ge_i32_e64 s[16:17], v68, v66
	s_or_b64 s[20:21], s[16:17], s[20:21]
	s_andn2_b64 exec, exec, s[20:21]
	s_cbranch_execnz .LBB115_76
; %bb.77:                               ;   in Loop: Header=BB115_2 Depth=1
	s_or_b64 exec, exec, s[20:21]
.LBB115_78:                             ;   in Loop: Header=BB115_2 Depth=1
	s_or_b64 exec, exec, s[18:19]
	v_add_u32_e32 v66, v68, v23
	v_sub_u32_e32 v72, v52, v68
	ds_read_u8 v67, v66
	ds_read_u8 v69, v72 offset:192
	v_sub_u32_e32 v68, v53, v68
	v_cmp_le_i32_e64 s[18:19], v17, v66
	v_cmp_gt_i32_e64 s[16:17], v16, v68
                                        ; implicit-def: $vgpr70
	s_waitcnt lgkmcnt(0)
	v_cmp_lt_u16_sdwa s[20:21], v69, v67 src0_sel:BYTE_0 src1_sel:BYTE_0
	s_or_b64 s[18:19], s[18:19], s[20:21]
	s_and_b64 s[16:17], s[16:17], s[18:19]
	s_xor_b64 s[18:19], s[16:17], -1
	s_and_saveexec_b64 s[20:21], s[18:19]
	s_xor_b64 s[18:19], exec, s[20:21]
; %bb.79:                               ;   in Loop: Header=BB115_2 Depth=1
	ds_read_u8 v70, v66 offset:1
                                        ; implicit-def: $vgpr72
; %bb.80:                               ;   in Loop: Header=BB115_2 Depth=1
	s_or_saveexec_b64 s[18:19], s[18:19]
	v_mov_b32_e32 v71, v69
	s_xor_b64 exec, exec, s[18:19]
	s_cbranch_execz .LBB115_82
; %bb.81:                               ;   in Loop: Header=BB115_2 Depth=1
	ds_read_u8 v71, v72 offset:193
	s_waitcnt lgkmcnt(1)
	v_mov_b32_e32 v70, v67
.LBB115_82:                             ;   in Loop: Header=BB115_2 Depth=1
	s_or_b64 exec, exec, s[18:19]
	v_add_u32_e32 v73, 1, v66
	v_add_u32_e32 v72, 1, v68
	v_cndmask_b32_e64 v73, v73, v66, s[16:17]
	v_cndmask_b32_e64 v72, v68, v72, s[16:17]
	v_cmp_ge_i32_e64 s[20:21], v73, v17
	s_waitcnt lgkmcnt(0)
	v_cmp_lt_u16_sdwa s[22:23], v71, v70 src0_sel:BYTE_0 src1_sel:BYTE_0
	v_cmp_lt_i32_e64 s[18:19], v72, v16
	s_or_b64 s[20:21], s[20:21], s[22:23]
	s_and_b64 s[18:19], s[18:19], s[20:21]
	s_xor_b64 s[20:21], s[18:19], -1
                                        ; implicit-def: $vgpr74
	s_and_saveexec_b64 s[22:23], s[20:21]
	s_xor_b64 s[20:21], exec, s[22:23]
; %bb.83:                               ;   in Loop: Header=BB115_2 Depth=1
	ds_read_u8 v74, v73 offset:1
; %bb.84:                               ;   in Loop: Header=BB115_2 Depth=1
	s_or_saveexec_b64 s[20:21], s[20:21]
	v_mov_b32_e32 v75, v71
	s_xor_b64 exec, exec, s[20:21]
	s_cbranch_execz .LBB115_86
; %bb.85:                               ;   in Loop: Header=BB115_2 Depth=1
	ds_read_u8 v75, v72 offset:1
	s_waitcnt lgkmcnt(1)
	v_mov_b32_e32 v74, v70
.LBB115_86:                             ;   in Loop: Header=BB115_2 Depth=1
	s_or_b64 exec, exec, s[20:21]
	v_add_u32_e32 v76, 1, v73
	v_cndmask_b32_e64 v70, v70, v71, s[18:19]
	v_add_u32_e32 v71, 1, v72
	v_cndmask_b32_e64 v76, v76, v73, s[18:19]
	v_cndmask_b32_e64 v71, v72, v71, s[18:19]
	;; [unrolled: 1-line block ×3, first 2 shown]
	v_cmp_ge_i32_e64 s[18:19], v76, v17
	s_waitcnt lgkmcnt(0)
	v_cmp_lt_u16_sdwa s[20:21], v75, v74 src0_sel:BYTE_0 src1_sel:BYTE_0
	v_cndmask_b32_e64 v67, v67, v69, s[16:17]
	v_cndmask_b32_e64 v66, v66, v68, s[16:17]
	v_cmp_lt_i32_e64 s[16:17], v71, v16
	s_or_b64 s[18:19], s[18:19], s[20:21]
	s_and_b64 s[16:17], s[16:17], s[18:19]
	v_cndmask_b32_e64 v69, v76, v71, s[16:17]
	s_barrier
	ds_write_b8 v57, v63
	ds_write_b8 v57, v65 offset:1
	ds_write_b8 v57, v64 offset:2
	s_waitcnt lgkmcnt(0)
	s_barrier
	ds_read_u8 v63, v66
	ds_read_u8 v64, v69
	ds_read_u8 v65, v72
	v_cndmask_b32_e64 v68, v74, v75, s[16:17]
	s_waitcnt lgkmcnt(0)
	s_barrier
	ds_write_b8 v57, v67
	ds_write_b8 v57, v70 offset:1
	ds_write_b8 v57, v68 offset:2
	v_mov_b32_e32 v68, v54
	s_waitcnt lgkmcnt(0)
	s_barrier
	s_and_saveexec_b64 s[18:19], s[12:13]
	s_cbranch_execz .LBB115_90
; %bb.87:                               ;   in Loop: Header=BB115_2 Depth=1
	s_mov_b64 s[20:21], 0
	v_mov_b32_e32 v68, v54
	v_mov_b32_e32 v66, v28
.LBB115_88:                             ;   Parent Loop BB115_2 Depth=1
                                        ; =>  This Inner Loop Header: Depth=2
	v_sub_u32_e32 v67, v66, v68
	v_lshrrev_b32_e32 v67, 1, v67
	v_add_u32_e32 v67, v67, v68
	v_add_u32_e32 v69, v27, v67
	v_xad_u32 v70, v67, -1, v55
	ds_read_u8 v69, v69
	ds_read_u8 v70, v70 offset:384
	v_add_u32_e32 v71, 1, v67
	s_waitcnt lgkmcnt(0)
	v_cmp_lt_u16_e64 s[16:17], v70, v69
	v_cndmask_b32_e64 v66, v66, v67, s[16:17]
	v_cndmask_b32_e64 v68, v71, v68, s[16:17]
	v_cmp_ge_i32_e64 s[16:17], v68, v66
	s_or_b64 s[20:21], s[16:17], s[20:21]
	s_andn2_b64 exec, exec, s[20:21]
	s_cbranch_execnz .LBB115_88
; %bb.89:                               ;   in Loop: Header=BB115_2 Depth=1
	s_or_b64 exec, exec, s[20:21]
.LBB115_90:                             ;   in Loop: Header=BB115_2 Depth=1
	s_or_b64 exec, exec, s[18:19]
	v_add_u32_e32 v66, v68, v27
	v_sub_u32_e32 v72, v55, v68
	ds_read_u8 v67, v66
	ds_read_u8 v69, v72 offset:384
	v_sub_u32_e32 v68, v56, v68
	v_cmp_le_i32_e64 s[18:19], v26, v66
	v_cmp_gt_i32_e64 s[16:17], v25, v68
                                        ; implicit-def: $vgpr70
	s_waitcnt lgkmcnt(0)
	v_cmp_lt_u16_sdwa s[20:21], v69, v67 src0_sel:BYTE_0 src1_sel:BYTE_0
	s_or_b64 s[18:19], s[18:19], s[20:21]
	s_and_b64 s[16:17], s[16:17], s[18:19]
	s_xor_b64 s[18:19], s[16:17], -1
	s_and_saveexec_b64 s[20:21], s[18:19]
	s_xor_b64 s[18:19], exec, s[20:21]
; %bb.91:                               ;   in Loop: Header=BB115_2 Depth=1
	ds_read_u8 v70, v66 offset:1
                                        ; implicit-def: $vgpr72
; %bb.92:                               ;   in Loop: Header=BB115_2 Depth=1
	s_or_saveexec_b64 s[18:19], s[18:19]
	v_mov_b32_e32 v71, v69
	s_xor_b64 exec, exec, s[18:19]
	s_cbranch_execz .LBB115_94
; %bb.93:                               ;   in Loop: Header=BB115_2 Depth=1
	ds_read_u8 v71, v72 offset:385
	s_waitcnt lgkmcnt(1)
	v_mov_b32_e32 v70, v67
.LBB115_94:                             ;   in Loop: Header=BB115_2 Depth=1
	s_or_b64 exec, exec, s[18:19]
	v_add_u32_e32 v73, 1, v66
	v_add_u32_e32 v72, 1, v68
	v_cndmask_b32_e64 v73, v73, v66, s[16:17]
	v_cndmask_b32_e64 v72, v68, v72, s[16:17]
	v_cmp_ge_i32_e64 s[20:21], v73, v26
	s_waitcnt lgkmcnt(0)
	v_cmp_lt_u16_sdwa s[22:23], v71, v70 src0_sel:BYTE_0 src1_sel:BYTE_0
	v_cmp_lt_i32_e64 s[18:19], v72, v25
	s_or_b64 s[20:21], s[20:21], s[22:23]
	s_and_b64 s[18:19], s[18:19], s[20:21]
	s_xor_b64 s[20:21], s[18:19], -1
                                        ; implicit-def: $vgpr74
	s_and_saveexec_b64 s[22:23], s[20:21]
	s_xor_b64 s[20:21], exec, s[22:23]
; %bb.95:                               ;   in Loop: Header=BB115_2 Depth=1
	ds_read_u8 v74, v73 offset:1
; %bb.96:                               ;   in Loop: Header=BB115_2 Depth=1
	s_or_saveexec_b64 s[20:21], s[20:21]
	v_mov_b32_e32 v75, v71
	s_xor_b64 exec, exec, s[20:21]
	s_cbranch_execz .LBB115_98
; %bb.97:                               ;   in Loop: Header=BB115_2 Depth=1
	ds_read_u8 v75, v72 offset:1
	s_waitcnt lgkmcnt(1)
	v_mov_b32_e32 v74, v70
.LBB115_98:                             ;   in Loop: Header=BB115_2 Depth=1
	s_or_b64 exec, exec, s[20:21]
	v_add_u32_e32 v76, 1, v73
	v_cndmask_b32_e64 v70, v70, v71, s[18:19]
	v_add_u32_e32 v71, 1, v72
	v_cndmask_b32_e64 v76, v76, v73, s[18:19]
	v_cndmask_b32_e64 v71, v72, v71, s[18:19]
	v_cndmask_b32_e64 v72, v73, v72, s[18:19]
	v_cmp_ge_i32_e64 s[18:19], v76, v26
	s_waitcnt lgkmcnt(0)
	v_cmp_lt_u16_sdwa s[20:21], v75, v74 src0_sel:BYTE_0 src1_sel:BYTE_0
	v_cndmask_b32_e64 v67, v67, v69, s[16:17]
	v_cndmask_b32_e64 v66, v66, v68, s[16:17]
	v_cmp_lt_i32_e64 s[16:17], v71, v25
	s_or_b64 s[18:19], s[18:19], s[20:21]
	s_and_b64 s[16:17], s[16:17], s[18:19]
	v_cndmask_b32_e64 v69, v76, v71, s[16:17]
	s_barrier
	ds_write_b8 v57, v63
	ds_write_b8 v57, v65 offset:1
	ds_write_b8 v57, v64 offset:2
	s_waitcnt lgkmcnt(0)
	s_barrier
	ds_read_u8 v63, v66
	ds_read_u8 v64, v69
	;; [unrolled: 1-line block ×3, first 2 shown]
	v_mov_b32_e32 v66, v59
	v_cndmask_b32_e64 v68, v74, v75, s[16:17]
	s_waitcnt lgkmcnt(0)
	s_barrier
	ds_write_b8 v57, v67
	ds_write_b8 v57, v70 offset:1
	ds_write_b8 v57, v68 offset:2
	s_waitcnt lgkmcnt(0)
	s_barrier
	s_and_saveexec_b64 s[18:19], s[14:15]
	s_cbranch_execz .LBB115_102
; %bb.99:                               ;   in Loop: Header=BB115_2 Depth=1
	s_mov_b64 s[20:21], 0
	v_mov_b32_e32 v66, v59
	v_mov_b32_e32 v67, v60
.LBB115_100:                            ;   Parent Loop BB115_2 Depth=1
                                        ; =>  This Inner Loop Header: Depth=2
	v_sub_u32_e32 v68, v67, v66
	v_lshrrev_b32_e32 v68, 1, v68
	v_add_u32_e32 v68, v68, v66
	v_xad_u32 v69, v68, -1, v57
	ds_read_u8 v70, v68
	ds_read_u8 v69, v69 offset:768
	v_add_u32_e32 v71, 1, v68
	s_waitcnt lgkmcnt(0)
	v_cmp_lt_u16_e64 s[16:17], v69, v70
	v_cndmask_b32_e64 v67, v67, v68, s[16:17]
	v_cndmask_b32_e64 v66, v71, v66, s[16:17]
	v_cmp_ge_i32_e64 s[16:17], v66, v67
	s_or_b64 s[20:21], s[16:17], s[20:21]
	s_andn2_b64 exec, exec, s[20:21]
	s_cbranch_execnz .LBB115_100
; %bb.101:                              ;   in Loop: Header=BB115_2 Depth=1
	s_or_b64 exec, exec, s[20:21]
.LBB115_102:                            ;   in Loop: Header=BB115_2 Depth=1
	s_or_b64 exec, exec, s[18:19]
	v_sub_u32_e32 v72, v57, v66
	ds_read_u8 v68, v66
	ds_read_u8 v69, v72 offset:768
	v_sub_u32_e32 v67, v61, v66
	v_cmp_le_i32_e64 s[18:19], v58, v66
	v_cmp_gt_i32_e64 s[16:17], s29, v67
                                        ; implicit-def: $vgpr70
	s_waitcnt lgkmcnt(0)
	v_cmp_lt_u16_sdwa s[20:21], v69, v68 src0_sel:BYTE_0 src1_sel:BYTE_0
	s_or_b64 s[18:19], s[18:19], s[20:21]
	s_and_b64 s[16:17], s[16:17], s[18:19]
	s_xor_b64 s[18:19], s[16:17], -1
	s_and_saveexec_b64 s[20:21], s[18:19]
	s_xor_b64 s[18:19], exec, s[20:21]
; %bb.103:                              ;   in Loop: Header=BB115_2 Depth=1
	ds_read_u8 v70, v66 offset:1
                                        ; implicit-def: $vgpr72
; %bb.104:                              ;   in Loop: Header=BB115_2 Depth=1
	s_or_saveexec_b64 s[18:19], s[18:19]
	v_mov_b32_e32 v71, v69
	s_xor_b64 exec, exec, s[18:19]
	s_cbranch_execz .LBB115_106
; %bb.105:                              ;   in Loop: Header=BB115_2 Depth=1
	ds_read_u8 v71, v72 offset:769
	s_waitcnt lgkmcnt(1)
	v_mov_b32_e32 v70, v68
.LBB115_106:                            ;   in Loop: Header=BB115_2 Depth=1
	s_or_b64 exec, exec, s[18:19]
	v_add_u32_e32 v73, 1, v66
	v_add_u32_e32 v72, 1, v67
	v_cndmask_b32_e64 v76, v73, v66, s[16:17]
	v_cndmask_b32_e64 v72, v67, v72, s[16:17]
	v_cmp_ge_i32_e64 s[20:21], v76, v58
	s_waitcnt lgkmcnt(0)
	v_cmp_lt_u16_sdwa s[22:23], v71, v70 src0_sel:BYTE_0 src1_sel:BYTE_0
	v_cmp_gt_i32_e64 s[18:19], s29, v72
	s_or_b64 s[20:21], s[20:21], s[22:23]
	s_and_b64 s[18:19], s[18:19], s[20:21]
	s_xor_b64 s[20:21], s[18:19], -1
                                        ; implicit-def: $vgpr75
                                        ; implicit-def: $vgpr73
	s_and_saveexec_b64 s[22:23], s[20:21]
	s_xor_b64 s[20:21], exec, s[22:23]
; %bb.107:                              ;   in Loop: Header=BB115_2 Depth=1
	ds_read_u8 v75, v76 offset:1
	v_add_u32_e32 v73, 1, v76
; %bb.108:                              ;   in Loop: Header=BB115_2 Depth=1
	s_or_saveexec_b64 s[20:21], s[20:21]
	v_mov_b32_e32 v74, v76
	v_mov_b32_e32 v77, v71
	s_xor_b64 exec, exec, s[20:21]
	s_cbranch_execz .LBB115_1
; %bb.109:                              ;   in Loop: Header=BB115_2 Depth=1
	ds_read_u8 v77, v72 offset:1
	s_waitcnt lgkmcnt(1)
	v_add_u32_e32 v75, 1, v72
	v_mov_b32_e32 v74, v72
	v_mov_b32_e32 v73, v76
	;; [unrolled: 1-line block ×4, first 2 shown]
	s_branch .LBB115_1
.LBB115_110:
	s_add_u32 s0, s30, s33
	s_addc_u32 s1, s31, 0
	v_mov_b32_e32 v1, s1
	v_add_co_u32_e32 v0, vcc, s0, v0
	s_waitcnt lgkmcnt(2)
	v_add_u16_e32 v2, v68, v64
	v_addc_co_u32_e32 v1, vcc, 0, v1, vcc
	s_waitcnt lgkmcnt(1)
	v_add_u16_e32 v3, v69, v65
	s_waitcnt lgkmcnt(0)
	v_add_u16_e32 v4, v67, v63
	global_store_byte v[0:1], v2, off
	global_store_byte v[0:1], v3, off offset:512
	global_store_byte v[0:1], v4, off offset:1024
	s_endpgm
	.section	.rodata,"a",@progbits
	.p2align	6, 0x0
	.amdhsa_kernel _Z17sort_pairs_kernelIhLj512ELj3EN10test_utils4lessELj10EEvPKT_PS2_T2_
		.amdhsa_group_segment_fixed_size 1537
		.amdhsa_private_segment_fixed_size 0
		.amdhsa_kernarg_size 20
		.amdhsa_user_sgpr_count 6
		.amdhsa_user_sgpr_private_segment_buffer 1
		.amdhsa_user_sgpr_dispatch_ptr 0
		.amdhsa_user_sgpr_queue_ptr 0
		.amdhsa_user_sgpr_kernarg_segment_ptr 1
		.amdhsa_user_sgpr_dispatch_id 0
		.amdhsa_user_sgpr_flat_scratch_init 0
		.amdhsa_user_sgpr_private_segment_size 0
		.amdhsa_uses_dynamic_stack 0
		.amdhsa_system_sgpr_private_segment_wavefront_offset 0
		.amdhsa_system_sgpr_workgroup_id_x 1
		.amdhsa_system_sgpr_workgroup_id_y 0
		.amdhsa_system_sgpr_workgroup_id_z 0
		.amdhsa_system_sgpr_workgroup_info 0
		.amdhsa_system_vgpr_workitem_id 0
		.amdhsa_next_free_vgpr 78
		.amdhsa_next_free_sgpr 44
		.amdhsa_reserve_vcc 1
		.amdhsa_reserve_flat_scratch 0
		.amdhsa_float_round_mode_32 0
		.amdhsa_float_round_mode_16_64 0
		.amdhsa_float_denorm_mode_32 3
		.amdhsa_float_denorm_mode_16_64 3
		.amdhsa_dx10_clamp 1
		.amdhsa_ieee_mode 1
		.amdhsa_fp16_overflow 0
		.amdhsa_exception_fp_ieee_invalid_op 0
		.amdhsa_exception_fp_denorm_src 0
		.amdhsa_exception_fp_ieee_div_zero 0
		.amdhsa_exception_fp_ieee_overflow 0
		.amdhsa_exception_fp_ieee_underflow 0
		.amdhsa_exception_fp_ieee_inexact 0
		.amdhsa_exception_int_div_zero 0
	.end_amdhsa_kernel
	.section	.text._Z17sort_pairs_kernelIhLj512ELj3EN10test_utils4lessELj10EEvPKT_PS2_T2_,"axG",@progbits,_Z17sort_pairs_kernelIhLj512ELj3EN10test_utils4lessELj10EEvPKT_PS2_T2_,comdat
.Lfunc_end115:
	.size	_Z17sort_pairs_kernelIhLj512ELj3EN10test_utils4lessELj10EEvPKT_PS2_T2_, .Lfunc_end115-_Z17sort_pairs_kernelIhLj512ELj3EN10test_utils4lessELj10EEvPKT_PS2_T2_
                                        ; -- End function
	.set _Z17sort_pairs_kernelIhLj512ELj3EN10test_utils4lessELj10EEvPKT_PS2_T2_.num_vgpr, 78
	.set _Z17sort_pairs_kernelIhLj512ELj3EN10test_utils4lessELj10EEvPKT_PS2_T2_.num_agpr, 0
	.set _Z17sort_pairs_kernelIhLj512ELj3EN10test_utils4lessELj10EEvPKT_PS2_T2_.numbered_sgpr, 44
	.set _Z17sort_pairs_kernelIhLj512ELj3EN10test_utils4lessELj10EEvPKT_PS2_T2_.num_named_barrier, 0
	.set _Z17sort_pairs_kernelIhLj512ELj3EN10test_utils4lessELj10EEvPKT_PS2_T2_.private_seg_size, 0
	.set _Z17sort_pairs_kernelIhLj512ELj3EN10test_utils4lessELj10EEvPKT_PS2_T2_.uses_vcc, 1
	.set _Z17sort_pairs_kernelIhLj512ELj3EN10test_utils4lessELj10EEvPKT_PS2_T2_.uses_flat_scratch, 0
	.set _Z17sort_pairs_kernelIhLj512ELj3EN10test_utils4lessELj10EEvPKT_PS2_T2_.has_dyn_sized_stack, 0
	.set _Z17sort_pairs_kernelIhLj512ELj3EN10test_utils4lessELj10EEvPKT_PS2_T2_.has_recursion, 0
	.set _Z17sort_pairs_kernelIhLj512ELj3EN10test_utils4lessELj10EEvPKT_PS2_T2_.has_indirect_call, 0
	.section	.AMDGPU.csdata,"",@progbits
; Kernel info:
; codeLenInByte = 6548
; TotalNumSgprs: 48
; NumVgprs: 78
; ScratchSize: 0
; MemoryBound: 0
; FloatMode: 240
; IeeeMode: 1
; LDSByteSize: 1537 bytes/workgroup (compile time only)
; SGPRBlocks: 5
; VGPRBlocks: 19
; NumSGPRsForWavesPerEU: 48
; NumVGPRsForWavesPerEU: 78
; Occupancy: 3
; WaveLimiterHint : 1
; COMPUTE_PGM_RSRC2:SCRATCH_EN: 0
; COMPUTE_PGM_RSRC2:USER_SGPR: 6
; COMPUTE_PGM_RSRC2:TRAP_HANDLER: 0
; COMPUTE_PGM_RSRC2:TGID_X_EN: 1
; COMPUTE_PGM_RSRC2:TGID_Y_EN: 0
; COMPUTE_PGM_RSRC2:TGID_Z_EN: 0
; COMPUTE_PGM_RSRC2:TIDIG_COMP_CNT: 0
	.section	.text._Z16sort_keys_kernelIhLj512ELj4EN10test_utils4lessELj10EEvPKT_PS2_T2_,"axG",@progbits,_Z16sort_keys_kernelIhLj512ELj4EN10test_utils4lessELj10EEvPKT_PS2_T2_,comdat
	.protected	_Z16sort_keys_kernelIhLj512ELj4EN10test_utils4lessELj10EEvPKT_PS2_T2_ ; -- Begin function _Z16sort_keys_kernelIhLj512ELj4EN10test_utils4lessELj10EEvPKT_PS2_T2_
	.globl	_Z16sort_keys_kernelIhLj512ELj4EN10test_utils4lessELj10EEvPKT_PS2_T2_
	.p2align	8
	.type	_Z16sort_keys_kernelIhLj512ELj4EN10test_utils4lessELj10EEvPKT_PS2_T2_,@function
_Z16sort_keys_kernelIhLj512ELj4EN10test_utils4lessELj10EEvPKT_PS2_T2_: ; @_Z16sort_keys_kernelIhLj512ELj4EN10test_utils4lessELj10EEvPKT_PS2_T2_
; %bb.0:
	s_load_dwordx4 s[24:27], s[4:5], 0x0
	s_lshl_b32 s28, s6, 11
	v_lshlrev_b32_e32 v1, 2, v0
	v_and_b32_e32 v2, 0x7f8, v1
	v_and_b32_e32 v3, 0x7f0, v1
	s_waitcnt lgkmcnt(0)
	s_add_u32 s0, s24, s28
	s_addc_u32 s1, s25, 0
	global_load_ubyte v38, v0, s[0:1] offset:512
	global_load_ubyte v39, v0, s[0:1] offset:1024
	global_load_ubyte v40, v0, s[0:1] offset:1536
	global_load_ubyte v41, v0, s[0:1]
	v_or_b32_e32 v10, 4, v2
	v_add_u32_e32 v11, 8, v2
	v_and_b32_e32 v34, 4, v1
	v_and_b32_e32 v4, 0x7e0, v1
	v_or_b32_e32 v12, 8, v3
	v_add_u32_e32 v13, 16, v3
	v_sub_u32_e32 v44, v11, v10
	s_mov_b32 s6, 0xc0c0004
	v_and_b32_e32 v35, 12, v1
	v_and_b32_e32 v5, 0x7c0, v1
	;; [unrolled: 1-line block ×6, first 2 shown]
	v_or_b32_e32 v14, 16, v4
	v_add_u32_e32 v15, 32, v4
	v_sub_u32_e32 v45, v13, v12
	v_sub_u32_e32 v30, v10, v2
	;; [unrolled: 1-line block ×3, first 2 shown]
	v_cmp_ge_i32_e32 vcc, v34, v44
	v_and_b32_e32 v36, 28, v1
	v_or_b32_e32 v16, 32, v5
	v_add_u32_e32 v17, 64, v5
	v_or_b32_e32 v18, 64, v6
	v_add_u32_e32 v19, 0x80, v6
	;; [unrolled: 2-line block ×5, first 2 shown]
	v_sub_u32_e32 v47, v15, v14
	v_add_u32_e32 v26, v10, v34
	v_sub_u32_e32 v31, v12, v3
	v_sub_u32_e32 v55, v35, v45
	v_min_i32_e32 v30, v34, v30
	v_cndmask_b32_e32 v34, 0, v54, vcc
	v_cmp_ge_i32_e32 vcc, v35, v45
	v_and_b32_e32 v37, 60, v1
	v_and_b32_e32 v42, 0x7c, v1
	;; [unrolled: 1-line block ×5, first 2 shown]
	v_sub_u32_e32 v48, v17, v16
	v_sub_u32_e32 v50, v19, v18
	;; [unrolled: 1-line block ×5, first 2 shown]
	v_add_u32_e32 v27, v12, v35
	v_sub_u32_e32 v32, v14, v4
	v_sub_u32_e32 v56, v36, v47
	v_min_i32_e32 v31, v35, v31
	v_cndmask_b32_e32 v35, 0, v55, vcc
	v_cmp_ge_i32_e32 vcc, v36, v47
	v_add_u32_e32 v28, v14, v36
	v_sub_u32_e32 v33, v16, v5
	v_sub_u32_e32 v57, v37, v48
	;; [unrolled: 1-line block ×6, first 2 shown]
	v_min_i32_e32 v32, v36, v32
	v_cndmask_b32_e32 v36, 0, v56, vcc
	v_cmp_ge_i32_e32 vcc, v37, v48
	v_cmp_ge_i32_e64 s[8:9], v43, v51
	v_cmp_ge_i32_e64 s[10:11], v46, v52
	v_sub_u32_e32 v45, v22, v8
	v_cmp_ge_i32_e64 s[12:13], v49, v53
	v_sub_u32_e32 v48, v24, v9
	v_add_u32_e32 v29, v16, v37
	v_min_i32_e32 v33, v37, v33
	v_cndmask_b32_e32 v37, 0, v57, vcc
	v_cndmask_b32_e64 v44, 0, v60, s[10:11]
	v_min_i32_e32 v45, v46, v45
	v_cndmask_b32_e64 v47, 0, v61, s[12:13]
	v_min_i32_e32 v48, v49, v48
	v_min_i32_e32 v52, 0x400, v1
	s_mov_b32 s24, 0
	s_waitcnt vmcnt(1)
	v_perm_b32 v39, v39, v40, s6
	s_waitcnt vmcnt(0)
	v_perm_b32 v38, v41, v38, s6
	v_lshl_or_b32 v54, v39, 16, v38
	v_sub_u32_e32 v39, v18, v6
	v_cmp_ge_i32_e64 s[6:7], v42, v50
	v_min_i32_e32 v39, v42, v39
	v_add_u32_e32 v40, v18, v42
	v_sub_u32_e32 v42, v20, v7
	v_mov_b32_e32 v50, 0x400
	v_cndmask_b32_e64 v38, 0, v58, s[6:7]
	v_cndmask_b32_e64 v41, 0, v59, s[8:9]
	v_min_i32_e32 v42, v43, v42
	v_sub_u32_e64 v51, v1, v50 clamp
	v_cmp_lt_i32_e32 vcc, v34, v30
	v_cmp_lt_i32_e64 s[0:1], v35, v31
	v_cmp_lt_i32_e64 s[2:3], v36, v32
	;; [unrolled: 1-line block ×5, first 2 shown]
	v_add_u32_e32 v43, v20, v43
	v_cmp_lt_i32_e64 s[10:11], v44, v45
	v_add_u32_e32 v46, v22, v46
	v_cmp_lt_i32_e64 s[12:13], v47, v48
	;; [unrolled: 2-line block ×3, first 2 shown]
	s_mov_b32 s25, 0x7060405
	s_mov_b32 s29, 0xc0c0001
	;; [unrolled: 1-line block ×3, first 2 shown]
	s_movk_i32 s31, 0xff00
	s_mov_b32 s33, 0xffff0000
	s_movk_i32 s34, 0x800
	v_add_u32_e32 v53, 0x400, v1
	s_branch .LBB116_2
.LBB116_1:                              ;   in Loop: Header=BB116_2 Depth=1
	s_or_b64 exec, exec, s[22:23]
	v_cndmask_b32_e64 v56, v56, v57, s[18:19]
	v_cndmask_b32_e64 v57, v58, v59, s[20:21]
	v_cmp_ge_i32_e64 s[18:19], v62, v50
	s_waitcnt lgkmcnt(0)
	v_cmp_lt_u16_sdwa s[20:21], v64, v61 src0_sel:BYTE_0 src1_sel:BYTE_0
	v_cndmask_b32_e64 v55, v54, v55, s[16:17]
	v_cmp_gt_i32_e64 s[16:17], s34, v60
	s_or_b64 s[18:19], s[18:19], s[20:21]
	s_and_b64 s[16:17], s[16:17], s[18:19]
	v_cndmask_b32_e64 v58, v61, v64, s[16:17]
	v_lshlrev_b16_e32 v54, 8, v56
	v_lshlrev_b16_e32 v59, 8, v58
	v_or_b32_sdwa v54, v55, v54 dst_sel:DWORD dst_unused:UNUSED_PAD src0_sel:BYTE_0 src1_sel:DWORD
	v_or_b32_sdwa v59, v57, v59 dst_sel:WORD_1 dst_unused:UNUSED_PAD src0_sel:BYTE_0 src1_sel:DWORD
	s_add_i32 s24, s24, 1
	s_cmp_eq_u32 s24, 10
	v_or_b32_sdwa v54, v54, v59 dst_sel:DWORD dst_unused:UNUSED_PAD src0_sel:WORD_0 src1_sel:DWORD
	s_cbranch_scc1 .LBB116_146
.LBB116_2:                              ; =>This Loop Header: Depth=1
                                        ;     Child Loop BB116_4 Depth 2
                                        ;     Child Loop BB116_20 Depth 2
	;; [unrolled: 1-line block ×9, first 2 shown]
	v_lshrrev_b32_e32 v56, 8, v54
	v_perm_b32 v55, v54, v54, s25
	v_cmp_lt_u16_sdwa s[16:17], v56, v54 src0_sel:BYTE_0 src1_sel:BYTE_0
	v_cndmask_b32_e64 v55, v54, v55, s[16:17]
	v_lshrrev_b32_e32 v57, 16, v55
	v_perm_b32 v58, 0, v57, s29
	v_min_u16_sdwa v59, v56, v54 dst_sel:DWORD dst_unused:UNUSED_PAD src0_sel:BYTE_0 src1_sel:BYTE_0
	v_max_u16_sdwa v54, v56, v54 dst_sel:DWORD dst_unused:UNUSED_PAD src0_sel:BYTE_0 src1_sel:BYTE_0
	v_lshlrev_b32_e32 v56, 16, v58
	v_and_or_b32 v56, v55, s30, v56
	v_cmp_lt_u16_sdwa s[16:17], v55, v57 src0_sel:BYTE_3 src1_sel:BYTE_0
	v_cndmask_b32_e64 v56, v55, v56, s[16:17]
	v_max_u16_sdwa v60, v55, v57 dst_sel:DWORD dst_unused:UNUSED_PAD src0_sel:BYTE_3 src1_sel:BYTE_0
	v_min_u16_sdwa v55, v55, v57 dst_sel:DWORD dst_unused:UNUSED_PAD src0_sel:BYTE_3 src1_sel:BYTE_0
	v_and_b32_sdwa v58, v56, s31 dst_sel:DWORD dst_unused:UNUSED_PAD src0_sel:WORD_1 src1_sel:DWORD
	v_lshlrev_b16_e32 v57, 8, v55
	v_or_b32_sdwa v58, v54, v58 dst_sel:WORD_1 dst_unused:UNUSED_PAD src0_sel:DWORD src1_sel:DWORD
	v_or_b32_sdwa v57, v56, v57 dst_sel:DWORD dst_unused:UNUSED_PAD src0_sel:BYTE_0 src1_sel:DWORD
	v_or_b32_sdwa v57, v57, v58 dst_sel:DWORD dst_unused:UNUSED_PAD src0_sel:WORD_0 src1_sel:DWORD
	v_cmp_lt_u16_e64 s[16:17], v55, v54
	v_cndmask_b32_e64 v56, v56, v57, s[16:17]
	v_min_u16_e32 v57, v55, v54
	v_lshlrev_b16_e32 v58, 8, v59
	v_or_b32_e32 v58, v57, v58
	v_and_b32_e32 v58, 0xffff, v58
	v_and_or_b32 v58, v56, s33, v58
	v_max_u16_e32 v61, v55, v54
	v_cmp_lt_u16_e64 s[16:17], v55, v59
	v_cndmask_b32_e64 v55, v56, v58, s[16:17]
	v_cndmask_b32_e64 v56, v57, v59, s[16:17]
	v_lshlrev_b16_e32 v57, 8, v61
	v_or_b32_sdwa v57, v60, v57 dst_sel:WORD_1 dst_unused:UNUSED_PAD src0_sel:DWORD src1_sel:DWORD
	v_and_or_b32 v57, v55, s30, v57
	v_cmp_gt_u16_e64 s[16:17], v54, v60
	v_cndmask_b32_e64 v54, v55, v57, s[16:17]
	v_cndmask_b32_e64 v57, v61, v60, s[16:17]
	v_and_b32_sdwa v55, v54, s31 dst_sel:DWORD dst_unused:UNUSED_PAD src0_sel:WORD_1 src1_sel:DWORD
	v_lshlrev_b16_e32 v58, 8, v57
	v_or_b32_sdwa v55, v56, v55 dst_sel:WORD_1 dst_unused:UNUSED_PAD src0_sel:DWORD src1_sel:DWORD
	v_or_b32_sdwa v58, v54, v58 dst_sel:DWORD dst_unused:UNUSED_PAD src0_sel:BYTE_0 src1_sel:DWORD
	v_or_b32_sdwa v55, v58, v55 dst_sel:DWORD dst_unused:UNUSED_PAD src0_sel:WORD_0 src1_sel:DWORD
	v_cmp_lt_u16_e64 s[16:17], v57, v56
	v_cndmask_b32_e64 v54, v54, v55, s[16:17]
	s_barrier
	ds_write_b32 v1, v54
	v_mov_b32_e32 v54, v34
	s_waitcnt lgkmcnt(0)
	s_barrier
	s_and_saveexec_b64 s[18:19], vcc
	s_cbranch_execz .LBB116_6
; %bb.3:                                ;   in Loop: Header=BB116_2 Depth=1
	s_mov_b64 s[20:21], 0
	v_mov_b32_e32 v54, v34
	v_mov_b32_e32 v55, v30
.LBB116_4:                              ;   Parent Loop BB116_2 Depth=1
                                        ; =>  This Inner Loop Header: Depth=2
	v_sub_u32_e32 v56, v55, v54
	v_lshrrev_b32_e32 v56, 1, v56
	v_add_u32_e32 v56, v56, v54
	v_add_u32_e32 v57, v2, v56
	v_xad_u32 v58, v56, -1, v26
	ds_read_u8 v57, v57
	ds_read_u8 v58, v58
	v_add_u32_e32 v59, 1, v56
	s_waitcnt lgkmcnt(0)
	v_cmp_lt_u16_e64 s[16:17], v58, v57
	v_cndmask_b32_e64 v55, v55, v56, s[16:17]
	v_cndmask_b32_e64 v54, v59, v54, s[16:17]
	v_cmp_ge_i32_e64 s[16:17], v54, v55
	s_or_b64 s[20:21], s[16:17], s[20:21]
	s_andn2_b64 exec, exec, s[20:21]
	s_cbranch_execnz .LBB116_4
; %bb.5:                                ;   in Loop: Header=BB116_2 Depth=1
	s_or_b64 exec, exec, s[20:21]
.LBB116_6:                              ;   in Loop: Header=BB116_2 Depth=1
	s_or_b64 exec, exec, s[18:19]
	v_add_u32_e32 v58, v54, v2
	v_sub_u32_e32 v59, v26, v54
	ds_read_u8 v54, v58
	ds_read_u8 v55, v59
	v_cmp_le_i32_e64 s[18:19], v10, v58
	v_cmp_gt_i32_e64 s[16:17], v11, v59
                                        ; implicit-def: $vgpr56
	s_waitcnt lgkmcnt(0)
	v_cmp_lt_u16_sdwa s[20:21], v55, v54 src0_sel:BYTE_0 src1_sel:BYTE_0
	s_or_b64 s[18:19], s[18:19], s[20:21]
	s_and_b64 s[16:17], s[16:17], s[18:19]
	s_xor_b64 s[18:19], s[16:17], -1
	s_and_saveexec_b64 s[20:21], s[18:19]
	s_xor_b64 s[18:19], exec, s[20:21]
; %bb.7:                                ;   in Loop: Header=BB116_2 Depth=1
	ds_read_u8 v56, v58 offset:1
; %bb.8:                                ;   in Loop: Header=BB116_2 Depth=1
	s_or_saveexec_b64 s[18:19], s[18:19]
	v_mov_b32_e32 v57, v55
	s_xor_b64 exec, exec, s[18:19]
	s_cbranch_execz .LBB116_10
; %bb.9:                                ;   in Loop: Header=BB116_2 Depth=1
	ds_read_u8 v57, v59 offset:1
	s_waitcnt lgkmcnt(1)
	v_mov_b32_e32 v56, v54
.LBB116_10:                             ;   in Loop: Header=BB116_2 Depth=1
	s_or_b64 exec, exec, s[18:19]
	v_add_u32_e32 v61, 1, v58
	v_add_u32_e32 v60, 1, v59
	v_cndmask_b32_e64 v61, v61, v58, s[16:17]
	v_cndmask_b32_e64 v60, v59, v60, s[16:17]
	v_cmp_ge_i32_e64 s[20:21], v61, v10
	s_waitcnt lgkmcnt(0)
	v_cmp_lt_u16_sdwa s[22:23], v57, v56 src0_sel:BYTE_0 src1_sel:BYTE_0
	v_cmp_lt_i32_e64 s[18:19], v60, v11
	s_or_b64 s[20:21], s[20:21], s[22:23]
	s_and_b64 s[18:19], s[18:19], s[20:21]
	s_xor_b64 s[20:21], s[18:19], -1
                                        ; implicit-def: $vgpr58
	s_and_saveexec_b64 s[22:23], s[20:21]
	s_xor_b64 s[20:21], exec, s[22:23]
; %bb.11:                               ;   in Loop: Header=BB116_2 Depth=1
	ds_read_u8 v58, v61 offset:1
; %bb.12:                               ;   in Loop: Header=BB116_2 Depth=1
	s_or_saveexec_b64 s[20:21], s[20:21]
	v_mov_b32_e32 v59, v57
	s_xor_b64 exec, exec, s[20:21]
	s_cbranch_execz .LBB116_14
; %bb.13:                               ;   in Loop: Header=BB116_2 Depth=1
	ds_read_u8 v59, v60 offset:1
	s_waitcnt lgkmcnt(1)
	v_mov_b32_e32 v58, v56
.LBB116_14:                             ;   in Loop: Header=BB116_2 Depth=1
	s_or_b64 exec, exec, s[20:21]
	v_add_u32_e32 v63, 1, v61
	v_add_u32_e32 v62, 1, v60
	v_cndmask_b32_e64 v61, v63, v61, s[18:19]
	v_cndmask_b32_e64 v60, v60, v62, s[18:19]
	v_cmp_ge_i32_e64 s[22:23], v61, v10
	s_waitcnt lgkmcnt(0)
	v_cmp_lt_u16_sdwa s[36:37], v59, v58 src0_sel:BYTE_0 src1_sel:BYTE_0
	v_cmp_lt_i32_e64 s[20:21], v60, v11
	s_or_b64 s[22:23], s[22:23], s[36:37]
	s_and_b64 s[20:21], s[20:21], s[22:23]
	s_xor_b64 s[22:23], s[20:21], -1
                                        ; implicit-def: $vgpr62
	s_and_saveexec_b64 s[36:37], s[22:23]
	s_xor_b64 s[22:23], exec, s[36:37]
; %bb.15:                               ;   in Loop: Header=BB116_2 Depth=1
	ds_read_u8 v62, v61 offset:1
; %bb.16:                               ;   in Loop: Header=BB116_2 Depth=1
	s_or_saveexec_b64 s[22:23], s[22:23]
	v_mov_b32_e32 v63, v59
	s_xor_b64 exec, exec, s[22:23]
	s_cbranch_execz .LBB116_18
; %bb.17:                               ;   in Loop: Header=BB116_2 Depth=1
	ds_read_u8 v63, v60 offset:1
	s_waitcnt lgkmcnt(1)
	v_mov_b32_e32 v62, v58
.LBB116_18:                             ;   in Loop: Header=BB116_2 Depth=1
	s_or_b64 exec, exec, s[22:23]
	v_cndmask_b32_e64 v58, v58, v59, s[20:21]
	v_add_u32_e32 v59, 1, v60
	v_add_u32_e32 v64, 1, v61
	v_cndmask_b32_e64 v59, v60, v59, s[20:21]
	v_cndmask_b32_e64 v60, v64, v61, s[20:21]
	;; [unrolled: 1-line block ×3, first 2 shown]
	v_cmp_ge_i32_e64 s[18:19], v60, v10
	s_waitcnt lgkmcnt(0)
	v_cmp_lt_u16_sdwa s[20:21], v63, v62 src0_sel:BYTE_0 src1_sel:BYTE_0
	v_cndmask_b32_e64 v54, v54, v55, s[16:17]
	v_cmp_lt_i32_e64 s[16:17], v59, v11
	s_or_b64 s[18:19], s[18:19], s[20:21]
	s_and_b64 s[16:17], s[16:17], s[18:19]
	v_cndmask_b32_e64 v55, v62, v63, s[16:17]
	s_barrier
	ds_write_b8 v1, v54
	ds_write_b8 v1, v56 offset:1
	ds_write_b8 v1, v58 offset:2
	ds_write_b8 v1, v55 offset:3
	v_mov_b32_e32 v54, v35
	s_waitcnt lgkmcnt(0)
	s_barrier
	s_and_saveexec_b64 s[18:19], s[0:1]
	s_cbranch_execz .LBB116_22
; %bb.19:                               ;   in Loop: Header=BB116_2 Depth=1
	s_mov_b64 s[20:21], 0
	v_mov_b32_e32 v54, v35
	v_mov_b32_e32 v55, v31
.LBB116_20:                             ;   Parent Loop BB116_2 Depth=1
                                        ; =>  This Inner Loop Header: Depth=2
	v_sub_u32_e32 v56, v55, v54
	v_lshrrev_b32_e32 v56, 1, v56
	v_add_u32_e32 v56, v56, v54
	v_add_u32_e32 v57, v3, v56
	v_xad_u32 v58, v56, -1, v27
	ds_read_u8 v57, v57
	ds_read_u8 v58, v58
	v_add_u32_e32 v59, 1, v56
	s_waitcnt lgkmcnt(0)
	v_cmp_lt_u16_e64 s[16:17], v58, v57
	v_cndmask_b32_e64 v55, v55, v56, s[16:17]
	v_cndmask_b32_e64 v54, v59, v54, s[16:17]
	v_cmp_ge_i32_e64 s[16:17], v54, v55
	s_or_b64 s[20:21], s[16:17], s[20:21]
	s_andn2_b64 exec, exec, s[20:21]
	s_cbranch_execnz .LBB116_20
; %bb.21:                               ;   in Loop: Header=BB116_2 Depth=1
	s_or_b64 exec, exec, s[20:21]
.LBB116_22:                             ;   in Loop: Header=BB116_2 Depth=1
	s_or_b64 exec, exec, s[18:19]
	v_add_u32_e32 v58, v54, v3
	v_sub_u32_e32 v59, v27, v54
	ds_read_u8 v54, v58
	ds_read_u8 v55, v59
	v_cmp_le_i32_e64 s[18:19], v12, v58
	v_cmp_gt_i32_e64 s[16:17], v13, v59
                                        ; implicit-def: $vgpr56
	s_waitcnt lgkmcnt(0)
	v_cmp_lt_u16_sdwa s[20:21], v55, v54 src0_sel:BYTE_0 src1_sel:BYTE_0
	s_or_b64 s[18:19], s[18:19], s[20:21]
	s_and_b64 s[16:17], s[16:17], s[18:19]
	s_xor_b64 s[18:19], s[16:17], -1
	s_and_saveexec_b64 s[20:21], s[18:19]
	s_xor_b64 s[18:19], exec, s[20:21]
; %bb.23:                               ;   in Loop: Header=BB116_2 Depth=1
	ds_read_u8 v56, v58 offset:1
; %bb.24:                               ;   in Loop: Header=BB116_2 Depth=1
	s_or_saveexec_b64 s[18:19], s[18:19]
	v_mov_b32_e32 v57, v55
	s_xor_b64 exec, exec, s[18:19]
	s_cbranch_execz .LBB116_26
; %bb.25:                               ;   in Loop: Header=BB116_2 Depth=1
	ds_read_u8 v57, v59 offset:1
	s_waitcnt lgkmcnt(1)
	v_mov_b32_e32 v56, v54
.LBB116_26:                             ;   in Loop: Header=BB116_2 Depth=1
	s_or_b64 exec, exec, s[18:19]
	v_add_u32_e32 v61, 1, v58
	v_add_u32_e32 v60, 1, v59
	v_cndmask_b32_e64 v61, v61, v58, s[16:17]
	v_cndmask_b32_e64 v60, v59, v60, s[16:17]
	v_cmp_ge_i32_e64 s[20:21], v61, v12
	s_waitcnt lgkmcnt(0)
	v_cmp_lt_u16_sdwa s[22:23], v57, v56 src0_sel:BYTE_0 src1_sel:BYTE_0
	v_cmp_lt_i32_e64 s[18:19], v60, v13
	s_or_b64 s[20:21], s[20:21], s[22:23]
	s_and_b64 s[18:19], s[18:19], s[20:21]
	s_xor_b64 s[20:21], s[18:19], -1
                                        ; implicit-def: $vgpr58
	s_and_saveexec_b64 s[22:23], s[20:21]
	s_xor_b64 s[20:21], exec, s[22:23]
; %bb.27:                               ;   in Loop: Header=BB116_2 Depth=1
	ds_read_u8 v58, v61 offset:1
; %bb.28:                               ;   in Loop: Header=BB116_2 Depth=1
	s_or_saveexec_b64 s[20:21], s[20:21]
	v_mov_b32_e32 v59, v57
	s_xor_b64 exec, exec, s[20:21]
	s_cbranch_execz .LBB116_30
; %bb.29:                               ;   in Loop: Header=BB116_2 Depth=1
	ds_read_u8 v59, v60 offset:1
	s_waitcnt lgkmcnt(1)
	v_mov_b32_e32 v58, v56
.LBB116_30:                             ;   in Loop: Header=BB116_2 Depth=1
	s_or_b64 exec, exec, s[20:21]
	v_add_u32_e32 v63, 1, v61
	v_add_u32_e32 v62, 1, v60
	v_cndmask_b32_e64 v61, v63, v61, s[18:19]
	v_cndmask_b32_e64 v60, v60, v62, s[18:19]
	v_cmp_ge_i32_e64 s[22:23], v61, v12
	s_waitcnt lgkmcnt(0)
	v_cmp_lt_u16_sdwa s[36:37], v59, v58 src0_sel:BYTE_0 src1_sel:BYTE_0
	v_cmp_lt_i32_e64 s[20:21], v60, v13
	s_or_b64 s[22:23], s[22:23], s[36:37]
	s_and_b64 s[20:21], s[20:21], s[22:23]
	s_xor_b64 s[22:23], s[20:21], -1
                                        ; implicit-def: $vgpr62
	s_and_saveexec_b64 s[36:37], s[22:23]
	s_xor_b64 s[22:23], exec, s[36:37]
; %bb.31:                               ;   in Loop: Header=BB116_2 Depth=1
	ds_read_u8 v62, v61 offset:1
; %bb.32:                               ;   in Loop: Header=BB116_2 Depth=1
	s_or_saveexec_b64 s[22:23], s[22:23]
	v_mov_b32_e32 v63, v59
	s_xor_b64 exec, exec, s[22:23]
	s_cbranch_execz .LBB116_34
; %bb.33:                               ;   in Loop: Header=BB116_2 Depth=1
	ds_read_u8 v63, v60 offset:1
	s_waitcnt lgkmcnt(1)
	v_mov_b32_e32 v62, v58
.LBB116_34:                             ;   in Loop: Header=BB116_2 Depth=1
	s_or_b64 exec, exec, s[22:23]
	v_cndmask_b32_e64 v58, v58, v59, s[20:21]
	v_add_u32_e32 v59, 1, v60
	v_add_u32_e32 v64, 1, v61
	v_cndmask_b32_e64 v59, v60, v59, s[20:21]
	v_cndmask_b32_e64 v60, v64, v61, s[20:21]
	;; [unrolled: 1-line block ×3, first 2 shown]
	v_cmp_ge_i32_e64 s[18:19], v60, v12
	s_waitcnt lgkmcnt(0)
	v_cmp_lt_u16_sdwa s[20:21], v63, v62 src0_sel:BYTE_0 src1_sel:BYTE_0
	v_cndmask_b32_e64 v54, v54, v55, s[16:17]
	v_cmp_lt_i32_e64 s[16:17], v59, v13
	s_or_b64 s[18:19], s[18:19], s[20:21]
	s_and_b64 s[16:17], s[16:17], s[18:19]
	v_cndmask_b32_e64 v55, v62, v63, s[16:17]
	s_barrier
	ds_write_b8 v1, v54
	ds_write_b8 v1, v56 offset:1
	ds_write_b8 v1, v58 offset:2
	;; [unrolled: 1-line block ×3, first 2 shown]
	v_mov_b32_e32 v54, v36
	s_waitcnt lgkmcnt(0)
	s_barrier
	s_and_saveexec_b64 s[18:19], s[2:3]
	s_cbranch_execz .LBB116_38
; %bb.35:                               ;   in Loop: Header=BB116_2 Depth=1
	s_mov_b64 s[20:21], 0
	v_mov_b32_e32 v54, v36
	v_mov_b32_e32 v55, v32
.LBB116_36:                             ;   Parent Loop BB116_2 Depth=1
                                        ; =>  This Inner Loop Header: Depth=2
	v_sub_u32_e32 v56, v55, v54
	v_lshrrev_b32_e32 v56, 1, v56
	v_add_u32_e32 v56, v56, v54
	v_add_u32_e32 v57, v4, v56
	v_xad_u32 v58, v56, -1, v28
	ds_read_u8 v57, v57
	ds_read_u8 v58, v58
	v_add_u32_e32 v59, 1, v56
	s_waitcnt lgkmcnt(0)
	v_cmp_lt_u16_e64 s[16:17], v58, v57
	v_cndmask_b32_e64 v55, v55, v56, s[16:17]
	v_cndmask_b32_e64 v54, v59, v54, s[16:17]
	v_cmp_ge_i32_e64 s[16:17], v54, v55
	s_or_b64 s[20:21], s[16:17], s[20:21]
	s_andn2_b64 exec, exec, s[20:21]
	s_cbranch_execnz .LBB116_36
; %bb.37:                               ;   in Loop: Header=BB116_2 Depth=1
	s_or_b64 exec, exec, s[20:21]
.LBB116_38:                             ;   in Loop: Header=BB116_2 Depth=1
	s_or_b64 exec, exec, s[18:19]
	v_add_u32_e32 v58, v54, v4
	v_sub_u32_e32 v59, v28, v54
	ds_read_u8 v54, v58
	ds_read_u8 v55, v59
	v_cmp_le_i32_e64 s[18:19], v14, v58
	v_cmp_gt_i32_e64 s[16:17], v15, v59
                                        ; implicit-def: $vgpr56
	s_waitcnt lgkmcnt(0)
	v_cmp_lt_u16_sdwa s[20:21], v55, v54 src0_sel:BYTE_0 src1_sel:BYTE_0
	s_or_b64 s[18:19], s[18:19], s[20:21]
	s_and_b64 s[16:17], s[16:17], s[18:19]
	s_xor_b64 s[18:19], s[16:17], -1
	s_and_saveexec_b64 s[20:21], s[18:19]
	s_xor_b64 s[18:19], exec, s[20:21]
; %bb.39:                               ;   in Loop: Header=BB116_2 Depth=1
	ds_read_u8 v56, v58 offset:1
; %bb.40:                               ;   in Loop: Header=BB116_2 Depth=1
	s_or_saveexec_b64 s[18:19], s[18:19]
	v_mov_b32_e32 v57, v55
	s_xor_b64 exec, exec, s[18:19]
	s_cbranch_execz .LBB116_42
; %bb.41:                               ;   in Loop: Header=BB116_2 Depth=1
	ds_read_u8 v57, v59 offset:1
	s_waitcnt lgkmcnt(1)
	v_mov_b32_e32 v56, v54
.LBB116_42:                             ;   in Loop: Header=BB116_2 Depth=1
	s_or_b64 exec, exec, s[18:19]
	v_add_u32_e32 v61, 1, v58
	v_add_u32_e32 v60, 1, v59
	v_cndmask_b32_e64 v61, v61, v58, s[16:17]
	v_cndmask_b32_e64 v60, v59, v60, s[16:17]
	v_cmp_ge_i32_e64 s[20:21], v61, v14
	s_waitcnt lgkmcnt(0)
	v_cmp_lt_u16_sdwa s[22:23], v57, v56 src0_sel:BYTE_0 src1_sel:BYTE_0
	v_cmp_lt_i32_e64 s[18:19], v60, v15
	s_or_b64 s[20:21], s[20:21], s[22:23]
	s_and_b64 s[18:19], s[18:19], s[20:21]
	s_xor_b64 s[20:21], s[18:19], -1
                                        ; implicit-def: $vgpr58
	s_and_saveexec_b64 s[22:23], s[20:21]
	s_xor_b64 s[20:21], exec, s[22:23]
; %bb.43:                               ;   in Loop: Header=BB116_2 Depth=1
	ds_read_u8 v58, v61 offset:1
; %bb.44:                               ;   in Loop: Header=BB116_2 Depth=1
	s_or_saveexec_b64 s[20:21], s[20:21]
	v_mov_b32_e32 v59, v57
	s_xor_b64 exec, exec, s[20:21]
	s_cbranch_execz .LBB116_46
; %bb.45:                               ;   in Loop: Header=BB116_2 Depth=1
	ds_read_u8 v59, v60 offset:1
	s_waitcnt lgkmcnt(1)
	v_mov_b32_e32 v58, v56
.LBB116_46:                             ;   in Loop: Header=BB116_2 Depth=1
	s_or_b64 exec, exec, s[20:21]
	v_add_u32_e32 v63, 1, v61
	v_add_u32_e32 v62, 1, v60
	v_cndmask_b32_e64 v61, v63, v61, s[18:19]
	v_cndmask_b32_e64 v60, v60, v62, s[18:19]
	v_cmp_ge_i32_e64 s[22:23], v61, v14
	s_waitcnt lgkmcnt(0)
	v_cmp_lt_u16_sdwa s[36:37], v59, v58 src0_sel:BYTE_0 src1_sel:BYTE_0
	v_cmp_lt_i32_e64 s[20:21], v60, v15
	s_or_b64 s[22:23], s[22:23], s[36:37]
	s_and_b64 s[20:21], s[20:21], s[22:23]
	s_xor_b64 s[22:23], s[20:21], -1
                                        ; implicit-def: $vgpr62
	s_and_saveexec_b64 s[36:37], s[22:23]
	s_xor_b64 s[22:23], exec, s[36:37]
; %bb.47:                               ;   in Loop: Header=BB116_2 Depth=1
	ds_read_u8 v62, v61 offset:1
; %bb.48:                               ;   in Loop: Header=BB116_2 Depth=1
	s_or_saveexec_b64 s[22:23], s[22:23]
	v_mov_b32_e32 v63, v59
	s_xor_b64 exec, exec, s[22:23]
	s_cbranch_execz .LBB116_50
; %bb.49:                               ;   in Loop: Header=BB116_2 Depth=1
	ds_read_u8 v63, v60 offset:1
	s_waitcnt lgkmcnt(1)
	v_mov_b32_e32 v62, v58
.LBB116_50:                             ;   in Loop: Header=BB116_2 Depth=1
	s_or_b64 exec, exec, s[22:23]
	v_cndmask_b32_e64 v58, v58, v59, s[20:21]
	v_add_u32_e32 v59, 1, v60
	v_add_u32_e32 v64, 1, v61
	v_cndmask_b32_e64 v59, v60, v59, s[20:21]
	v_cndmask_b32_e64 v60, v64, v61, s[20:21]
	;; [unrolled: 1-line block ×3, first 2 shown]
	v_cmp_ge_i32_e64 s[18:19], v60, v14
	s_waitcnt lgkmcnt(0)
	v_cmp_lt_u16_sdwa s[20:21], v63, v62 src0_sel:BYTE_0 src1_sel:BYTE_0
	v_cndmask_b32_e64 v54, v54, v55, s[16:17]
	v_cmp_lt_i32_e64 s[16:17], v59, v15
	s_or_b64 s[18:19], s[18:19], s[20:21]
	s_and_b64 s[16:17], s[16:17], s[18:19]
	v_cndmask_b32_e64 v55, v62, v63, s[16:17]
	s_barrier
	ds_write_b8 v1, v54
	ds_write_b8 v1, v56 offset:1
	ds_write_b8 v1, v58 offset:2
	;; [unrolled: 1-line block ×3, first 2 shown]
	v_mov_b32_e32 v54, v37
	s_waitcnt lgkmcnt(0)
	s_barrier
	s_and_saveexec_b64 s[18:19], s[4:5]
	s_cbranch_execz .LBB116_54
; %bb.51:                               ;   in Loop: Header=BB116_2 Depth=1
	s_mov_b64 s[20:21], 0
	v_mov_b32_e32 v54, v37
	v_mov_b32_e32 v55, v33
.LBB116_52:                             ;   Parent Loop BB116_2 Depth=1
                                        ; =>  This Inner Loop Header: Depth=2
	v_sub_u32_e32 v56, v55, v54
	v_lshrrev_b32_e32 v56, 1, v56
	v_add_u32_e32 v56, v56, v54
	v_add_u32_e32 v57, v5, v56
	v_xad_u32 v58, v56, -1, v29
	ds_read_u8 v57, v57
	ds_read_u8 v58, v58
	v_add_u32_e32 v59, 1, v56
	s_waitcnt lgkmcnt(0)
	v_cmp_lt_u16_e64 s[16:17], v58, v57
	v_cndmask_b32_e64 v55, v55, v56, s[16:17]
	v_cndmask_b32_e64 v54, v59, v54, s[16:17]
	v_cmp_ge_i32_e64 s[16:17], v54, v55
	s_or_b64 s[20:21], s[16:17], s[20:21]
	s_andn2_b64 exec, exec, s[20:21]
	s_cbranch_execnz .LBB116_52
; %bb.53:                               ;   in Loop: Header=BB116_2 Depth=1
	s_or_b64 exec, exec, s[20:21]
.LBB116_54:                             ;   in Loop: Header=BB116_2 Depth=1
	s_or_b64 exec, exec, s[18:19]
	v_add_u32_e32 v58, v54, v5
	v_sub_u32_e32 v59, v29, v54
	ds_read_u8 v54, v58
	ds_read_u8 v55, v59
	v_cmp_le_i32_e64 s[18:19], v16, v58
	v_cmp_gt_i32_e64 s[16:17], v17, v59
                                        ; implicit-def: $vgpr56
	s_waitcnt lgkmcnt(0)
	v_cmp_lt_u16_sdwa s[20:21], v55, v54 src0_sel:BYTE_0 src1_sel:BYTE_0
	s_or_b64 s[18:19], s[18:19], s[20:21]
	s_and_b64 s[16:17], s[16:17], s[18:19]
	s_xor_b64 s[18:19], s[16:17], -1
	s_and_saveexec_b64 s[20:21], s[18:19]
	s_xor_b64 s[18:19], exec, s[20:21]
; %bb.55:                               ;   in Loop: Header=BB116_2 Depth=1
	ds_read_u8 v56, v58 offset:1
; %bb.56:                               ;   in Loop: Header=BB116_2 Depth=1
	s_or_saveexec_b64 s[18:19], s[18:19]
	v_mov_b32_e32 v57, v55
	s_xor_b64 exec, exec, s[18:19]
	s_cbranch_execz .LBB116_58
; %bb.57:                               ;   in Loop: Header=BB116_2 Depth=1
	ds_read_u8 v57, v59 offset:1
	s_waitcnt lgkmcnt(1)
	v_mov_b32_e32 v56, v54
.LBB116_58:                             ;   in Loop: Header=BB116_2 Depth=1
	s_or_b64 exec, exec, s[18:19]
	v_add_u32_e32 v61, 1, v58
	v_add_u32_e32 v60, 1, v59
	v_cndmask_b32_e64 v61, v61, v58, s[16:17]
	v_cndmask_b32_e64 v60, v59, v60, s[16:17]
	v_cmp_ge_i32_e64 s[20:21], v61, v16
	s_waitcnt lgkmcnt(0)
	v_cmp_lt_u16_sdwa s[22:23], v57, v56 src0_sel:BYTE_0 src1_sel:BYTE_0
	v_cmp_lt_i32_e64 s[18:19], v60, v17
	s_or_b64 s[20:21], s[20:21], s[22:23]
	s_and_b64 s[18:19], s[18:19], s[20:21]
	s_xor_b64 s[20:21], s[18:19], -1
                                        ; implicit-def: $vgpr58
	s_and_saveexec_b64 s[22:23], s[20:21]
	s_xor_b64 s[20:21], exec, s[22:23]
; %bb.59:                               ;   in Loop: Header=BB116_2 Depth=1
	ds_read_u8 v58, v61 offset:1
; %bb.60:                               ;   in Loop: Header=BB116_2 Depth=1
	s_or_saveexec_b64 s[20:21], s[20:21]
	v_mov_b32_e32 v59, v57
	s_xor_b64 exec, exec, s[20:21]
	s_cbranch_execz .LBB116_62
; %bb.61:                               ;   in Loop: Header=BB116_2 Depth=1
	ds_read_u8 v59, v60 offset:1
	s_waitcnt lgkmcnt(1)
	v_mov_b32_e32 v58, v56
.LBB116_62:                             ;   in Loop: Header=BB116_2 Depth=1
	s_or_b64 exec, exec, s[20:21]
	v_add_u32_e32 v63, 1, v61
	v_add_u32_e32 v62, 1, v60
	v_cndmask_b32_e64 v61, v63, v61, s[18:19]
	v_cndmask_b32_e64 v60, v60, v62, s[18:19]
	v_cmp_ge_i32_e64 s[22:23], v61, v16
	s_waitcnt lgkmcnt(0)
	v_cmp_lt_u16_sdwa s[36:37], v59, v58 src0_sel:BYTE_0 src1_sel:BYTE_0
	v_cmp_lt_i32_e64 s[20:21], v60, v17
	s_or_b64 s[22:23], s[22:23], s[36:37]
	s_and_b64 s[20:21], s[20:21], s[22:23]
	s_xor_b64 s[22:23], s[20:21], -1
                                        ; implicit-def: $vgpr62
	s_and_saveexec_b64 s[36:37], s[22:23]
	s_xor_b64 s[22:23], exec, s[36:37]
; %bb.63:                               ;   in Loop: Header=BB116_2 Depth=1
	ds_read_u8 v62, v61 offset:1
; %bb.64:                               ;   in Loop: Header=BB116_2 Depth=1
	s_or_saveexec_b64 s[22:23], s[22:23]
	v_mov_b32_e32 v63, v59
	s_xor_b64 exec, exec, s[22:23]
	s_cbranch_execz .LBB116_66
; %bb.65:                               ;   in Loop: Header=BB116_2 Depth=1
	ds_read_u8 v63, v60 offset:1
	s_waitcnt lgkmcnt(1)
	v_mov_b32_e32 v62, v58
.LBB116_66:                             ;   in Loop: Header=BB116_2 Depth=1
	s_or_b64 exec, exec, s[22:23]
	v_cndmask_b32_e64 v58, v58, v59, s[20:21]
	v_add_u32_e32 v59, 1, v60
	v_add_u32_e32 v64, 1, v61
	v_cndmask_b32_e64 v59, v60, v59, s[20:21]
	v_cndmask_b32_e64 v60, v64, v61, s[20:21]
	;; [unrolled: 1-line block ×3, first 2 shown]
	v_cmp_ge_i32_e64 s[18:19], v60, v16
	s_waitcnt lgkmcnt(0)
	v_cmp_lt_u16_sdwa s[20:21], v63, v62 src0_sel:BYTE_0 src1_sel:BYTE_0
	v_cndmask_b32_e64 v54, v54, v55, s[16:17]
	v_cmp_lt_i32_e64 s[16:17], v59, v17
	s_or_b64 s[18:19], s[18:19], s[20:21]
	s_and_b64 s[16:17], s[16:17], s[18:19]
	v_cndmask_b32_e64 v55, v62, v63, s[16:17]
	s_barrier
	ds_write_b8 v1, v54
	ds_write_b8 v1, v56 offset:1
	ds_write_b8 v1, v58 offset:2
	;; [unrolled: 1-line block ×3, first 2 shown]
	v_mov_b32_e32 v54, v38
	s_waitcnt lgkmcnt(0)
	s_barrier
	s_and_saveexec_b64 s[18:19], s[6:7]
	s_cbranch_execz .LBB116_70
; %bb.67:                               ;   in Loop: Header=BB116_2 Depth=1
	s_mov_b64 s[20:21], 0
	v_mov_b32_e32 v54, v38
	v_mov_b32_e32 v55, v39
.LBB116_68:                             ;   Parent Loop BB116_2 Depth=1
                                        ; =>  This Inner Loop Header: Depth=2
	v_sub_u32_e32 v56, v55, v54
	v_lshrrev_b32_e32 v56, 1, v56
	v_add_u32_e32 v56, v56, v54
	v_add_u32_e32 v57, v6, v56
	v_xad_u32 v58, v56, -1, v40
	ds_read_u8 v57, v57
	ds_read_u8 v58, v58
	v_add_u32_e32 v59, 1, v56
	s_waitcnt lgkmcnt(0)
	v_cmp_lt_u16_e64 s[16:17], v58, v57
	v_cndmask_b32_e64 v55, v55, v56, s[16:17]
	v_cndmask_b32_e64 v54, v59, v54, s[16:17]
	v_cmp_ge_i32_e64 s[16:17], v54, v55
	s_or_b64 s[20:21], s[16:17], s[20:21]
	s_andn2_b64 exec, exec, s[20:21]
	s_cbranch_execnz .LBB116_68
; %bb.69:                               ;   in Loop: Header=BB116_2 Depth=1
	s_or_b64 exec, exec, s[20:21]
.LBB116_70:                             ;   in Loop: Header=BB116_2 Depth=1
	s_or_b64 exec, exec, s[18:19]
	v_add_u32_e32 v58, v54, v6
	v_sub_u32_e32 v59, v40, v54
	ds_read_u8 v54, v58
	ds_read_u8 v55, v59
	v_cmp_le_i32_e64 s[18:19], v18, v58
	v_cmp_gt_i32_e64 s[16:17], v19, v59
                                        ; implicit-def: $vgpr56
	s_waitcnt lgkmcnt(0)
	v_cmp_lt_u16_sdwa s[20:21], v55, v54 src0_sel:BYTE_0 src1_sel:BYTE_0
	s_or_b64 s[18:19], s[18:19], s[20:21]
	s_and_b64 s[16:17], s[16:17], s[18:19]
	s_xor_b64 s[18:19], s[16:17], -1
	s_and_saveexec_b64 s[20:21], s[18:19]
	s_xor_b64 s[18:19], exec, s[20:21]
; %bb.71:                               ;   in Loop: Header=BB116_2 Depth=1
	ds_read_u8 v56, v58 offset:1
; %bb.72:                               ;   in Loop: Header=BB116_2 Depth=1
	s_or_saveexec_b64 s[18:19], s[18:19]
	v_mov_b32_e32 v57, v55
	s_xor_b64 exec, exec, s[18:19]
	s_cbranch_execz .LBB116_74
; %bb.73:                               ;   in Loop: Header=BB116_2 Depth=1
	ds_read_u8 v57, v59 offset:1
	s_waitcnt lgkmcnt(1)
	v_mov_b32_e32 v56, v54
.LBB116_74:                             ;   in Loop: Header=BB116_2 Depth=1
	s_or_b64 exec, exec, s[18:19]
	v_add_u32_e32 v61, 1, v58
	v_add_u32_e32 v60, 1, v59
	v_cndmask_b32_e64 v61, v61, v58, s[16:17]
	v_cndmask_b32_e64 v60, v59, v60, s[16:17]
	v_cmp_ge_i32_e64 s[20:21], v61, v18
	s_waitcnt lgkmcnt(0)
	v_cmp_lt_u16_sdwa s[22:23], v57, v56 src0_sel:BYTE_0 src1_sel:BYTE_0
	v_cmp_lt_i32_e64 s[18:19], v60, v19
	s_or_b64 s[20:21], s[20:21], s[22:23]
	s_and_b64 s[18:19], s[18:19], s[20:21]
	s_xor_b64 s[20:21], s[18:19], -1
                                        ; implicit-def: $vgpr58
	s_and_saveexec_b64 s[22:23], s[20:21]
	s_xor_b64 s[20:21], exec, s[22:23]
; %bb.75:                               ;   in Loop: Header=BB116_2 Depth=1
	ds_read_u8 v58, v61 offset:1
; %bb.76:                               ;   in Loop: Header=BB116_2 Depth=1
	s_or_saveexec_b64 s[20:21], s[20:21]
	v_mov_b32_e32 v59, v57
	s_xor_b64 exec, exec, s[20:21]
	s_cbranch_execz .LBB116_78
; %bb.77:                               ;   in Loop: Header=BB116_2 Depth=1
	ds_read_u8 v59, v60 offset:1
	s_waitcnt lgkmcnt(1)
	v_mov_b32_e32 v58, v56
.LBB116_78:                             ;   in Loop: Header=BB116_2 Depth=1
	s_or_b64 exec, exec, s[20:21]
	v_add_u32_e32 v63, 1, v61
	v_add_u32_e32 v62, 1, v60
	v_cndmask_b32_e64 v61, v63, v61, s[18:19]
	v_cndmask_b32_e64 v60, v60, v62, s[18:19]
	v_cmp_ge_i32_e64 s[22:23], v61, v18
	s_waitcnt lgkmcnt(0)
	v_cmp_lt_u16_sdwa s[36:37], v59, v58 src0_sel:BYTE_0 src1_sel:BYTE_0
	v_cmp_lt_i32_e64 s[20:21], v60, v19
	s_or_b64 s[22:23], s[22:23], s[36:37]
	s_and_b64 s[20:21], s[20:21], s[22:23]
	s_xor_b64 s[22:23], s[20:21], -1
                                        ; implicit-def: $vgpr62
	s_and_saveexec_b64 s[36:37], s[22:23]
	s_xor_b64 s[22:23], exec, s[36:37]
; %bb.79:                               ;   in Loop: Header=BB116_2 Depth=1
	ds_read_u8 v62, v61 offset:1
; %bb.80:                               ;   in Loop: Header=BB116_2 Depth=1
	s_or_saveexec_b64 s[22:23], s[22:23]
	v_mov_b32_e32 v63, v59
	s_xor_b64 exec, exec, s[22:23]
	s_cbranch_execz .LBB116_82
; %bb.81:                               ;   in Loop: Header=BB116_2 Depth=1
	ds_read_u8 v63, v60 offset:1
	s_waitcnt lgkmcnt(1)
	v_mov_b32_e32 v62, v58
.LBB116_82:                             ;   in Loop: Header=BB116_2 Depth=1
	s_or_b64 exec, exec, s[22:23]
	v_cndmask_b32_e64 v58, v58, v59, s[20:21]
	v_add_u32_e32 v59, 1, v60
	v_add_u32_e32 v64, 1, v61
	v_cndmask_b32_e64 v59, v60, v59, s[20:21]
	v_cndmask_b32_e64 v60, v64, v61, s[20:21]
	;; [unrolled: 1-line block ×3, first 2 shown]
	v_cmp_ge_i32_e64 s[18:19], v60, v18
	s_waitcnt lgkmcnt(0)
	v_cmp_lt_u16_sdwa s[20:21], v63, v62 src0_sel:BYTE_0 src1_sel:BYTE_0
	v_cndmask_b32_e64 v54, v54, v55, s[16:17]
	v_cmp_lt_i32_e64 s[16:17], v59, v19
	s_or_b64 s[18:19], s[18:19], s[20:21]
	s_and_b64 s[16:17], s[16:17], s[18:19]
	v_cndmask_b32_e64 v55, v62, v63, s[16:17]
	s_barrier
	ds_write_b8 v1, v54
	ds_write_b8 v1, v56 offset:1
	ds_write_b8 v1, v58 offset:2
	;; [unrolled: 1-line block ×3, first 2 shown]
	v_mov_b32_e32 v54, v41
	s_waitcnt lgkmcnt(0)
	s_barrier
	s_and_saveexec_b64 s[18:19], s[8:9]
	s_cbranch_execz .LBB116_86
; %bb.83:                               ;   in Loop: Header=BB116_2 Depth=1
	s_mov_b64 s[20:21], 0
	v_mov_b32_e32 v54, v41
	v_mov_b32_e32 v55, v42
.LBB116_84:                             ;   Parent Loop BB116_2 Depth=1
                                        ; =>  This Inner Loop Header: Depth=2
	v_sub_u32_e32 v56, v55, v54
	v_lshrrev_b32_e32 v56, 1, v56
	v_add_u32_e32 v56, v56, v54
	v_add_u32_e32 v57, v7, v56
	v_xad_u32 v58, v56, -1, v43
	ds_read_u8 v57, v57
	ds_read_u8 v58, v58
	v_add_u32_e32 v59, 1, v56
	s_waitcnt lgkmcnt(0)
	v_cmp_lt_u16_e64 s[16:17], v58, v57
	v_cndmask_b32_e64 v55, v55, v56, s[16:17]
	v_cndmask_b32_e64 v54, v59, v54, s[16:17]
	v_cmp_ge_i32_e64 s[16:17], v54, v55
	s_or_b64 s[20:21], s[16:17], s[20:21]
	s_andn2_b64 exec, exec, s[20:21]
	s_cbranch_execnz .LBB116_84
; %bb.85:                               ;   in Loop: Header=BB116_2 Depth=1
	s_or_b64 exec, exec, s[20:21]
.LBB116_86:                             ;   in Loop: Header=BB116_2 Depth=1
	s_or_b64 exec, exec, s[18:19]
	v_add_u32_e32 v58, v54, v7
	v_sub_u32_e32 v59, v43, v54
	ds_read_u8 v54, v58
	ds_read_u8 v55, v59
	v_cmp_le_i32_e64 s[18:19], v20, v58
	v_cmp_gt_i32_e64 s[16:17], v21, v59
                                        ; implicit-def: $vgpr56
	s_waitcnt lgkmcnt(0)
	v_cmp_lt_u16_sdwa s[20:21], v55, v54 src0_sel:BYTE_0 src1_sel:BYTE_0
	s_or_b64 s[18:19], s[18:19], s[20:21]
	s_and_b64 s[16:17], s[16:17], s[18:19]
	s_xor_b64 s[18:19], s[16:17], -1
	s_and_saveexec_b64 s[20:21], s[18:19]
	s_xor_b64 s[18:19], exec, s[20:21]
; %bb.87:                               ;   in Loop: Header=BB116_2 Depth=1
	ds_read_u8 v56, v58 offset:1
; %bb.88:                               ;   in Loop: Header=BB116_2 Depth=1
	s_or_saveexec_b64 s[18:19], s[18:19]
	v_mov_b32_e32 v57, v55
	s_xor_b64 exec, exec, s[18:19]
	s_cbranch_execz .LBB116_90
; %bb.89:                               ;   in Loop: Header=BB116_2 Depth=1
	ds_read_u8 v57, v59 offset:1
	s_waitcnt lgkmcnt(1)
	v_mov_b32_e32 v56, v54
.LBB116_90:                             ;   in Loop: Header=BB116_2 Depth=1
	s_or_b64 exec, exec, s[18:19]
	v_add_u32_e32 v61, 1, v58
	v_add_u32_e32 v60, 1, v59
	v_cndmask_b32_e64 v61, v61, v58, s[16:17]
	v_cndmask_b32_e64 v60, v59, v60, s[16:17]
	v_cmp_ge_i32_e64 s[20:21], v61, v20
	s_waitcnt lgkmcnt(0)
	v_cmp_lt_u16_sdwa s[22:23], v57, v56 src0_sel:BYTE_0 src1_sel:BYTE_0
	v_cmp_lt_i32_e64 s[18:19], v60, v21
	s_or_b64 s[20:21], s[20:21], s[22:23]
	s_and_b64 s[18:19], s[18:19], s[20:21]
	s_xor_b64 s[20:21], s[18:19], -1
                                        ; implicit-def: $vgpr58
	s_and_saveexec_b64 s[22:23], s[20:21]
	s_xor_b64 s[20:21], exec, s[22:23]
; %bb.91:                               ;   in Loop: Header=BB116_2 Depth=1
	ds_read_u8 v58, v61 offset:1
; %bb.92:                               ;   in Loop: Header=BB116_2 Depth=1
	s_or_saveexec_b64 s[20:21], s[20:21]
	v_mov_b32_e32 v59, v57
	s_xor_b64 exec, exec, s[20:21]
	s_cbranch_execz .LBB116_94
; %bb.93:                               ;   in Loop: Header=BB116_2 Depth=1
	ds_read_u8 v59, v60 offset:1
	s_waitcnt lgkmcnt(1)
	v_mov_b32_e32 v58, v56
.LBB116_94:                             ;   in Loop: Header=BB116_2 Depth=1
	s_or_b64 exec, exec, s[20:21]
	v_add_u32_e32 v63, 1, v61
	v_add_u32_e32 v62, 1, v60
	v_cndmask_b32_e64 v61, v63, v61, s[18:19]
	v_cndmask_b32_e64 v60, v60, v62, s[18:19]
	v_cmp_ge_i32_e64 s[22:23], v61, v20
	s_waitcnt lgkmcnt(0)
	v_cmp_lt_u16_sdwa s[36:37], v59, v58 src0_sel:BYTE_0 src1_sel:BYTE_0
	v_cmp_lt_i32_e64 s[20:21], v60, v21
	s_or_b64 s[22:23], s[22:23], s[36:37]
	s_and_b64 s[20:21], s[20:21], s[22:23]
	s_xor_b64 s[22:23], s[20:21], -1
                                        ; implicit-def: $vgpr62
	s_and_saveexec_b64 s[36:37], s[22:23]
	s_xor_b64 s[22:23], exec, s[36:37]
; %bb.95:                               ;   in Loop: Header=BB116_2 Depth=1
	ds_read_u8 v62, v61 offset:1
; %bb.96:                               ;   in Loop: Header=BB116_2 Depth=1
	s_or_saveexec_b64 s[22:23], s[22:23]
	v_mov_b32_e32 v63, v59
	s_xor_b64 exec, exec, s[22:23]
	s_cbranch_execz .LBB116_98
; %bb.97:                               ;   in Loop: Header=BB116_2 Depth=1
	ds_read_u8 v63, v60 offset:1
	s_waitcnt lgkmcnt(1)
	v_mov_b32_e32 v62, v58
.LBB116_98:                             ;   in Loop: Header=BB116_2 Depth=1
	s_or_b64 exec, exec, s[22:23]
	v_cndmask_b32_e64 v58, v58, v59, s[20:21]
	v_add_u32_e32 v59, 1, v60
	v_add_u32_e32 v64, 1, v61
	v_cndmask_b32_e64 v59, v60, v59, s[20:21]
	v_cndmask_b32_e64 v60, v64, v61, s[20:21]
	;; [unrolled: 1-line block ×3, first 2 shown]
	v_cmp_ge_i32_e64 s[18:19], v60, v20
	s_waitcnt lgkmcnt(0)
	v_cmp_lt_u16_sdwa s[20:21], v63, v62 src0_sel:BYTE_0 src1_sel:BYTE_0
	v_cndmask_b32_e64 v54, v54, v55, s[16:17]
	v_cmp_lt_i32_e64 s[16:17], v59, v21
	s_or_b64 s[18:19], s[18:19], s[20:21]
	s_and_b64 s[16:17], s[16:17], s[18:19]
	v_cndmask_b32_e64 v55, v62, v63, s[16:17]
	s_barrier
	ds_write_b8 v1, v54
	ds_write_b8 v1, v56 offset:1
	ds_write_b8 v1, v58 offset:2
	;; [unrolled: 1-line block ×3, first 2 shown]
	v_mov_b32_e32 v54, v44
	s_waitcnt lgkmcnt(0)
	s_barrier
	s_and_saveexec_b64 s[18:19], s[10:11]
	s_cbranch_execz .LBB116_102
; %bb.99:                               ;   in Loop: Header=BB116_2 Depth=1
	s_mov_b64 s[20:21], 0
	v_mov_b32_e32 v54, v44
	v_mov_b32_e32 v55, v45
.LBB116_100:                            ;   Parent Loop BB116_2 Depth=1
                                        ; =>  This Inner Loop Header: Depth=2
	v_sub_u32_e32 v56, v55, v54
	v_lshrrev_b32_e32 v56, 1, v56
	v_add_u32_e32 v56, v56, v54
	v_add_u32_e32 v57, v8, v56
	v_xad_u32 v58, v56, -1, v46
	ds_read_u8 v57, v57
	ds_read_u8 v58, v58
	v_add_u32_e32 v59, 1, v56
	s_waitcnt lgkmcnt(0)
	v_cmp_lt_u16_e64 s[16:17], v58, v57
	v_cndmask_b32_e64 v55, v55, v56, s[16:17]
	v_cndmask_b32_e64 v54, v59, v54, s[16:17]
	v_cmp_ge_i32_e64 s[16:17], v54, v55
	s_or_b64 s[20:21], s[16:17], s[20:21]
	s_andn2_b64 exec, exec, s[20:21]
	s_cbranch_execnz .LBB116_100
; %bb.101:                              ;   in Loop: Header=BB116_2 Depth=1
	s_or_b64 exec, exec, s[20:21]
.LBB116_102:                            ;   in Loop: Header=BB116_2 Depth=1
	s_or_b64 exec, exec, s[18:19]
	v_add_u32_e32 v58, v54, v8
	v_sub_u32_e32 v59, v46, v54
	ds_read_u8 v54, v58
	ds_read_u8 v55, v59
	v_cmp_le_i32_e64 s[18:19], v22, v58
	v_cmp_gt_i32_e64 s[16:17], v23, v59
                                        ; implicit-def: $vgpr56
	s_waitcnt lgkmcnt(0)
	v_cmp_lt_u16_sdwa s[20:21], v55, v54 src0_sel:BYTE_0 src1_sel:BYTE_0
	s_or_b64 s[18:19], s[18:19], s[20:21]
	s_and_b64 s[16:17], s[16:17], s[18:19]
	s_xor_b64 s[18:19], s[16:17], -1
	s_and_saveexec_b64 s[20:21], s[18:19]
	s_xor_b64 s[18:19], exec, s[20:21]
; %bb.103:                              ;   in Loop: Header=BB116_2 Depth=1
	ds_read_u8 v56, v58 offset:1
; %bb.104:                              ;   in Loop: Header=BB116_2 Depth=1
	s_or_saveexec_b64 s[18:19], s[18:19]
	v_mov_b32_e32 v57, v55
	s_xor_b64 exec, exec, s[18:19]
	s_cbranch_execz .LBB116_106
; %bb.105:                              ;   in Loop: Header=BB116_2 Depth=1
	ds_read_u8 v57, v59 offset:1
	s_waitcnt lgkmcnt(1)
	v_mov_b32_e32 v56, v54
.LBB116_106:                            ;   in Loop: Header=BB116_2 Depth=1
	s_or_b64 exec, exec, s[18:19]
	v_add_u32_e32 v61, 1, v58
	v_add_u32_e32 v60, 1, v59
	v_cndmask_b32_e64 v61, v61, v58, s[16:17]
	v_cndmask_b32_e64 v60, v59, v60, s[16:17]
	v_cmp_ge_i32_e64 s[20:21], v61, v22
	s_waitcnt lgkmcnt(0)
	v_cmp_lt_u16_sdwa s[22:23], v57, v56 src0_sel:BYTE_0 src1_sel:BYTE_0
	v_cmp_lt_i32_e64 s[18:19], v60, v23
	s_or_b64 s[20:21], s[20:21], s[22:23]
	s_and_b64 s[18:19], s[18:19], s[20:21]
	s_xor_b64 s[20:21], s[18:19], -1
                                        ; implicit-def: $vgpr58
	s_and_saveexec_b64 s[22:23], s[20:21]
	s_xor_b64 s[20:21], exec, s[22:23]
; %bb.107:                              ;   in Loop: Header=BB116_2 Depth=1
	ds_read_u8 v58, v61 offset:1
; %bb.108:                              ;   in Loop: Header=BB116_2 Depth=1
	s_or_saveexec_b64 s[20:21], s[20:21]
	v_mov_b32_e32 v59, v57
	s_xor_b64 exec, exec, s[20:21]
	s_cbranch_execz .LBB116_110
; %bb.109:                              ;   in Loop: Header=BB116_2 Depth=1
	ds_read_u8 v59, v60 offset:1
	s_waitcnt lgkmcnt(1)
	v_mov_b32_e32 v58, v56
.LBB116_110:                            ;   in Loop: Header=BB116_2 Depth=1
	s_or_b64 exec, exec, s[20:21]
	v_add_u32_e32 v63, 1, v61
	v_add_u32_e32 v62, 1, v60
	v_cndmask_b32_e64 v61, v63, v61, s[18:19]
	v_cndmask_b32_e64 v60, v60, v62, s[18:19]
	v_cmp_ge_i32_e64 s[22:23], v61, v22
	s_waitcnt lgkmcnt(0)
	v_cmp_lt_u16_sdwa s[36:37], v59, v58 src0_sel:BYTE_0 src1_sel:BYTE_0
	v_cmp_lt_i32_e64 s[20:21], v60, v23
	s_or_b64 s[22:23], s[22:23], s[36:37]
	s_and_b64 s[20:21], s[20:21], s[22:23]
	s_xor_b64 s[22:23], s[20:21], -1
                                        ; implicit-def: $vgpr62
	s_and_saveexec_b64 s[36:37], s[22:23]
	s_xor_b64 s[22:23], exec, s[36:37]
; %bb.111:                              ;   in Loop: Header=BB116_2 Depth=1
	ds_read_u8 v62, v61 offset:1
; %bb.112:                              ;   in Loop: Header=BB116_2 Depth=1
	s_or_saveexec_b64 s[22:23], s[22:23]
	v_mov_b32_e32 v63, v59
	s_xor_b64 exec, exec, s[22:23]
	s_cbranch_execz .LBB116_114
; %bb.113:                              ;   in Loop: Header=BB116_2 Depth=1
	ds_read_u8 v63, v60 offset:1
	s_waitcnt lgkmcnt(1)
	v_mov_b32_e32 v62, v58
.LBB116_114:                            ;   in Loop: Header=BB116_2 Depth=1
	s_or_b64 exec, exec, s[22:23]
	v_cndmask_b32_e64 v58, v58, v59, s[20:21]
	v_add_u32_e32 v59, 1, v60
	v_add_u32_e32 v64, 1, v61
	v_cndmask_b32_e64 v59, v60, v59, s[20:21]
	v_cndmask_b32_e64 v60, v64, v61, s[20:21]
	;; [unrolled: 1-line block ×3, first 2 shown]
	v_cmp_ge_i32_e64 s[18:19], v60, v22
	s_waitcnt lgkmcnt(0)
	v_cmp_lt_u16_sdwa s[20:21], v63, v62 src0_sel:BYTE_0 src1_sel:BYTE_0
	v_cndmask_b32_e64 v54, v54, v55, s[16:17]
	v_cmp_lt_i32_e64 s[16:17], v59, v23
	s_or_b64 s[18:19], s[18:19], s[20:21]
	s_and_b64 s[16:17], s[16:17], s[18:19]
	v_cndmask_b32_e64 v55, v62, v63, s[16:17]
	s_barrier
	ds_write_b8 v1, v54
	ds_write_b8 v1, v56 offset:1
	ds_write_b8 v1, v58 offset:2
	;; [unrolled: 1-line block ×3, first 2 shown]
	v_mov_b32_e32 v54, v47
	s_waitcnt lgkmcnt(0)
	s_barrier
	s_and_saveexec_b64 s[18:19], s[12:13]
	s_cbranch_execz .LBB116_118
; %bb.115:                              ;   in Loop: Header=BB116_2 Depth=1
	s_mov_b64 s[20:21], 0
	v_mov_b32_e32 v54, v47
	v_mov_b32_e32 v55, v48
.LBB116_116:                            ;   Parent Loop BB116_2 Depth=1
                                        ; =>  This Inner Loop Header: Depth=2
	v_sub_u32_e32 v56, v55, v54
	v_lshrrev_b32_e32 v56, 1, v56
	v_add_u32_e32 v56, v56, v54
	v_add_u32_e32 v57, v9, v56
	v_xad_u32 v58, v56, -1, v49
	ds_read_u8 v57, v57
	ds_read_u8 v58, v58
	v_add_u32_e32 v59, 1, v56
	s_waitcnt lgkmcnt(0)
	v_cmp_lt_u16_e64 s[16:17], v58, v57
	v_cndmask_b32_e64 v55, v55, v56, s[16:17]
	v_cndmask_b32_e64 v54, v59, v54, s[16:17]
	v_cmp_ge_i32_e64 s[16:17], v54, v55
	s_or_b64 s[20:21], s[16:17], s[20:21]
	s_andn2_b64 exec, exec, s[20:21]
	s_cbranch_execnz .LBB116_116
; %bb.117:                              ;   in Loop: Header=BB116_2 Depth=1
	s_or_b64 exec, exec, s[20:21]
.LBB116_118:                            ;   in Loop: Header=BB116_2 Depth=1
	s_or_b64 exec, exec, s[18:19]
	v_add_u32_e32 v58, v54, v9
	v_sub_u32_e32 v59, v49, v54
	ds_read_u8 v54, v58
	ds_read_u8 v55, v59
	v_cmp_le_i32_e64 s[18:19], v24, v58
	v_cmp_gt_i32_e64 s[16:17], v25, v59
                                        ; implicit-def: $vgpr56
	s_waitcnt lgkmcnt(0)
	v_cmp_lt_u16_sdwa s[20:21], v55, v54 src0_sel:BYTE_0 src1_sel:BYTE_0
	s_or_b64 s[18:19], s[18:19], s[20:21]
	s_and_b64 s[16:17], s[16:17], s[18:19]
	s_xor_b64 s[18:19], s[16:17], -1
	s_and_saveexec_b64 s[20:21], s[18:19]
	s_xor_b64 s[18:19], exec, s[20:21]
; %bb.119:                              ;   in Loop: Header=BB116_2 Depth=1
	ds_read_u8 v56, v58 offset:1
; %bb.120:                              ;   in Loop: Header=BB116_2 Depth=1
	s_or_saveexec_b64 s[18:19], s[18:19]
	v_mov_b32_e32 v57, v55
	s_xor_b64 exec, exec, s[18:19]
	s_cbranch_execz .LBB116_122
; %bb.121:                              ;   in Loop: Header=BB116_2 Depth=1
	ds_read_u8 v57, v59 offset:1
	s_waitcnt lgkmcnt(1)
	v_mov_b32_e32 v56, v54
.LBB116_122:                            ;   in Loop: Header=BB116_2 Depth=1
	s_or_b64 exec, exec, s[18:19]
	v_add_u32_e32 v61, 1, v58
	v_add_u32_e32 v60, 1, v59
	v_cndmask_b32_e64 v61, v61, v58, s[16:17]
	v_cndmask_b32_e64 v60, v59, v60, s[16:17]
	v_cmp_ge_i32_e64 s[20:21], v61, v24
	s_waitcnt lgkmcnt(0)
	v_cmp_lt_u16_sdwa s[22:23], v57, v56 src0_sel:BYTE_0 src1_sel:BYTE_0
	v_cmp_lt_i32_e64 s[18:19], v60, v25
	s_or_b64 s[20:21], s[20:21], s[22:23]
	s_and_b64 s[18:19], s[18:19], s[20:21]
	s_xor_b64 s[20:21], s[18:19], -1
                                        ; implicit-def: $vgpr58
	s_and_saveexec_b64 s[22:23], s[20:21]
	s_xor_b64 s[20:21], exec, s[22:23]
; %bb.123:                              ;   in Loop: Header=BB116_2 Depth=1
	ds_read_u8 v58, v61 offset:1
; %bb.124:                              ;   in Loop: Header=BB116_2 Depth=1
	s_or_saveexec_b64 s[20:21], s[20:21]
	v_mov_b32_e32 v59, v57
	s_xor_b64 exec, exec, s[20:21]
	s_cbranch_execz .LBB116_126
; %bb.125:                              ;   in Loop: Header=BB116_2 Depth=1
	ds_read_u8 v59, v60 offset:1
	s_waitcnt lgkmcnt(1)
	v_mov_b32_e32 v58, v56
.LBB116_126:                            ;   in Loop: Header=BB116_2 Depth=1
	s_or_b64 exec, exec, s[20:21]
	v_add_u32_e32 v63, 1, v61
	v_add_u32_e32 v62, 1, v60
	v_cndmask_b32_e64 v61, v63, v61, s[18:19]
	v_cndmask_b32_e64 v60, v60, v62, s[18:19]
	v_cmp_ge_i32_e64 s[22:23], v61, v24
	s_waitcnt lgkmcnt(0)
	v_cmp_lt_u16_sdwa s[36:37], v59, v58 src0_sel:BYTE_0 src1_sel:BYTE_0
	v_cmp_lt_i32_e64 s[20:21], v60, v25
	s_or_b64 s[22:23], s[22:23], s[36:37]
	s_and_b64 s[20:21], s[20:21], s[22:23]
	s_xor_b64 s[22:23], s[20:21], -1
                                        ; implicit-def: $vgpr62
	s_and_saveexec_b64 s[36:37], s[22:23]
	s_xor_b64 s[22:23], exec, s[36:37]
; %bb.127:                              ;   in Loop: Header=BB116_2 Depth=1
	ds_read_u8 v62, v61 offset:1
; %bb.128:                              ;   in Loop: Header=BB116_2 Depth=1
	s_or_saveexec_b64 s[22:23], s[22:23]
	v_mov_b32_e32 v63, v59
	s_xor_b64 exec, exec, s[22:23]
	s_cbranch_execz .LBB116_130
; %bb.129:                              ;   in Loop: Header=BB116_2 Depth=1
	ds_read_u8 v63, v60 offset:1
	s_waitcnt lgkmcnt(1)
	v_mov_b32_e32 v62, v58
.LBB116_130:                            ;   in Loop: Header=BB116_2 Depth=1
	s_or_b64 exec, exec, s[22:23]
	v_cndmask_b32_e64 v58, v58, v59, s[20:21]
	v_add_u32_e32 v59, 1, v60
	v_add_u32_e32 v64, 1, v61
	v_cndmask_b32_e64 v59, v60, v59, s[20:21]
	v_cndmask_b32_e64 v60, v64, v61, s[20:21]
	;; [unrolled: 1-line block ×3, first 2 shown]
	v_cmp_ge_i32_e64 s[18:19], v60, v24
	s_waitcnt lgkmcnt(0)
	v_cmp_lt_u16_sdwa s[20:21], v63, v62 src0_sel:BYTE_0 src1_sel:BYTE_0
	v_cndmask_b32_e64 v54, v54, v55, s[16:17]
	v_cmp_lt_i32_e64 s[16:17], v59, v25
	s_or_b64 s[18:19], s[18:19], s[20:21]
	s_and_b64 s[16:17], s[16:17], s[18:19]
	v_cndmask_b32_e64 v55, v62, v63, s[16:17]
	s_barrier
	ds_write_b8 v1, v54
	ds_write_b8 v1, v56 offset:1
	ds_write_b8 v1, v58 offset:2
	;; [unrolled: 1-line block ×3, first 2 shown]
	v_mov_b32_e32 v58, v51
	s_waitcnt lgkmcnt(0)
	s_barrier
	s_and_saveexec_b64 s[18:19], s[14:15]
	s_cbranch_execz .LBB116_134
; %bb.131:                              ;   in Loop: Header=BB116_2 Depth=1
	s_mov_b64 s[20:21], 0
	v_mov_b32_e32 v58, v51
	v_mov_b32_e32 v54, v52
.LBB116_132:                            ;   Parent Loop BB116_2 Depth=1
                                        ; =>  This Inner Loop Header: Depth=2
	v_sub_u32_e32 v55, v54, v58
	v_lshrrev_b32_e32 v55, 1, v55
	v_add_u32_e32 v55, v55, v58
	v_xad_u32 v56, v55, -1, v53
	ds_read_u8 v57, v55
	ds_read_u8 v56, v56
	v_add_u32_e32 v59, 1, v55
	s_waitcnt lgkmcnt(0)
	v_cmp_lt_u16_e64 s[16:17], v56, v57
	v_cndmask_b32_e64 v54, v54, v55, s[16:17]
	v_cndmask_b32_e64 v58, v59, v58, s[16:17]
	v_cmp_ge_i32_e64 s[16:17], v58, v54
	s_or_b64 s[20:21], s[16:17], s[20:21]
	s_andn2_b64 exec, exec, s[20:21]
	s_cbranch_execnz .LBB116_132
; %bb.133:                              ;   in Loop: Header=BB116_2 Depth=1
	s_or_b64 exec, exec, s[20:21]
.LBB116_134:                            ;   in Loop: Header=BB116_2 Depth=1
	s_or_b64 exec, exec, s[18:19]
	v_sub_u32_e32 v59, v53, v58
	ds_read_u8 v54, v58
	ds_read_u8 v55, v59
	v_cmp_le_i32_e64 s[18:19], v50, v58
	v_cmp_gt_i32_e64 s[16:17], s34, v59
                                        ; implicit-def: $vgpr56
	s_waitcnt lgkmcnt(0)
	v_cmp_lt_u16_sdwa s[20:21], v55, v54 src0_sel:BYTE_0 src1_sel:BYTE_0
	s_or_b64 s[18:19], s[18:19], s[20:21]
	s_and_b64 s[16:17], s[16:17], s[18:19]
	s_xor_b64 s[18:19], s[16:17], -1
	s_and_saveexec_b64 s[20:21], s[18:19]
	s_xor_b64 s[18:19], exec, s[20:21]
; %bb.135:                              ;   in Loop: Header=BB116_2 Depth=1
	ds_read_u8 v56, v58 offset:1
; %bb.136:                              ;   in Loop: Header=BB116_2 Depth=1
	s_or_saveexec_b64 s[18:19], s[18:19]
	v_mov_b32_e32 v57, v55
	s_xor_b64 exec, exec, s[18:19]
	s_cbranch_execz .LBB116_138
; %bb.137:                              ;   in Loop: Header=BB116_2 Depth=1
	ds_read_u8 v57, v59 offset:1
	s_waitcnt lgkmcnt(1)
	v_mov_b32_e32 v56, v54
.LBB116_138:                            ;   in Loop: Header=BB116_2 Depth=1
	s_or_b64 exec, exec, s[18:19]
	v_add_u32_e32 v61, 1, v58
	v_add_u32_e32 v60, 1, v59
	v_cndmask_b32_e64 v61, v61, v58, s[16:17]
	v_cndmask_b32_e64 v60, v59, v60, s[16:17]
	v_cmp_ge_i32_e64 s[20:21], v61, v50
	s_waitcnt lgkmcnt(0)
	v_cmp_lt_u16_sdwa s[22:23], v57, v56 src0_sel:BYTE_0 src1_sel:BYTE_0
	v_cmp_gt_i32_e64 s[18:19], s34, v60
	s_or_b64 s[20:21], s[20:21], s[22:23]
	s_and_b64 s[18:19], s[18:19], s[20:21]
	s_xor_b64 s[20:21], s[18:19], -1
                                        ; implicit-def: $vgpr58
	s_and_saveexec_b64 s[22:23], s[20:21]
	s_xor_b64 s[20:21], exec, s[22:23]
; %bb.139:                              ;   in Loop: Header=BB116_2 Depth=1
	ds_read_u8 v58, v61 offset:1
; %bb.140:                              ;   in Loop: Header=BB116_2 Depth=1
	s_or_saveexec_b64 s[20:21], s[20:21]
	v_mov_b32_e32 v59, v57
	s_xor_b64 exec, exec, s[20:21]
	s_cbranch_execz .LBB116_142
; %bb.141:                              ;   in Loop: Header=BB116_2 Depth=1
	ds_read_u8 v59, v60 offset:1
	s_waitcnt lgkmcnt(1)
	v_mov_b32_e32 v58, v56
.LBB116_142:                            ;   in Loop: Header=BB116_2 Depth=1
	s_or_b64 exec, exec, s[20:21]
	v_add_u32_e32 v63, 1, v61
	v_add_u32_e32 v62, 1, v60
	v_cndmask_b32_e64 v63, v63, v61, s[18:19]
	v_cndmask_b32_e64 v60, v60, v62, s[18:19]
	v_cmp_ge_i32_e64 s[22:23], v63, v50
	s_waitcnt lgkmcnt(0)
	v_cmp_lt_u16_sdwa s[36:37], v59, v58 src0_sel:BYTE_0 src1_sel:BYTE_0
	v_cmp_gt_i32_e64 s[20:21], s34, v60
	s_or_b64 s[22:23], s[22:23], s[36:37]
	s_and_b64 s[20:21], s[20:21], s[22:23]
	s_xor_b64 s[22:23], s[20:21], -1
                                        ; implicit-def: $vgpr61
                                        ; implicit-def: $vgpr62
	s_and_saveexec_b64 s[36:37], s[22:23]
	s_xor_b64 s[22:23], exec, s[36:37]
; %bb.143:                              ;   in Loop: Header=BB116_2 Depth=1
	ds_read_u8 v61, v63 offset:1
	v_add_u32_e32 v62, 1, v63
                                        ; implicit-def: $vgpr63
; %bb.144:                              ;   in Loop: Header=BB116_2 Depth=1
	s_or_saveexec_b64 s[22:23], s[22:23]
	v_mov_b32_e32 v64, v59
	s_xor_b64 exec, exec, s[22:23]
	s_cbranch_execz .LBB116_1
; %bb.145:                              ;   in Loop: Header=BB116_2 Depth=1
	ds_read_u8 v64, v60 offset:1
	v_add_u32_e32 v60, 1, v60
	v_mov_b32_e32 v62, v63
	s_waitcnt lgkmcnt(1)
	v_mov_b32_e32 v61, v58
	s_branch .LBB116_1
.LBB116_146:
	s_add_u32 s0, s26, s28
	s_addc_u32 s1, s27, 0
	v_mov_b32_e32 v1, s1
	v_add_co_u32_e32 v0, vcc, s0, v0
	v_addc_co_u32_e32 v1, vcc, 0, v1, vcc
	global_store_byte v[0:1], v55, off
	global_store_byte v[0:1], v56, off offset:512
	global_store_byte v[0:1], v57, off offset:1024
	;; [unrolled: 1-line block ×3, first 2 shown]
	s_endpgm
	.section	.rodata,"a",@progbits
	.p2align	6, 0x0
	.amdhsa_kernel _Z16sort_keys_kernelIhLj512ELj4EN10test_utils4lessELj10EEvPKT_PS2_T2_
		.amdhsa_group_segment_fixed_size 2049
		.amdhsa_private_segment_fixed_size 0
		.amdhsa_kernarg_size 20
		.amdhsa_user_sgpr_count 6
		.amdhsa_user_sgpr_private_segment_buffer 1
		.amdhsa_user_sgpr_dispatch_ptr 0
		.amdhsa_user_sgpr_queue_ptr 0
		.amdhsa_user_sgpr_kernarg_segment_ptr 1
		.amdhsa_user_sgpr_dispatch_id 0
		.amdhsa_user_sgpr_flat_scratch_init 0
		.amdhsa_user_sgpr_private_segment_size 0
		.amdhsa_uses_dynamic_stack 0
		.amdhsa_system_sgpr_private_segment_wavefront_offset 0
		.amdhsa_system_sgpr_workgroup_id_x 1
		.amdhsa_system_sgpr_workgroup_id_y 0
		.amdhsa_system_sgpr_workgroup_id_z 0
		.amdhsa_system_sgpr_workgroup_info 0
		.amdhsa_system_vgpr_workitem_id 0
		.amdhsa_next_free_vgpr 65
		.amdhsa_next_free_sgpr 38
		.amdhsa_reserve_vcc 1
		.amdhsa_reserve_flat_scratch 0
		.amdhsa_float_round_mode_32 0
		.amdhsa_float_round_mode_16_64 0
		.amdhsa_float_denorm_mode_32 3
		.amdhsa_float_denorm_mode_16_64 3
		.amdhsa_dx10_clamp 1
		.amdhsa_ieee_mode 1
		.amdhsa_fp16_overflow 0
		.amdhsa_exception_fp_ieee_invalid_op 0
		.amdhsa_exception_fp_denorm_src 0
		.amdhsa_exception_fp_ieee_div_zero 0
		.amdhsa_exception_fp_ieee_overflow 0
		.amdhsa_exception_fp_ieee_underflow 0
		.amdhsa_exception_fp_ieee_inexact 0
		.amdhsa_exception_int_div_zero 0
	.end_amdhsa_kernel
	.section	.text._Z16sort_keys_kernelIhLj512ELj4EN10test_utils4lessELj10EEvPKT_PS2_T2_,"axG",@progbits,_Z16sort_keys_kernelIhLj512ELj4EN10test_utils4lessELj10EEvPKT_PS2_T2_,comdat
.Lfunc_end116:
	.size	_Z16sort_keys_kernelIhLj512ELj4EN10test_utils4lessELj10EEvPKT_PS2_T2_, .Lfunc_end116-_Z16sort_keys_kernelIhLj512ELj4EN10test_utils4lessELj10EEvPKT_PS2_T2_
                                        ; -- End function
	.set _Z16sort_keys_kernelIhLj512ELj4EN10test_utils4lessELj10EEvPKT_PS2_T2_.num_vgpr, 65
	.set _Z16sort_keys_kernelIhLj512ELj4EN10test_utils4lessELj10EEvPKT_PS2_T2_.num_agpr, 0
	.set _Z16sort_keys_kernelIhLj512ELj4EN10test_utils4lessELj10EEvPKT_PS2_T2_.numbered_sgpr, 38
	.set _Z16sort_keys_kernelIhLj512ELj4EN10test_utils4lessELj10EEvPKT_PS2_T2_.num_named_barrier, 0
	.set _Z16sort_keys_kernelIhLj512ELj4EN10test_utils4lessELj10EEvPKT_PS2_T2_.private_seg_size, 0
	.set _Z16sort_keys_kernelIhLj512ELj4EN10test_utils4lessELj10EEvPKT_PS2_T2_.uses_vcc, 1
	.set _Z16sort_keys_kernelIhLj512ELj4EN10test_utils4lessELj10EEvPKT_PS2_T2_.uses_flat_scratch, 0
	.set _Z16sort_keys_kernelIhLj512ELj4EN10test_utils4lessELj10EEvPKT_PS2_T2_.has_dyn_sized_stack, 0
	.set _Z16sort_keys_kernelIhLj512ELj4EN10test_utils4lessELj10EEvPKT_PS2_T2_.has_recursion, 0
	.set _Z16sort_keys_kernelIhLj512ELj4EN10test_utils4lessELj10EEvPKT_PS2_T2_.has_indirect_call, 0
	.section	.AMDGPU.csdata,"",@progbits
; Kernel info:
; codeLenInByte = 6544
; TotalNumSgprs: 42
; NumVgprs: 65
; ScratchSize: 0
; MemoryBound: 0
; FloatMode: 240
; IeeeMode: 1
; LDSByteSize: 2049 bytes/workgroup (compile time only)
; SGPRBlocks: 5
; VGPRBlocks: 16
; NumSGPRsForWavesPerEU: 42
; NumVGPRsForWavesPerEU: 65
; Occupancy: 3
; WaveLimiterHint : 1
; COMPUTE_PGM_RSRC2:SCRATCH_EN: 0
; COMPUTE_PGM_RSRC2:USER_SGPR: 6
; COMPUTE_PGM_RSRC2:TRAP_HANDLER: 0
; COMPUTE_PGM_RSRC2:TGID_X_EN: 1
; COMPUTE_PGM_RSRC2:TGID_Y_EN: 0
; COMPUTE_PGM_RSRC2:TGID_Z_EN: 0
; COMPUTE_PGM_RSRC2:TIDIG_COMP_CNT: 0
	.section	.text._Z17sort_pairs_kernelIhLj512ELj4EN10test_utils4lessELj10EEvPKT_PS2_T2_,"axG",@progbits,_Z17sort_pairs_kernelIhLj512ELj4EN10test_utils4lessELj10EEvPKT_PS2_T2_,comdat
	.protected	_Z17sort_pairs_kernelIhLj512ELj4EN10test_utils4lessELj10EEvPKT_PS2_T2_ ; -- Begin function _Z17sort_pairs_kernelIhLj512ELj4EN10test_utils4lessELj10EEvPKT_PS2_T2_
	.globl	_Z17sort_pairs_kernelIhLj512ELj4EN10test_utils4lessELj10EEvPKT_PS2_T2_
	.p2align	8
	.type	_Z17sort_pairs_kernelIhLj512ELj4EN10test_utils4lessELj10EEvPKT_PS2_T2_,@function
_Z17sort_pairs_kernelIhLj512ELj4EN10test_utils4lessELj10EEvPKT_PS2_T2_: ; @_Z17sort_pairs_kernelIhLj512ELj4EN10test_utils4lessELj10EEvPKT_PS2_T2_
; %bb.0:
	s_load_dwordx4 s[36:39], s[4:5], 0x0
	s_lshl_b32 s33, s6, 11
	v_lshlrev_b32_e32 v1, 2, v0
	v_and_b32_e32 v2, 0x7f8, v1
	v_and_b32_e32 v5, 0x7f0, v1
	s_waitcnt lgkmcnt(0)
	s_add_u32 s0, s36, s33
	s_addc_u32 s1, s37, 0
	global_load_ubyte v59, v0, s[0:1]
	global_load_ubyte v60, v0, s[0:1] offset:512
	global_load_ubyte v61, v0, s[0:1] offset:1024
	;; [unrolled: 1-line block ×3, first 2 shown]
	v_and_b32_e32 v8, 0x7e0, v1
	v_and_b32_e32 v11, 0x7c0, v1
	;; [unrolled: 1-line block ×6, first 2 shown]
	v_or_b32_e32 v3, 4, v2
	v_add_u32_e32 v4, 8, v2
	v_or_b32_e32 v6, 8, v5
	v_add_u32_e32 v7, 16, v5
	;; [unrolled: 2-line block ×8, first 2 shown]
	v_and_b32_e32 v28, 4, v1
	v_sub_u32_e32 v26, v4, v3
	v_and_b32_e32 v31, 12, v1
	v_sub_u32_e32 v29, v7, v6
	;; [unrolled: 2-line block ×8, first 2 shown]
	v_sub_u32_e32 v27, v28, v26
	v_sub_u32_e32 v30, v31, v29
	;; [unrolled: 1-line block ×8, first 2 shown]
	v_cmp_ge_i32_e32 vcc, v28, v26
	v_cmp_ge_i32_e64 s[0:1], v31, v29
	v_cmp_ge_i32_e64 s[2:3], v34, v32
	;; [unrolled: 1-line block ×7, first 2 shown]
	v_cndmask_b32_e32 v26, 0, v27, vcc
	v_sub_u32_e32 v27, v3, v2
	v_cndmask_b32_e64 v29, 0, v30, s[0:1]
	v_sub_u32_e32 v30, v6, v5
	v_cndmask_b32_e64 v32, 0, v33, s[2:3]
	;; [unrolled: 2-line block ×7, first 2 shown]
	v_sub_u32_e32 v48, v24, v23
	v_mov_b32_e32 v50, 0x400
	v_min_i32_e32 v27, v28, v27
	v_min_i32_e32 v30, v31, v30
	v_min_i32_e32 v33, v34, v33
	v_min_i32_e32 v36, v37, v36
	v_min_i32_e32 v39, v40, v39
	v_min_i32_e32 v42, v43, v42
	v_min_i32_e32 v45, v46, v45
	v_min_i32_e32 v48, v49, v48
	v_sub_u32_e64 v51, v1, v50 clamp
	v_min_i32_e32 v52, 0x400, v1
	s_mov_b32 s40, 0
	v_cmp_lt_i32_e32 vcc, v26, v27
	v_add_u32_e32 v28, v3, v28
	v_cmp_lt_i32_e64 s[0:1], v29, v30
	v_add_u32_e32 v31, v6, v31
	v_cmp_lt_i32_e64 s[2:3], v32, v33
	;; [unrolled: 2-line block ×8, first 2 shown]
	s_mov_b32 s41, 0xc0c0004
	s_mov_b32 s42, 0xc0c0001
	;; [unrolled: 1-line block ×3, first 2 shown]
	s_movk_i32 s44, 0xff00
	s_mov_b32 s45, 0xffff0000
	s_mov_b32 s46, 0x7050604
	s_movk_i32 s47, 0x800
	s_waitcnt vmcnt(3)
	v_add_u16_e32 v54, 1, v59
	s_waitcnt vmcnt(2)
	v_add_u16_e32 v55, 1, v60
	s_waitcnt vmcnt(1)
	v_add_u16_e32 v56, 1, v61
	s_waitcnt vmcnt(0)
	v_add_u16_e32 v57, 1, v58
	v_add_u32_e32 v53, 0x400, v1
	s_branch .LBB117_2
.LBB117_1:                              ;   in Loop: Header=BB117_2 Depth=1
	s_or_b64 exec, exec, s[22:23]
	v_cmp_ge_i32_e64 s[22:23], v70, v50
	s_waitcnt lgkmcnt(0)
	v_cmp_lt_u16_sdwa s[24:25], v73, v71 src0_sel:BYTE_0 src1_sel:BYTE_0
	v_cndmask_b32_e64 v59, v59, v63, s[16:17]
	v_cndmask_b32_e64 v61, v58, v61, s[16:17]
	v_cmp_gt_i32_e64 s[16:17], s47, v68
	s_or_b64 s[22:23], s[22:23], s[24:25]
	s_and_b64 s[16:17], s[16:17], s[22:23]
	v_cndmask_b32_e64 v63, v67, v66, s[18:19]
	v_cndmask_b32_e64 v66, v70, v68, s[16:17]
	s_barrier
	ds_write_b8 v1, v54
	ds_write_b8 v1, v56 offset:1
	ds_write_b8 v1, v57 offset:2
	;; [unrolled: 1-line block ×3, first 2 shown]
	s_waitcnt lgkmcnt(0)
	s_barrier
	ds_read_u8 v54, v61
	ds_read_u8 v56, v69
	;; [unrolled: 1-line block ×4, first 2 shown]
	s_add_i32 s40, s40, 1
	v_cndmask_b32_e64 v58, v71, v73, s[16:17]
	v_cndmask_b32_e64 v60, v60, v62, s[18:19]
	s_cmp_eq_u32 s40, 10
	v_cndmask_b32_e64 v61, v64, v65, s[20:21]
	s_cbranch_scc1 .LBB117_146
.LBB117_2:                              ; =>This Loop Header: Depth=1
                                        ;     Child Loop BB117_4 Depth 2
                                        ;     Child Loop BB117_20 Depth 2
	;; [unrolled: 1-line block ×9, first 2 shown]
	v_perm_b32 v58, v61, v58, s41
	v_lshlrev_b32_e32 v58, 16, v58
	v_perm_b32 v61, v60, v59, s41
	v_perm_b32 v62, v59, v60, s41
	v_or_b32_e32 v61, v61, v58
	v_or_b32_e32 v58, v62, v58
	v_cmp_lt_u16_sdwa s[16:17], v60, v59 src0_sel:BYTE_0 src1_sel:BYTE_0
	v_cndmask_b32_e64 v58, v58, v61, s[16:17]
	v_lshrrev_b32_e32 v59, 16, v58
	v_perm_b32 v60, 0, v59, s42
	v_lshlrev_b32_e32 v60, 16, v60
	v_and_or_b32 v60, v58, s43, v60
	v_cmp_lt_u16_sdwa s[18:19], v58, v59 src0_sel:BYTE_3 src1_sel:BYTE_0
	v_cndmask_b32_e64 v60, v58, v60, s[18:19]
	v_min_u16_sdwa v58, v58, v59 dst_sel:DWORD dst_unused:UNUSED_PAD src0_sel:BYTE_3 src1_sel:BYTE_0
	v_and_b32_sdwa v61, v60, s44 dst_sel:DWORD dst_unused:UNUSED_PAD src0_sel:WORD_1 src1_sel:DWORD
	v_lshlrev_b16_e32 v62, 8, v58
	v_or_b32_sdwa v61, v60, v61 dst_sel:WORD_1 dst_unused:UNUSED_PAD src0_sel:BYTE_1 src1_sel:DWORD
	v_lshrrev_b32_e32 v59, 8, v60
	v_or_b32_sdwa v62, v60, v62 dst_sel:DWORD dst_unused:UNUSED_PAD src0_sel:BYTE_0 src1_sel:DWORD
	v_or_b32_sdwa v61, v62, v61 dst_sel:DWORD dst_unused:UNUSED_PAD src0_sel:WORD_0 src1_sel:DWORD
	v_cmp_lt_u16_sdwa s[20:21], v58, v59 src0_sel:DWORD src1_sel:BYTE_0
	v_cndmask_b32_e64 v60, v60, v61, s[20:21]
	v_lshlrev_b16_e32 v61, 8, v60
	v_min_u16_sdwa v58, v58, v59 dst_sel:DWORD dst_unused:UNUSED_PAD src0_sel:DWORD src1_sel:BYTE_0
	v_or_b32_e32 v59, v58, v61
	v_and_b32_e32 v59, 0xffff, v59
	v_and_or_b32 v59, v60, s45, v59
	v_cmp_lt_u16_sdwa s[22:23], v58, v60 src0_sel:DWORD src1_sel:BYTE_0
	v_cndmask_b32_e64 v58, v60, v59, s[22:23]
	v_lshrrev_b32_e32 v59, 16, v58
	v_perm_b32 v60, 0, v59, s42
	v_lshlrev_b32_e32 v60, 16, v60
	v_and_or_b32 v60, v58, s43, v60
	v_cmp_lt_u16_sdwa s[24:25], v58, v59 src0_sel:BYTE_3 src1_sel:BYTE_0
	v_cndmask_b32_e64 v60, v58, v60, s[24:25]
	v_min_u16_sdwa v58, v58, v59 dst_sel:DWORD dst_unused:UNUSED_PAD src0_sel:BYTE_3 src1_sel:BYTE_0
	v_and_b32_sdwa v61, v60, s44 dst_sel:DWORD dst_unused:UNUSED_PAD src0_sel:WORD_1 src1_sel:DWORD
	v_lshlrev_b16_e32 v62, 8, v58
	v_or_b32_sdwa v61, v60, v61 dst_sel:WORD_1 dst_unused:UNUSED_PAD src0_sel:BYTE_1 src1_sel:DWORD
	v_lshrrev_b32_e32 v59, 8, v60
	v_or_b32_sdwa v62, v60, v62 dst_sel:DWORD dst_unused:UNUSED_PAD src0_sel:BYTE_0 src1_sel:DWORD
	v_or_b32_sdwa v61, v62, v61 dst_sel:DWORD dst_unused:UNUSED_PAD src0_sel:WORD_0 src1_sel:DWORD
	v_cmp_lt_u16_sdwa s[26:27], v58, v59 src0_sel:DWORD src1_sel:BYTE_0
	v_cndmask_b32_e64 v58, v60, v61, s[26:27]
	v_mov_b32_e32 v59, v26
	s_waitcnt lgkmcnt(0)
	s_barrier
	ds_write_b32 v1, v58
	s_waitcnt lgkmcnt(0)
	s_barrier
	s_and_saveexec_b64 s[30:31], vcc
	s_cbranch_execz .LBB117_6
; %bb.3:                                ;   in Loop: Header=BB117_2 Depth=1
	s_mov_b64 s[34:35], 0
	v_mov_b32_e32 v59, v26
	v_mov_b32_e32 v58, v27
.LBB117_4:                              ;   Parent Loop BB117_2 Depth=1
                                        ; =>  This Inner Loop Header: Depth=2
	v_sub_u32_e32 v60, v58, v59
	v_lshrrev_b32_e32 v60, 1, v60
	v_add_u32_e32 v60, v60, v59
	v_add_u32_e32 v61, v2, v60
	v_xad_u32 v62, v60, -1, v28
	ds_read_u8 v61, v61
	ds_read_u8 v62, v62
	v_add_u32_e32 v63, 1, v60
	s_waitcnt lgkmcnt(0)
	v_cmp_lt_u16_e64 s[28:29], v62, v61
	v_cndmask_b32_e64 v58, v58, v60, s[28:29]
	v_cndmask_b32_e64 v59, v63, v59, s[28:29]
	v_cmp_ge_i32_e64 s[28:29], v59, v58
	s_or_b64 s[34:35], s[28:29], s[34:35]
	s_andn2_b64 exec, exec, s[34:35]
	s_cbranch_execnz .LBB117_4
; %bb.5:                                ;   in Loop: Header=BB117_2 Depth=1
	s_or_b64 exec, exec, s[34:35]
.LBB117_6:                              ;   in Loop: Header=BB117_2 Depth=1
	s_or_b64 exec, exec, s[30:31]
	v_add_u32_e32 v58, v59, v2
	v_sub_u32_e32 v59, v28, v59
	ds_read_u8 v60, v58
	ds_read_u8 v61, v59
	v_cmp_le_i32_e64 s[30:31], v3, v58
	v_cmp_gt_i32_e64 s[28:29], v4, v59
                                        ; implicit-def: $vgpr62
	s_waitcnt lgkmcnt(0)
	v_cmp_lt_u16_sdwa s[34:35], v61, v60 src0_sel:BYTE_0 src1_sel:BYTE_0
	s_or_b64 s[30:31], s[30:31], s[34:35]
	s_and_b64 s[28:29], s[28:29], s[30:31]
	s_xor_b64 s[30:31], s[28:29], -1
	s_and_saveexec_b64 s[34:35], s[30:31]
	s_xor_b64 s[30:31], exec, s[34:35]
; %bb.7:                                ;   in Loop: Header=BB117_2 Depth=1
	ds_read_u8 v62, v58 offset:1
; %bb.8:                                ;   in Loop: Header=BB117_2 Depth=1
	s_or_saveexec_b64 s[30:31], s[30:31]
	v_mov_b32_e32 v63, v61
	s_xor_b64 exec, exec, s[30:31]
	s_cbranch_execz .LBB117_10
; %bb.9:                                ;   in Loop: Header=BB117_2 Depth=1
	ds_read_u8 v63, v59 offset:1
	s_waitcnt lgkmcnt(1)
	v_mov_b32_e32 v62, v60
.LBB117_10:                             ;   in Loop: Header=BB117_2 Depth=1
	s_or_b64 exec, exec, s[30:31]
	v_add_u32_e32 v65, 1, v58
	v_add_u32_e32 v64, 1, v59
	v_cndmask_b32_e64 v65, v65, v58, s[28:29]
	v_cndmask_b32_e64 v64, v59, v64, s[28:29]
	v_cmp_ge_i32_e64 s[34:35], v65, v3
	s_waitcnt lgkmcnt(0)
	v_cmp_lt_u16_sdwa s[36:37], v63, v62 src0_sel:BYTE_0 src1_sel:BYTE_0
	v_cmp_lt_i32_e64 s[30:31], v64, v4
	s_or_b64 s[34:35], s[34:35], s[36:37]
	s_and_b64 s[30:31], s[30:31], s[34:35]
	s_xor_b64 s[34:35], s[30:31], -1
                                        ; implicit-def: $vgpr66
	s_and_saveexec_b64 s[36:37], s[34:35]
	s_xor_b64 s[34:35], exec, s[36:37]
; %bb.11:                               ;   in Loop: Header=BB117_2 Depth=1
	ds_read_u8 v66, v65 offset:1
; %bb.12:                               ;   in Loop: Header=BB117_2 Depth=1
	s_or_saveexec_b64 s[34:35], s[34:35]
	v_mov_b32_e32 v68, v63
	s_xor_b64 exec, exec, s[34:35]
	s_cbranch_execz .LBB117_14
; %bb.13:                               ;   in Loop: Header=BB117_2 Depth=1
	ds_read_u8 v68, v64 offset:1
	s_waitcnt lgkmcnt(1)
	v_mov_b32_e32 v66, v62
.LBB117_14:                             ;   in Loop: Header=BB117_2 Depth=1
	s_or_b64 exec, exec, s[34:35]
	v_add_u32_e32 v69, 1, v65
	v_add_u32_e32 v67, 1, v64
	v_cndmask_b32_e64 v71, v69, v65, s[30:31]
	v_cndmask_b32_e64 v70, v64, v67, s[30:31]
	v_cmp_ge_i32_e64 s[36:37], v71, v3
	s_waitcnt lgkmcnt(0)
	v_cmp_lt_u16_sdwa s[48:49], v68, v66 src0_sel:BYTE_0 src1_sel:BYTE_0
	v_cmp_lt_i32_e64 s[34:35], v70, v4
	s_or_b64 s[36:37], s[36:37], s[48:49]
	s_and_b64 s[34:35], s[34:35], s[36:37]
	s_xor_b64 s[36:37], s[34:35], -1
                                        ; implicit-def: $vgpr67
	s_and_saveexec_b64 s[48:49], s[36:37]
	s_xor_b64 s[36:37], exec, s[48:49]
; %bb.15:                               ;   in Loop: Header=BB117_2 Depth=1
	ds_read_u8 v67, v71 offset:1
; %bb.16:                               ;   in Loop: Header=BB117_2 Depth=1
	s_or_saveexec_b64 s[36:37], s[36:37]
	v_mov_b32_e32 v69, v68
	s_xor_b64 exec, exec, s[36:37]
	s_cbranch_execz .LBB117_18
; %bb.17:                               ;   in Loop: Header=BB117_2 Depth=1
	ds_read_u8 v69, v70 offset:1
	s_waitcnt lgkmcnt(1)
	v_mov_b32_e32 v67, v66
.LBB117_18:                             ;   in Loop: Header=BB117_2 Depth=1
	s_or_b64 exec, exec, s[36:37]
	v_perm_b32 v56, v56, v57, s41
	v_perm_b32 v57, v55, v54, s41
	;; [unrolled: 1-line block ×3, first 2 shown]
	v_cndmask_b32_e64 v54, v54, v57, s[16:17]
	v_perm_b32 v55, 0, v56, s42
	v_lshl_or_b32 v54, v56, 16, v54
	v_lshlrev_b32_e32 v55, 16, v55
	v_and_or_b32 v55, v54, s43, v55
	v_cndmask_b32_e64 v54, v54, v55, s[18:19]
	v_perm_b32 v55, v54, v54, s46
	v_cndmask_b32_e64 v54, v54, v55, s[20:21]
	v_perm_b32 v55, 0, v54, s42
	v_and_or_b32 v55, v54, s45, v55
	v_cndmask_b32_e64 v54, v54, v55, s[22:23]
	v_lshrrev_b32_e32 v55, 16, v54
	v_add_u32_e32 v72, 1, v71
	v_perm_b32 v55, 0, v55, s42
	v_cndmask_b32_e64 v66, v66, v68, s[34:35]
	v_add_u32_e32 v68, 1, v70
	v_cndmask_b32_e64 v72, v72, v71, s[34:35]
	v_lshlrev_b32_e32 v55, 16, v55
	v_cndmask_b32_e64 v68, v70, v68, s[34:35]
	v_and_or_b32 v55, v54, s43, v55
	v_cmp_ge_i32_e64 s[18:19], v72, v3
	s_waitcnt lgkmcnt(0)
	v_cmp_lt_u16_sdwa s[20:21], v69, v67 src0_sel:BYTE_0 src1_sel:BYTE_0
	v_cndmask_b32_e64 v54, v54, v55, s[24:25]
	v_cmp_lt_i32_e64 s[16:17], v68, v4
	s_or_b64 s[18:19], s[18:19], s[20:21]
	v_perm_b32 v55, v54, v54, s46
	s_and_b64 s[16:17], s[16:17], s[18:19]
	v_cndmask_b32_e64 v58, v58, v59, s[28:29]
	v_cndmask_b32_e64 v54, v54, v55, s[26:27]
	;; [unrolled: 1-line block ×6, first 2 shown]
	s_barrier
	ds_write_b32 v1, v54
	s_waitcnt lgkmcnt(0)
	s_barrier
	ds_read_u8 v54, v58
	ds_read_u8 v55, v55
	;; [unrolled: 1-line block ×4, first 2 shown]
	v_cndmask_b32_e64 v60, v60, v61, s[28:29]
	v_cndmask_b32_e64 v59, v67, v69, s[16:17]
	s_waitcnt lgkmcnt(0)
	s_barrier
	ds_write_b8 v1, v60
	ds_write_b8 v1, v62 offset:1
	ds_write_b8 v1, v66 offset:2
	;; [unrolled: 1-line block ×3, first 2 shown]
	v_mov_b32_e32 v59, v29
	s_waitcnt lgkmcnt(0)
	s_barrier
	s_and_saveexec_b64 s[18:19], s[0:1]
	s_cbranch_execz .LBB117_22
; %bb.19:                               ;   in Loop: Header=BB117_2 Depth=1
	s_mov_b64 s[20:21], 0
	v_mov_b32_e32 v59, v29
	v_mov_b32_e32 v58, v30
.LBB117_20:                             ;   Parent Loop BB117_2 Depth=1
                                        ; =>  This Inner Loop Header: Depth=2
	v_sub_u32_e32 v60, v58, v59
	v_lshrrev_b32_e32 v60, 1, v60
	v_add_u32_e32 v60, v60, v59
	v_add_u32_e32 v61, v5, v60
	v_xad_u32 v62, v60, -1, v31
	ds_read_u8 v61, v61
	ds_read_u8 v62, v62
	v_add_u32_e32 v63, 1, v60
	s_waitcnt lgkmcnt(0)
	v_cmp_lt_u16_e64 s[16:17], v62, v61
	v_cndmask_b32_e64 v58, v58, v60, s[16:17]
	v_cndmask_b32_e64 v59, v63, v59, s[16:17]
	v_cmp_ge_i32_e64 s[16:17], v59, v58
	s_or_b64 s[20:21], s[16:17], s[20:21]
	s_andn2_b64 exec, exec, s[20:21]
	s_cbranch_execnz .LBB117_20
; %bb.21:                               ;   in Loop: Header=BB117_2 Depth=1
	s_or_b64 exec, exec, s[20:21]
.LBB117_22:                             ;   in Loop: Header=BB117_2 Depth=1
	s_or_b64 exec, exec, s[18:19]
	v_add_u32_e32 v58, v59, v5
	v_sub_u32_e32 v59, v31, v59
	ds_read_u8 v60, v58
	ds_read_u8 v61, v59
	v_cmp_le_i32_e64 s[18:19], v6, v58
	v_cmp_gt_i32_e64 s[16:17], v7, v59
                                        ; implicit-def: $vgpr62
	s_waitcnt lgkmcnt(0)
	v_cmp_lt_u16_sdwa s[20:21], v61, v60 src0_sel:BYTE_0 src1_sel:BYTE_0
	s_or_b64 s[18:19], s[18:19], s[20:21]
	s_and_b64 s[16:17], s[16:17], s[18:19]
	s_xor_b64 s[18:19], s[16:17], -1
	s_and_saveexec_b64 s[20:21], s[18:19]
	s_xor_b64 s[18:19], exec, s[20:21]
; %bb.23:                               ;   in Loop: Header=BB117_2 Depth=1
	ds_read_u8 v62, v58 offset:1
; %bb.24:                               ;   in Loop: Header=BB117_2 Depth=1
	s_or_saveexec_b64 s[18:19], s[18:19]
	v_mov_b32_e32 v63, v61
	s_xor_b64 exec, exec, s[18:19]
	s_cbranch_execz .LBB117_26
; %bb.25:                               ;   in Loop: Header=BB117_2 Depth=1
	ds_read_u8 v63, v59 offset:1
	s_waitcnt lgkmcnt(1)
	v_mov_b32_e32 v62, v60
.LBB117_26:                             ;   in Loop: Header=BB117_2 Depth=1
	s_or_b64 exec, exec, s[18:19]
	v_add_u32_e32 v65, 1, v58
	v_add_u32_e32 v64, 1, v59
	v_cndmask_b32_e64 v65, v65, v58, s[16:17]
	v_cndmask_b32_e64 v64, v59, v64, s[16:17]
	v_cmp_ge_i32_e64 s[20:21], v65, v6
	s_waitcnt lgkmcnt(0)
	v_cmp_lt_u16_sdwa s[22:23], v63, v62 src0_sel:BYTE_0 src1_sel:BYTE_0
	v_cmp_lt_i32_e64 s[18:19], v64, v7
	s_or_b64 s[20:21], s[20:21], s[22:23]
	s_and_b64 s[18:19], s[18:19], s[20:21]
	s_xor_b64 s[20:21], s[18:19], -1
                                        ; implicit-def: $vgpr66
	s_and_saveexec_b64 s[22:23], s[20:21]
	s_xor_b64 s[20:21], exec, s[22:23]
; %bb.27:                               ;   in Loop: Header=BB117_2 Depth=1
	ds_read_u8 v66, v65 offset:1
; %bb.28:                               ;   in Loop: Header=BB117_2 Depth=1
	s_or_saveexec_b64 s[20:21], s[20:21]
	v_mov_b32_e32 v67, v63
	s_xor_b64 exec, exec, s[20:21]
	s_cbranch_execz .LBB117_30
; %bb.29:                               ;   in Loop: Header=BB117_2 Depth=1
	ds_read_u8 v67, v64 offset:1
	s_waitcnt lgkmcnt(1)
	v_mov_b32_e32 v66, v62
.LBB117_30:                             ;   in Loop: Header=BB117_2 Depth=1
	s_or_b64 exec, exec, s[20:21]
	v_add_u32_e32 v69, 1, v65
	v_add_u32_e32 v68, 1, v64
	v_cndmask_b32_e64 v69, v69, v65, s[18:19]
	v_cndmask_b32_e64 v68, v64, v68, s[18:19]
	v_cmp_ge_i32_e64 s[22:23], v69, v6
	s_waitcnt lgkmcnt(0)
	v_cmp_lt_u16_sdwa s[24:25], v67, v66 src0_sel:BYTE_0 src1_sel:BYTE_0
	v_cmp_lt_i32_e64 s[20:21], v68, v7
	s_or_b64 s[22:23], s[22:23], s[24:25]
	s_and_b64 s[20:21], s[20:21], s[22:23]
	s_xor_b64 s[22:23], s[20:21], -1
                                        ; implicit-def: $vgpr70
	s_and_saveexec_b64 s[24:25], s[22:23]
	s_xor_b64 s[22:23], exec, s[24:25]
; %bb.31:                               ;   in Loop: Header=BB117_2 Depth=1
	ds_read_u8 v70, v69 offset:1
; %bb.32:                               ;   in Loop: Header=BB117_2 Depth=1
	s_or_saveexec_b64 s[22:23], s[22:23]
	v_mov_b32_e32 v71, v67
	s_xor_b64 exec, exec, s[22:23]
	s_cbranch_execz .LBB117_34
; %bb.33:                               ;   in Loop: Header=BB117_2 Depth=1
	ds_read_u8 v71, v68 offset:1
	s_waitcnt lgkmcnt(1)
	v_mov_b32_e32 v70, v66
.LBB117_34:                             ;   in Loop: Header=BB117_2 Depth=1
	s_or_b64 exec, exec, s[22:23]
	v_add_u32_e32 v72, 1, v69
	v_cndmask_b32_e64 v66, v66, v67, s[20:21]
	v_add_u32_e32 v67, 1, v68
	v_cndmask_b32_e64 v72, v72, v69, s[20:21]
	v_cndmask_b32_e64 v67, v68, v67, s[20:21]
	;; [unrolled: 1-line block ×5, first 2 shown]
	v_cmp_ge_i32_e64 s[18:19], v72, v6
	s_waitcnt lgkmcnt(0)
	v_cmp_lt_u16_sdwa s[20:21], v71, v70 src0_sel:BYTE_0 src1_sel:BYTE_0
	v_cndmask_b32_e64 v60, v60, v61, s[16:17]
	v_cndmask_b32_e64 v58, v58, v59, s[16:17]
	v_cmp_lt_i32_e64 s[16:17], v67, v7
	s_or_b64 s[18:19], s[18:19], s[20:21]
	s_and_b64 s[16:17], s[16:17], s[18:19]
	v_cndmask_b32_e64 v61, v72, v67, s[16:17]
	s_barrier
	ds_write_b8 v1, v54
	ds_write_b8 v1, v56 offset:1
	ds_write_b8 v1, v57 offset:2
	;; [unrolled: 1-line block ×3, first 2 shown]
	s_waitcnt lgkmcnt(0)
	s_barrier
	ds_read_u8 v54, v58
	ds_read_u8 v55, v61
	;; [unrolled: 1-line block ×4, first 2 shown]
	v_cndmask_b32_e64 v59, v70, v71, s[16:17]
	s_waitcnt lgkmcnt(0)
	s_barrier
	ds_write_b8 v1, v60
	ds_write_b8 v1, v62 offset:1
	ds_write_b8 v1, v66 offset:2
	;; [unrolled: 1-line block ×3, first 2 shown]
	v_mov_b32_e32 v59, v32
	s_waitcnt lgkmcnt(0)
	s_barrier
	s_and_saveexec_b64 s[18:19], s[2:3]
	s_cbranch_execz .LBB117_38
; %bb.35:                               ;   in Loop: Header=BB117_2 Depth=1
	s_mov_b64 s[20:21], 0
	v_mov_b32_e32 v59, v32
	v_mov_b32_e32 v58, v33
.LBB117_36:                             ;   Parent Loop BB117_2 Depth=1
                                        ; =>  This Inner Loop Header: Depth=2
	v_sub_u32_e32 v60, v58, v59
	v_lshrrev_b32_e32 v60, 1, v60
	v_add_u32_e32 v60, v60, v59
	v_add_u32_e32 v61, v8, v60
	v_xad_u32 v62, v60, -1, v34
	ds_read_u8 v61, v61
	ds_read_u8 v62, v62
	v_add_u32_e32 v63, 1, v60
	s_waitcnt lgkmcnt(0)
	v_cmp_lt_u16_e64 s[16:17], v62, v61
	v_cndmask_b32_e64 v58, v58, v60, s[16:17]
	v_cndmask_b32_e64 v59, v63, v59, s[16:17]
	v_cmp_ge_i32_e64 s[16:17], v59, v58
	s_or_b64 s[20:21], s[16:17], s[20:21]
	s_andn2_b64 exec, exec, s[20:21]
	s_cbranch_execnz .LBB117_36
; %bb.37:                               ;   in Loop: Header=BB117_2 Depth=1
	s_or_b64 exec, exec, s[20:21]
.LBB117_38:                             ;   in Loop: Header=BB117_2 Depth=1
	s_or_b64 exec, exec, s[18:19]
	v_add_u32_e32 v58, v59, v8
	v_sub_u32_e32 v59, v34, v59
	ds_read_u8 v60, v58
	ds_read_u8 v61, v59
	v_cmp_le_i32_e64 s[18:19], v9, v58
	v_cmp_gt_i32_e64 s[16:17], v10, v59
                                        ; implicit-def: $vgpr62
	s_waitcnt lgkmcnt(0)
	v_cmp_lt_u16_sdwa s[20:21], v61, v60 src0_sel:BYTE_0 src1_sel:BYTE_0
	s_or_b64 s[18:19], s[18:19], s[20:21]
	s_and_b64 s[16:17], s[16:17], s[18:19]
	s_xor_b64 s[18:19], s[16:17], -1
	s_and_saveexec_b64 s[20:21], s[18:19]
	s_xor_b64 s[18:19], exec, s[20:21]
; %bb.39:                               ;   in Loop: Header=BB117_2 Depth=1
	ds_read_u8 v62, v58 offset:1
; %bb.40:                               ;   in Loop: Header=BB117_2 Depth=1
	s_or_saveexec_b64 s[18:19], s[18:19]
	v_mov_b32_e32 v63, v61
	s_xor_b64 exec, exec, s[18:19]
	s_cbranch_execz .LBB117_42
; %bb.41:                               ;   in Loop: Header=BB117_2 Depth=1
	ds_read_u8 v63, v59 offset:1
	s_waitcnt lgkmcnt(1)
	v_mov_b32_e32 v62, v60
.LBB117_42:                             ;   in Loop: Header=BB117_2 Depth=1
	s_or_b64 exec, exec, s[18:19]
	v_add_u32_e32 v65, 1, v58
	v_add_u32_e32 v64, 1, v59
	v_cndmask_b32_e64 v65, v65, v58, s[16:17]
	v_cndmask_b32_e64 v64, v59, v64, s[16:17]
	v_cmp_ge_i32_e64 s[20:21], v65, v9
	s_waitcnt lgkmcnt(0)
	v_cmp_lt_u16_sdwa s[22:23], v63, v62 src0_sel:BYTE_0 src1_sel:BYTE_0
	v_cmp_lt_i32_e64 s[18:19], v64, v10
	s_or_b64 s[20:21], s[20:21], s[22:23]
	s_and_b64 s[18:19], s[18:19], s[20:21]
	s_xor_b64 s[20:21], s[18:19], -1
                                        ; implicit-def: $vgpr66
	s_and_saveexec_b64 s[22:23], s[20:21]
	s_xor_b64 s[20:21], exec, s[22:23]
; %bb.43:                               ;   in Loop: Header=BB117_2 Depth=1
	ds_read_u8 v66, v65 offset:1
; %bb.44:                               ;   in Loop: Header=BB117_2 Depth=1
	s_or_saveexec_b64 s[20:21], s[20:21]
	v_mov_b32_e32 v67, v63
	s_xor_b64 exec, exec, s[20:21]
	s_cbranch_execz .LBB117_46
; %bb.45:                               ;   in Loop: Header=BB117_2 Depth=1
	ds_read_u8 v67, v64 offset:1
	s_waitcnt lgkmcnt(1)
	v_mov_b32_e32 v66, v62
.LBB117_46:                             ;   in Loop: Header=BB117_2 Depth=1
	s_or_b64 exec, exec, s[20:21]
	v_add_u32_e32 v69, 1, v65
	v_add_u32_e32 v68, 1, v64
	v_cndmask_b32_e64 v69, v69, v65, s[18:19]
	v_cndmask_b32_e64 v68, v64, v68, s[18:19]
	v_cmp_ge_i32_e64 s[22:23], v69, v9
	s_waitcnt lgkmcnt(0)
	v_cmp_lt_u16_sdwa s[24:25], v67, v66 src0_sel:BYTE_0 src1_sel:BYTE_0
	v_cmp_lt_i32_e64 s[20:21], v68, v10
	s_or_b64 s[22:23], s[22:23], s[24:25]
	s_and_b64 s[20:21], s[20:21], s[22:23]
	s_xor_b64 s[22:23], s[20:21], -1
                                        ; implicit-def: $vgpr70
	s_and_saveexec_b64 s[24:25], s[22:23]
	s_xor_b64 s[22:23], exec, s[24:25]
; %bb.47:                               ;   in Loop: Header=BB117_2 Depth=1
	ds_read_u8 v70, v69 offset:1
; %bb.48:                               ;   in Loop: Header=BB117_2 Depth=1
	s_or_saveexec_b64 s[22:23], s[22:23]
	v_mov_b32_e32 v71, v67
	s_xor_b64 exec, exec, s[22:23]
	s_cbranch_execz .LBB117_50
; %bb.49:                               ;   in Loop: Header=BB117_2 Depth=1
	ds_read_u8 v71, v68 offset:1
	s_waitcnt lgkmcnt(1)
	v_mov_b32_e32 v70, v66
.LBB117_50:                             ;   in Loop: Header=BB117_2 Depth=1
	s_or_b64 exec, exec, s[22:23]
	v_add_u32_e32 v72, 1, v69
	v_cndmask_b32_e64 v66, v66, v67, s[20:21]
	v_add_u32_e32 v67, 1, v68
	v_cndmask_b32_e64 v72, v72, v69, s[20:21]
	v_cndmask_b32_e64 v67, v68, v67, s[20:21]
	;; [unrolled: 1-line block ×5, first 2 shown]
	v_cmp_ge_i32_e64 s[18:19], v72, v9
	s_waitcnt lgkmcnt(0)
	v_cmp_lt_u16_sdwa s[20:21], v71, v70 src0_sel:BYTE_0 src1_sel:BYTE_0
	v_cndmask_b32_e64 v60, v60, v61, s[16:17]
	v_cndmask_b32_e64 v58, v58, v59, s[16:17]
	v_cmp_lt_i32_e64 s[16:17], v67, v10
	s_or_b64 s[18:19], s[18:19], s[20:21]
	s_and_b64 s[16:17], s[16:17], s[18:19]
	v_cndmask_b32_e64 v61, v72, v67, s[16:17]
	s_barrier
	ds_write_b8 v1, v54
	ds_write_b8 v1, v56 offset:1
	ds_write_b8 v1, v57 offset:2
	;; [unrolled: 1-line block ×3, first 2 shown]
	s_waitcnt lgkmcnt(0)
	s_barrier
	ds_read_u8 v54, v58
	ds_read_u8 v55, v61
	;; [unrolled: 1-line block ×4, first 2 shown]
	v_cndmask_b32_e64 v59, v70, v71, s[16:17]
	s_waitcnt lgkmcnt(0)
	s_barrier
	ds_write_b8 v1, v60
	ds_write_b8 v1, v62 offset:1
	ds_write_b8 v1, v66 offset:2
	ds_write_b8 v1, v59 offset:3
	v_mov_b32_e32 v59, v35
	s_waitcnt lgkmcnt(0)
	s_barrier
	s_and_saveexec_b64 s[18:19], s[4:5]
	s_cbranch_execz .LBB117_54
; %bb.51:                               ;   in Loop: Header=BB117_2 Depth=1
	s_mov_b64 s[20:21], 0
	v_mov_b32_e32 v59, v35
	v_mov_b32_e32 v58, v36
.LBB117_52:                             ;   Parent Loop BB117_2 Depth=1
                                        ; =>  This Inner Loop Header: Depth=2
	v_sub_u32_e32 v60, v58, v59
	v_lshrrev_b32_e32 v60, 1, v60
	v_add_u32_e32 v60, v60, v59
	v_add_u32_e32 v61, v11, v60
	v_xad_u32 v62, v60, -1, v37
	ds_read_u8 v61, v61
	ds_read_u8 v62, v62
	v_add_u32_e32 v63, 1, v60
	s_waitcnt lgkmcnt(0)
	v_cmp_lt_u16_e64 s[16:17], v62, v61
	v_cndmask_b32_e64 v58, v58, v60, s[16:17]
	v_cndmask_b32_e64 v59, v63, v59, s[16:17]
	v_cmp_ge_i32_e64 s[16:17], v59, v58
	s_or_b64 s[20:21], s[16:17], s[20:21]
	s_andn2_b64 exec, exec, s[20:21]
	s_cbranch_execnz .LBB117_52
; %bb.53:                               ;   in Loop: Header=BB117_2 Depth=1
	s_or_b64 exec, exec, s[20:21]
.LBB117_54:                             ;   in Loop: Header=BB117_2 Depth=1
	s_or_b64 exec, exec, s[18:19]
	v_add_u32_e32 v58, v59, v11
	v_sub_u32_e32 v59, v37, v59
	ds_read_u8 v60, v58
	ds_read_u8 v61, v59
	v_cmp_le_i32_e64 s[18:19], v12, v58
	v_cmp_gt_i32_e64 s[16:17], v13, v59
                                        ; implicit-def: $vgpr62
	s_waitcnt lgkmcnt(0)
	v_cmp_lt_u16_sdwa s[20:21], v61, v60 src0_sel:BYTE_0 src1_sel:BYTE_0
	s_or_b64 s[18:19], s[18:19], s[20:21]
	s_and_b64 s[16:17], s[16:17], s[18:19]
	s_xor_b64 s[18:19], s[16:17], -1
	s_and_saveexec_b64 s[20:21], s[18:19]
	s_xor_b64 s[18:19], exec, s[20:21]
; %bb.55:                               ;   in Loop: Header=BB117_2 Depth=1
	ds_read_u8 v62, v58 offset:1
; %bb.56:                               ;   in Loop: Header=BB117_2 Depth=1
	s_or_saveexec_b64 s[18:19], s[18:19]
	v_mov_b32_e32 v63, v61
	s_xor_b64 exec, exec, s[18:19]
	s_cbranch_execz .LBB117_58
; %bb.57:                               ;   in Loop: Header=BB117_2 Depth=1
	ds_read_u8 v63, v59 offset:1
	s_waitcnt lgkmcnt(1)
	v_mov_b32_e32 v62, v60
.LBB117_58:                             ;   in Loop: Header=BB117_2 Depth=1
	s_or_b64 exec, exec, s[18:19]
	v_add_u32_e32 v65, 1, v58
	v_add_u32_e32 v64, 1, v59
	v_cndmask_b32_e64 v65, v65, v58, s[16:17]
	v_cndmask_b32_e64 v64, v59, v64, s[16:17]
	v_cmp_ge_i32_e64 s[20:21], v65, v12
	s_waitcnt lgkmcnt(0)
	v_cmp_lt_u16_sdwa s[22:23], v63, v62 src0_sel:BYTE_0 src1_sel:BYTE_0
	v_cmp_lt_i32_e64 s[18:19], v64, v13
	s_or_b64 s[20:21], s[20:21], s[22:23]
	s_and_b64 s[18:19], s[18:19], s[20:21]
	s_xor_b64 s[20:21], s[18:19], -1
                                        ; implicit-def: $vgpr66
	s_and_saveexec_b64 s[22:23], s[20:21]
	s_xor_b64 s[20:21], exec, s[22:23]
; %bb.59:                               ;   in Loop: Header=BB117_2 Depth=1
	ds_read_u8 v66, v65 offset:1
; %bb.60:                               ;   in Loop: Header=BB117_2 Depth=1
	s_or_saveexec_b64 s[20:21], s[20:21]
	v_mov_b32_e32 v67, v63
	s_xor_b64 exec, exec, s[20:21]
	s_cbranch_execz .LBB117_62
; %bb.61:                               ;   in Loop: Header=BB117_2 Depth=1
	ds_read_u8 v67, v64 offset:1
	s_waitcnt lgkmcnt(1)
	v_mov_b32_e32 v66, v62
.LBB117_62:                             ;   in Loop: Header=BB117_2 Depth=1
	s_or_b64 exec, exec, s[20:21]
	v_add_u32_e32 v69, 1, v65
	v_add_u32_e32 v68, 1, v64
	v_cndmask_b32_e64 v69, v69, v65, s[18:19]
	v_cndmask_b32_e64 v68, v64, v68, s[18:19]
	v_cmp_ge_i32_e64 s[22:23], v69, v12
	s_waitcnt lgkmcnt(0)
	v_cmp_lt_u16_sdwa s[24:25], v67, v66 src0_sel:BYTE_0 src1_sel:BYTE_0
	v_cmp_lt_i32_e64 s[20:21], v68, v13
	s_or_b64 s[22:23], s[22:23], s[24:25]
	s_and_b64 s[20:21], s[20:21], s[22:23]
	s_xor_b64 s[22:23], s[20:21], -1
                                        ; implicit-def: $vgpr70
	s_and_saveexec_b64 s[24:25], s[22:23]
	s_xor_b64 s[22:23], exec, s[24:25]
; %bb.63:                               ;   in Loop: Header=BB117_2 Depth=1
	ds_read_u8 v70, v69 offset:1
; %bb.64:                               ;   in Loop: Header=BB117_2 Depth=1
	s_or_saveexec_b64 s[22:23], s[22:23]
	v_mov_b32_e32 v71, v67
	s_xor_b64 exec, exec, s[22:23]
	s_cbranch_execz .LBB117_66
; %bb.65:                               ;   in Loop: Header=BB117_2 Depth=1
	ds_read_u8 v71, v68 offset:1
	s_waitcnt lgkmcnt(1)
	v_mov_b32_e32 v70, v66
.LBB117_66:                             ;   in Loop: Header=BB117_2 Depth=1
	s_or_b64 exec, exec, s[22:23]
	v_add_u32_e32 v72, 1, v69
	v_cndmask_b32_e64 v66, v66, v67, s[20:21]
	v_add_u32_e32 v67, 1, v68
	v_cndmask_b32_e64 v72, v72, v69, s[20:21]
	v_cndmask_b32_e64 v67, v68, v67, s[20:21]
	v_cndmask_b32_e64 v68, v69, v68, s[20:21]
	v_cndmask_b32_e64 v62, v62, v63, s[18:19]
	v_cndmask_b32_e64 v63, v65, v64, s[18:19]
	v_cmp_ge_i32_e64 s[18:19], v72, v12
	s_waitcnt lgkmcnt(0)
	v_cmp_lt_u16_sdwa s[20:21], v71, v70 src0_sel:BYTE_0 src1_sel:BYTE_0
	v_cndmask_b32_e64 v60, v60, v61, s[16:17]
	v_cndmask_b32_e64 v58, v58, v59, s[16:17]
	v_cmp_lt_i32_e64 s[16:17], v67, v13
	s_or_b64 s[18:19], s[18:19], s[20:21]
	s_and_b64 s[16:17], s[16:17], s[18:19]
	v_cndmask_b32_e64 v61, v72, v67, s[16:17]
	s_barrier
	ds_write_b8 v1, v54
	ds_write_b8 v1, v56 offset:1
	ds_write_b8 v1, v57 offset:2
	;; [unrolled: 1-line block ×3, first 2 shown]
	s_waitcnt lgkmcnt(0)
	s_barrier
	ds_read_u8 v54, v58
	ds_read_u8 v55, v61
	;; [unrolled: 1-line block ×4, first 2 shown]
	v_cndmask_b32_e64 v59, v70, v71, s[16:17]
	s_waitcnt lgkmcnt(0)
	s_barrier
	ds_write_b8 v1, v60
	ds_write_b8 v1, v62 offset:1
	ds_write_b8 v1, v66 offset:2
	;; [unrolled: 1-line block ×3, first 2 shown]
	v_mov_b32_e32 v59, v38
	s_waitcnt lgkmcnt(0)
	s_barrier
	s_and_saveexec_b64 s[18:19], s[6:7]
	s_cbranch_execz .LBB117_70
; %bb.67:                               ;   in Loop: Header=BB117_2 Depth=1
	s_mov_b64 s[20:21], 0
	v_mov_b32_e32 v59, v38
	v_mov_b32_e32 v58, v39
.LBB117_68:                             ;   Parent Loop BB117_2 Depth=1
                                        ; =>  This Inner Loop Header: Depth=2
	v_sub_u32_e32 v60, v58, v59
	v_lshrrev_b32_e32 v60, 1, v60
	v_add_u32_e32 v60, v60, v59
	v_add_u32_e32 v61, v14, v60
	v_xad_u32 v62, v60, -1, v40
	ds_read_u8 v61, v61
	ds_read_u8 v62, v62
	v_add_u32_e32 v63, 1, v60
	s_waitcnt lgkmcnt(0)
	v_cmp_lt_u16_e64 s[16:17], v62, v61
	v_cndmask_b32_e64 v58, v58, v60, s[16:17]
	v_cndmask_b32_e64 v59, v63, v59, s[16:17]
	v_cmp_ge_i32_e64 s[16:17], v59, v58
	s_or_b64 s[20:21], s[16:17], s[20:21]
	s_andn2_b64 exec, exec, s[20:21]
	s_cbranch_execnz .LBB117_68
; %bb.69:                               ;   in Loop: Header=BB117_2 Depth=1
	s_or_b64 exec, exec, s[20:21]
.LBB117_70:                             ;   in Loop: Header=BB117_2 Depth=1
	s_or_b64 exec, exec, s[18:19]
	v_add_u32_e32 v58, v59, v14
	v_sub_u32_e32 v59, v40, v59
	ds_read_u8 v60, v58
	ds_read_u8 v61, v59
	v_cmp_le_i32_e64 s[18:19], v15, v58
	v_cmp_gt_i32_e64 s[16:17], v16, v59
                                        ; implicit-def: $vgpr62
	s_waitcnt lgkmcnt(0)
	v_cmp_lt_u16_sdwa s[20:21], v61, v60 src0_sel:BYTE_0 src1_sel:BYTE_0
	s_or_b64 s[18:19], s[18:19], s[20:21]
	s_and_b64 s[16:17], s[16:17], s[18:19]
	s_xor_b64 s[18:19], s[16:17], -1
	s_and_saveexec_b64 s[20:21], s[18:19]
	s_xor_b64 s[18:19], exec, s[20:21]
; %bb.71:                               ;   in Loop: Header=BB117_2 Depth=1
	ds_read_u8 v62, v58 offset:1
; %bb.72:                               ;   in Loop: Header=BB117_2 Depth=1
	s_or_saveexec_b64 s[18:19], s[18:19]
	v_mov_b32_e32 v63, v61
	s_xor_b64 exec, exec, s[18:19]
	s_cbranch_execz .LBB117_74
; %bb.73:                               ;   in Loop: Header=BB117_2 Depth=1
	ds_read_u8 v63, v59 offset:1
	s_waitcnt lgkmcnt(1)
	v_mov_b32_e32 v62, v60
.LBB117_74:                             ;   in Loop: Header=BB117_2 Depth=1
	s_or_b64 exec, exec, s[18:19]
	v_add_u32_e32 v65, 1, v58
	v_add_u32_e32 v64, 1, v59
	v_cndmask_b32_e64 v65, v65, v58, s[16:17]
	v_cndmask_b32_e64 v64, v59, v64, s[16:17]
	v_cmp_ge_i32_e64 s[20:21], v65, v15
	s_waitcnt lgkmcnt(0)
	v_cmp_lt_u16_sdwa s[22:23], v63, v62 src0_sel:BYTE_0 src1_sel:BYTE_0
	v_cmp_lt_i32_e64 s[18:19], v64, v16
	s_or_b64 s[20:21], s[20:21], s[22:23]
	s_and_b64 s[18:19], s[18:19], s[20:21]
	s_xor_b64 s[20:21], s[18:19], -1
                                        ; implicit-def: $vgpr66
	s_and_saveexec_b64 s[22:23], s[20:21]
	s_xor_b64 s[20:21], exec, s[22:23]
; %bb.75:                               ;   in Loop: Header=BB117_2 Depth=1
	ds_read_u8 v66, v65 offset:1
; %bb.76:                               ;   in Loop: Header=BB117_2 Depth=1
	s_or_saveexec_b64 s[20:21], s[20:21]
	v_mov_b32_e32 v67, v63
	s_xor_b64 exec, exec, s[20:21]
	s_cbranch_execz .LBB117_78
; %bb.77:                               ;   in Loop: Header=BB117_2 Depth=1
	ds_read_u8 v67, v64 offset:1
	s_waitcnt lgkmcnt(1)
	v_mov_b32_e32 v66, v62
.LBB117_78:                             ;   in Loop: Header=BB117_2 Depth=1
	s_or_b64 exec, exec, s[20:21]
	v_add_u32_e32 v69, 1, v65
	v_add_u32_e32 v68, 1, v64
	v_cndmask_b32_e64 v69, v69, v65, s[18:19]
	v_cndmask_b32_e64 v68, v64, v68, s[18:19]
	v_cmp_ge_i32_e64 s[22:23], v69, v15
	s_waitcnt lgkmcnt(0)
	v_cmp_lt_u16_sdwa s[24:25], v67, v66 src0_sel:BYTE_0 src1_sel:BYTE_0
	v_cmp_lt_i32_e64 s[20:21], v68, v16
	s_or_b64 s[22:23], s[22:23], s[24:25]
	s_and_b64 s[20:21], s[20:21], s[22:23]
	s_xor_b64 s[22:23], s[20:21], -1
                                        ; implicit-def: $vgpr70
	s_and_saveexec_b64 s[24:25], s[22:23]
	s_xor_b64 s[22:23], exec, s[24:25]
; %bb.79:                               ;   in Loop: Header=BB117_2 Depth=1
	ds_read_u8 v70, v69 offset:1
; %bb.80:                               ;   in Loop: Header=BB117_2 Depth=1
	s_or_saveexec_b64 s[22:23], s[22:23]
	v_mov_b32_e32 v71, v67
	s_xor_b64 exec, exec, s[22:23]
	s_cbranch_execz .LBB117_82
; %bb.81:                               ;   in Loop: Header=BB117_2 Depth=1
	ds_read_u8 v71, v68 offset:1
	s_waitcnt lgkmcnt(1)
	v_mov_b32_e32 v70, v66
.LBB117_82:                             ;   in Loop: Header=BB117_2 Depth=1
	s_or_b64 exec, exec, s[22:23]
	v_add_u32_e32 v72, 1, v69
	v_cndmask_b32_e64 v66, v66, v67, s[20:21]
	v_add_u32_e32 v67, 1, v68
	v_cndmask_b32_e64 v72, v72, v69, s[20:21]
	v_cndmask_b32_e64 v67, v68, v67, s[20:21]
	;; [unrolled: 1-line block ×5, first 2 shown]
	v_cmp_ge_i32_e64 s[18:19], v72, v15
	s_waitcnt lgkmcnt(0)
	v_cmp_lt_u16_sdwa s[20:21], v71, v70 src0_sel:BYTE_0 src1_sel:BYTE_0
	v_cndmask_b32_e64 v60, v60, v61, s[16:17]
	v_cndmask_b32_e64 v58, v58, v59, s[16:17]
	v_cmp_lt_i32_e64 s[16:17], v67, v16
	s_or_b64 s[18:19], s[18:19], s[20:21]
	s_and_b64 s[16:17], s[16:17], s[18:19]
	v_cndmask_b32_e64 v61, v72, v67, s[16:17]
	s_barrier
	ds_write_b8 v1, v54
	ds_write_b8 v1, v56 offset:1
	ds_write_b8 v1, v57 offset:2
	;; [unrolled: 1-line block ×3, first 2 shown]
	s_waitcnt lgkmcnt(0)
	s_barrier
	ds_read_u8 v54, v58
	ds_read_u8 v55, v61
	ds_read_u8 v56, v63
	ds_read_u8 v57, v68
	v_cndmask_b32_e64 v59, v70, v71, s[16:17]
	s_waitcnt lgkmcnt(0)
	s_barrier
	ds_write_b8 v1, v60
	ds_write_b8 v1, v62 offset:1
	ds_write_b8 v1, v66 offset:2
	;; [unrolled: 1-line block ×3, first 2 shown]
	v_mov_b32_e32 v59, v41
	s_waitcnt lgkmcnt(0)
	s_barrier
	s_and_saveexec_b64 s[18:19], s[8:9]
	s_cbranch_execz .LBB117_86
; %bb.83:                               ;   in Loop: Header=BB117_2 Depth=1
	s_mov_b64 s[20:21], 0
	v_mov_b32_e32 v59, v41
	v_mov_b32_e32 v58, v42
.LBB117_84:                             ;   Parent Loop BB117_2 Depth=1
                                        ; =>  This Inner Loop Header: Depth=2
	v_sub_u32_e32 v60, v58, v59
	v_lshrrev_b32_e32 v60, 1, v60
	v_add_u32_e32 v60, v60, v59
	v_add_u32_e32 v61, v17, v60
	v_xad_u32 v62, v60, -1, v43
	ds_read_u8 v61, v61
	ds_read_u8 v62, v62
	v_add_u32_e32 v63, 1, v60
	s_waitcnt lgkmcnt(0)
	v_cmp_lt_u16_e64 s[16:17], v62, v61
	v_cndmask_b32_e64 v58, v58, v60, s[16:17]
	v_cndmask_b32_e64 v59, v63, v59, s[16:17]
	v_cmp_ge_i32_e64 s[16:17], v59, v58
	s_or_b64 s[20:21], s[16:17], s[20:21]
	s_andn2_b64 exec, exec, s[20:21]
	s_cbranch_execnz .LBB117_84
; %bb.85:                               ;   in Loop: Header=BB117_2 Depth=1
	s_or_b64 exec, exec, s[20:21]
.LBB117_86:                             ;   in Loop: Header=BB117_2 Depth=1
	s_or_b64 exec, exec, s[18:19]
	v_add_u32_e32 v58, v59, v17
	v_sub_u32_e32 v59, v43, v59
	ds_read_u8 v60, v58
	ds_read_u8 v61, v59
	v_cmp_le_i32_e64 s[18:19], v18, v58
	v_cmp_gt_i32_e64 s[16:17], v19, v59
                                        ; implicit-def: $vgpr62
	s_waitcnt lgkmcnt(0)
	v_cmp_lt_u16_sdwa s[20:21], v61, v60 src0_sel:BYTE_0 src1_sel:BYTE_0
	s_or_b64 s[18:19], s[18:19], s[20:21]
	s_and_b64 s[16:17], s[16:17], s[18:19]
	s_xor_b64 s[18:19], s[16:17], -1
	s_and_saveexec_b64 s[20:21], s[18:19]
	s_xor_b64 s[18:19], exec, s[20:21]
; %bb.87:                               ;   in Loop: Header=BB117_2 Depth=1
	ds_read_u8 v62, v58 offset:1
; %bb.88:                               ;   in Loop: Header=BB117_2 Depth=1
	s_or_saveexec_b64 s[18:19], s[18:19]
	v_mov_b32_e32 v63, v61
	s_xor_b64 exec, exec, s[18:19]
	s_cbranch_execz .LBB117_90
; %bb.89:                               ;   in Loop: Header=BB117_2 Depth=1
	ds_read_u8 v63, v59 offset:1
	s_waitcnt lgkmcnt(1)
	v_mov_b32_e32 v62, v60
.LBB117_90:                             ;   in Loop: Header=BB117_2 Depth=1
	s_or_b64 exec, exec, s[18:19]
	v_add_u32_e32 v65, 1, v58
	v_add_u32_e32 v64, 1, v59
	v_cndmask_b32_e64 v65, v65, v58, s[16:17]
	v_cndmask_b32_e64 v64, v59, v64, s[16:17]
	v_cmp_ge_i32_e64 s[20:21], v65, v18
	s_waitcnt lgkmcnt(0)
	v_cmp_lt_u16_sdwa s[22:23], v63, v62 src0_sel:BYTE_0 src1_sel:BYTE_0
	v_cmp_lt_i32_e64 s[18:19], v64, v19
	s_or_b64 s[20:21], s[20:21], s[22:23]
	s_and_b64 s[18:19], s[18:19], s[20:21]
	s_xor_b64 s[20:21], s[18:19], -1
                                        ; implicit-def: $vgpr66
	s_and_saveexec_b64 s[22:23], s[20:21]
	s_xor_b64 s[20:21], exec, s[22:23]
; %bb.91:                               ;   in Loop: Header=BB117_2 Depth=1
	ds_read_u8 v66, v65 offset:1
; %bb.92:                               ;   in Loop: Header=BB117_2 Depth=1
	s_or_saveexec_b64 s[20:21], s[20:21]
	v_mov_b32_e32 v67, v63
	s_xor_b64 exec, exec, s[20:21]
	s_cbranch_execz .LBB117_94
; %bb.93:                               ;   in Loop: Header=BB117_2 Depth=1
	ds_read_u8 v67, v64 offset:1
	s_waitcnt lgkmcnt(1)
	v_mov_b32_e32 v66, v62
.LBB117_94:                             ;   in Loop: Header=BB117_2 Depth=1
	s_or_b64 exec, exec, s[20:21]
	v_add_u32_e32 v69, 1, v65
	v_add_u32_e32 v68, 1, v64
	v_cndmask_b32_e64 v69, v69, v65, s[18:19]
	v_cndmask_b32_e64 v68, v64, v68, s[18:19]
	v_cmp_ge_i32_e64 s[22:23], v69, v18
	s_waitcnt lgkmcnt(0)
	v_cmp_lt_u16_sdwa s[24:25], v67, v66 src0_sel:BYTE_0 src1_sel:BYTE_0
	v_cmp_lt_i32_e64 s[20:21], v68, v19
	s_or_b64 s[22:23], s[22:23], s[24:25]
	s_and_b64 s[20:21], s[20:21], s[22:23]
	s_xor_b64 s[22:23], s[20:21], -1
                                        ; implicit-def: $vgpr70
	s_and_saveexec_b64 s[24:25], s[22:23]
	s_xor_b64 s[22:23], exec, s[24:25]
; %bb.95:                               ;   in Loop: Header=BB117_2 Depth=1
	ds_read_u8 v70, v69 offset:1
; %bb.96:                               ;   in Loop: Header=BB117_2 Depth=1
	s_or_saveexec_b64 s[22:23], s[22:23]
	v_mov_b32_e32 v71, v67
	s_xor_b64 exec, exec, s[22:23]
	s_cbranch_execz .LBB117_98
; %bb.97:                               ;   in Loop: Header=BB117_2 Depth=1
	ds_read_u8 v71, v68 offset:1
	s_waitcnt lgkmcnt(1)
	v_mov_b32_e32 v70, v66
.LBB117_98:                             ;   in Loop: Header=BB117_2 Depth=1
	s_or_b64 exec, exec, s[22:23]
	v_add_u32_e32 v72, 1, v69
	v_cndmask_b32_e64 v66, v66, v67, s[20:21]
	v_add_u32_e32 v67, 1, v68
	v_cndmask_b32_e64 v72, v72, v69, s[20:21]
	v_cndmask_b32_e64 v67, v68, v67, s[20:21]
	;; [unrolled: 1-line block ×5, first 2 shown]
	v_cmp_ge_i32_e64 s[18:19], v72, v18
	s_waitcnt lgkmcnt(0)
	v_cmp_lt_u16_sdwa s[20:21], v71, v70 src0_sel:BYTE_0 src1_sel:BYTE_0
	v_cndmask_b32_e64 v60, v60, v61, s[16:17]
	v_cndmask_b32_e64 v58, v58, v59, s[16:17]
	v_cmp_lt_i32_e64 s[16:17], v67, v19
	s_or_b64 s[18:19], s[18:19], s[20:21]
	s_and_b64 s[16:17], s[16:17], s[18:19]
	v_cndmask_b32_e64 v61, v72, v67, s[16:17]
	s_barrier
	ds_write_b8 v1, v54
	ds_write_b8 v1, v56 offset:1
	ds_write_b8 v1, v57 offset:2
	;; [unrolled: 1-line block ×3, first 2 shown]
	s_waitcnt lgkmcnt(0)
	s_barrier
	ds_read_u8 v54, v58
	ds_read_u8 v55, v61
	;; [unrolled: 1-line block ×4, first 2 shown]
	v_cndmask_b32_e64 v59, v70, v71, s[16:17]
	s_waitcnt lgkmcnt(0)
	s_barrier
	ds_write_b8 v1, v60
	ds_write_b8 v1, v62 offset:1
	ds_write_b8 v1, v66 offset:2
	;; [unrolled: 1-line block ×3, first 2 shown]
	v_mov_b32_e32 v59, v44
	s_waitcnt lgkmcnt(0)
	s_barrier
	s_and_saveexec_b64 s[18:19], s[10:11]
	s_cbranch_execz .LBB117_102
; %bb.99:                               ;   in Loop: Header=BB117_2 Depth=1
	s_mov_b64 s[20:21], 0
	v_mov_b32_e32 v59, v44
	v_mov_b32_e32 v58, v45
.LBB117_100:                            ;   Parent Loop BB117_2 Depth=1
                                        ; =>  This Inner Loop Header: Depth=2
	v_sub_u32_e32 v60, v58, v59
	v_lshrrev_b32_e32 v60, 1, v60
	v_add_u32_e32 v60, v60, v59
	v_add_u32_e32 v61, v20, v60
	v_xad_u32 v62, v60, -1, v46
	ds_read_u8 v61, v61
	ds_read_u8 v62, v62
	v_add_u32_e32 v63, 1, v60
	s_waitcnt lgkmcnt(0)
	v_cmp_lt_u16_e64 s[16:17], v62, v61
	v_cndmask_b32_e64 v58, v58, v60, s[16:17]
	v_cndmask_b32_e64 v59, v63, v59, s[16:17]
	v_cmp_ge_i32_e64 s[16:17], v59, v58
	s_or_b64 s[20:21], s[16:17], s[20:21]
	s_andn2_b64 exec, exec, s[20:21]
	s_cbranch_execnz .LBB117_100
; %bb.101:                              ;   in Loop: Header=BB117_2 Depth=1
	s_or_b64 exec, exec, s[20:21]
.LBB117_102:                            ;   in Loop: Header=BB117_2 Depth=1
	s_or_b64 exec, exec, s[18:19]
	v_add_u32_e32 v58, v59, v20
	v_sub_u32_e32 v59, v46, v59
	ds_read_u8 v60, v58
	ds_read_u8 v61, v59
	v_cmp_le_i32_e64 s[18:19], v21, v58
	v_cmp_gt_i32_e64 s[16:17], v22, v59
                                        ; implicit-def: $vgpr62
	s_waitcnt lgkmcnt(0)
	v_cmp_lt_u16_sdwa s[20:21], v61, v60 src0_sel:BYTE_0 src1_sel:BYTE_0
	s_or_b64 s[18:19], s[18:19], s[20:21]
	s_and_b64 s[16:17], s[16:17], s[18:19]
	s_xor_b64 s[18:19], s[16:17], -1
	s_and_saveexec_b64 s[20:21], s[18:19]
	s_xor_b64 s[18:19], exec, s[20:21]
; %bb.103:                              ;   in Loop: Header=BB117_2 Depth=1
	ds_read_u8 v62, v58 offset:1
; %bb.104:                              ;   in Loop: Header=BB117_2 Depth=1
	s_or_saveexec_b64 s[18:19], s[18:19]
	v_mov_b32_e32 v63, v61
	s_xor_b64 exec, exec, s[18:19]
	s_cbranch_execz .LBB117_106
; %bb.105:                              ;   in Loop: Header=BB117_2 Depth=1
	ds_read_u8 v63, v59 offset:1
	s_waitcnt lgkmcnt(1)
	v_mov_b32_e32 v62, v60
.LBB117_106:                            ;   in Loop: Header=BB117_2 Depth=1
	s_or_b64 exec, exec, s[18:19]
	v_add_u32_e32 v65, 1, v58
	v_add_u32_e32 v64, 1, v59
	v_cndmask_b32_e64 v65, v65, v58, s[16:17]
	v_cndmask_b32_e64 v64, v59, v64, s[16:17]
	v_cmp_ge_i32_e64 s[20:21], v65, v21
	s_waitcnt lgkmcnt(0)
	v_cmp_lt_u16_sdwa s[22:23], v63, v62 src0_sel:BYTE_0 src1_sel:BYTE_0
	v_cmp_lt_i32_e64 s[18:19], v64, v22
	s_or_b64 s[20:21], s[20:21], s[22:23]
	s_and_b64 s[18:19], s[18:19], s[20:21]
	s_xor_b64 s[20:21], s[18:19], -1
                                        ; implicit-def: $vgpr66
	s_and_saveexec_b64 s[22:23], s[20:21]
	s_xor_b64 s[20:21], exec, s[22:23]
; %bb.107:                              ;   in Loop: Header=BB117_2 Depth=1
	ds_read_u8 v66, v65 offset:1
; %bb.108:                              ;   in Loop: Header=BB117_2 Depth=1
	s_or_saveexec_b64 s[20:21], s[20:21]
	v_mov_b32_e32 v67, v63
	s_xor_b64 exec, exec, s[20:21]
	s_cbranch_execz .LBB117_110
; %bb.109:                              ;   in Loop: Header=BB117_2 Depth=1
	ds_read_u8 v67, v64 offset:1
	s_waitcnt lgkmcnt(1)
	v_mov_b32_e32 v66, v62
.LBB117_110:                            ;   in Loop: Header=BB117_2 Depth=1
	s_or_b64 exec, exec, s[20:21]
	v_add_u32_e32 v69, 1, v65
	v_add_u32_e32 v68, 1, v64
	v_cndmask_b32_e64 v69, v69, v65, s[18:19]
	v_cndmask_b32_e64 v68, v64, v68, s[18:19]
	v_cmp_ge_i32_e64 s[22:23], v69, v21
	s_waitcnt lgkmcnt(0)
	v_cmp_lt_u16_sdwa s[24:25], v67, v66 src0_sel:BYTE_0 src1_sel:BYTE_0
	v_cmp_lt_i32_e64 s[20:21], v68, v22
	s_or_b64 s[22:23], s[22:23], s[24:25]
	s_and_b64 s[20:21], s[20:21], s[22:23]
	s_xor_b64 s[22:23], s[20:21], -1
                                        ; implicit-def: $vgpr70
	s_and_saveexec_b64 s[24:25], s[22:23]
	s_xor_b64 s[22:23], exec, s[24:25]
; %bb.111:                              ;   in Loop: Header=BB117_2 Depth=1
	ds_read_u8 v70, v69 offset:1
; %bb.112:                              ;   in Loop: Header=BB117_2 Depth=1
	s_or_saveexec_b64 s[22:23], s[22:23]
	v_mov_b32_e32 v71, v67
	s_xor_b64 exec, exec, s[22:23]
	s_cbranch_execz .LBB117_114
; %bb.113:                              ;   in Loop: Header=BB117_2 Depth=1
	ds_read_u8 v71, v68 offset:1
	s_waitcnt lgkmcnt(1)
	v_mov_b32_e32 v70, v66
.LBB117_114:                            ;   in Loop: Header=BB117_2 Depth=1
	s_or_b64 exec, exec, s[22:23]
	v_add_u32_e32 v72, 1, v69
	v_cndmask_b32_e64 v66, v66, v67, s[20:21]
	v_add_u32_e32 v67, 1, v68
	v_cndmask_b32_e64 v72, v72, v69, s[20:21]
	v_cndmask_b32_e64 v67, v68, v67, s[20:21]
	;; [unrolled: 1-line block ×5, first 2 shown]
	v_cmp_ge_i32_e64 s[18:19], v72, v21
	s_waitcnt lgkmcnt(0)
	v_cmp_lt_u16_sdwa s[20:21], v71, v70 src0_sel:BYTE_0 src1_sel:BYTE_0
	v_cndmask_b32_e64 v60, v60, v61, s[16:17]
	v_cndmask_b32_e64 v58, v58, v59, s[16:17]
	v_cmp_lt_i32_e64 s[16:17], v67, v22
	s_or_b64 s[18:19], s[18:19], s[20:21]
	s_and_b64 s[16:17], s[16:17], s[18:19]
	v_cndmask_b32_e64 v61, v72, v67, s[16:17]
	s_barrier
	ds_write_b8 v1, v54
	ds_write_b8 v1, v56 offset:1
	ds_write_b8 v1, v57 offset:2
	;; [unrolled: 1-line block ×3, first 2 shown]
	s_waitcnt lgkmcnt(0)
	s_barrier
	ds_read_u8 v54, v58
	ds_read_u8 v55, v61
	;; [unrolled: 1-line block ×4, first 2 shown]
	v_cndmask_b32_e64 v59, v70, v71, s[16:17]
	s_waitcnt lgkmcnt(0)
	s_barrier
	ds_write_b8 v1, v60
	ds_write_b8 v1, v62 offset:1
	ds_write_b8 v1, v66 offset:2
	;; [unrolled: 1-line block ×3, first 2 shown]
	v_mov_b32_e32 v59, v47
	s_waitcnt lgkmcnt(0)
	s_barrier
	s_and_saveexec_b64 s[18:19], s[12:13]
	s_cbranch_execz .LBB117_118
; %bb.115:                              ;   in Loop: Header=BB117_2 Depth=1
	s_mov_b64 s[20:21], 0
	v_mov_b32_e32 v59, v47
	v_mov_b32_e32 v58, v48
.LBB117_116:                            ;   Parent Loop BB117_2 Depth=1
                                        ; =>  This Inner Loop Header: Depth=2
	v_sub_u32_e32 v60, v58, v59
	v_lshrrev_b32_e32 v60, 1, v60
	v_add_u32_e32 v60, v60, v59
	v_add_u32_e32 v61, v23, v60
	v_xad_u32 v62, v60, -1, v49
	ds_read_u8 v61, v61
	ds_read_u8 v62, v62
	v_add_u32_e32 v63, 1, v60
	s_waitcnt lgkmcnt(0)
	v_cmp_lt_u16_e64 s[16:17], v62, v61
	v_cndmask_b32_e64 v58, v58, v60, s[16:17]
	v_cndmask_b32_e64 v59, v63, v59, s[16:17]
	v_cmp_ge_i32_e64 s[16:17], v59, v58
	s_or_b64 s[20:21], s[16:17], s[20:21]
	s_andn2_b64 exec, exec, s[20:21]
	s_cbranch_execnz .LBB117_116
; %bb.117:                              ;   in Loop: Header=BB117_2 Depth=1
	s_or_b64 exec, exec, s[20:21]
.LBB117_118:                            ;   in Loop: Header=BB117_2 Depth=1
	s_or_b64 exec, exec, s[18:19]
	v_add_u32_e32 v58, v59, v23
	v_sub_u32_e32 v59, v49, v59
	ds_read_u8 v60, v58
	ds_read_u8 v61, v59
	v_cmp_le_i32_e64 s[18:19], v24, v58
	v_cmp_gt_i32_e64 s[16:17], v25, v59
                                        ; implicit-def: $vgpr62
	s_waitcnt lgkmcnt(0)
	v_cmp_lt_u16_sdwa s[20:21], v61, v60 src0_sel:BYTE_0 src1_sel:BYTE_0
	s_or_b64 s[18:19], s[18:19], s[20:21]
	s_and_b64 s[16:17], s[16:17], s[18:19]
	s_xor_b64 s[18:19], s[16:17], -1
	s_and_saveexec_b64 s[20:21], s[18:19]
	s_xor_b64 s[18:19], exec, s[20:21]
; %bb.119:                              ;   in Loop: Header=BB117_2 Depth=1
	ds_read_u8 v62, v58 offset:1
; %bb.120:                              ;   in Loop: Header=BB117_2 Depth=1
	s_or_saveexec_b64 s[18:19], s[18:19]
	v_mov_b32_e32 v63, v61
	s_xor_b64 exec, exec, s[18:19]
	s_cbranch_execz .LBB117_122
; %bb.121:                              ;   in Loop: Header=BB117_2 Depth=1
	ds_read_u8 v63, v59 offset:1
	s_waitcnt lgkmcnt(1)
	v_mov_b32_e32 v62, v60
.LBB117_122:                            ;   in Loop: Header=BB117_2 Depth=1
	s_or_b64 exec, exec, s[18:19]
	v_add_u32_e32 v65, 1, v58
	v_add_u32_e32 v64, 1, v59
	v_cndmask_b32_e64 v65, v65, v58, s[16:17]
	v_cndmask_b32_e64 v64, v59, v64, s[16:17]
	v_cmp_ge_i32_e64 s[20:21], v65, v24
	s_waitcnt lgkmcnt(0)
	v_cmp_lt_u16_sdwa s[22:23], v63, v62 src0_sel:BYTE_0 src1_sel:BYTE_0
	v_cmp_lt_i32_e64 s[18:19], v64, v25
	s_or_b64 s[20:21], s[20:21], s[22:23]
	s_and_b64 s[18:19], s[18:19], s[20:21]
	s_xor_b64 s[20:21], s[18:19], -1
                                        ; implicit-def: $vgpr66
	s_and_saveexec_b64 s[22:23], s[20:21]
	s_xor_b64 s[20:21], exec, s[22:23]
; %bb.123:                              ;   in Loop: Header=BB117_2 Depth=1
	ds_read_u8 v66, v65 offset:1
; %bb.124:                              ;   in Loop: Header=BB117_2 Depth=1
	s_or_saveexec_b64 s[20:21], s[20:21]
	v_mov_b32_e32 v67, v63
	s_xor_b64 exec, exec, s[20:21]
	s_cbranch_execz .LBB117_126
; %bb.125:                              ;   in Loop: Header=BB117_2 Depth=1
	ds_read_u8 v67, v64 offset:1
	s_waitcnt lgkmcnt(1)
	v_mov_b32_e32 v66, v62
.LBB117_126:                            ;   in Loop: Header=BB117_2 Depth=1
	s_or_b64 exec, exec, s[20:21]
	v_add_u32_e32 v69, 1, v65
	v_add_u32_e32 v68, 1, v64
	v_cndmask_b32_e64 v69, v69, v65, s[18:19]
	v_cndmask_b32_e64 v68, v64, v68, s[18:19]
	v_cmp_ge_i32_e64 s[22:23], v69, v24
	s_waitcnt lgkmcnt(0)
	v_cmp_lt_u16_sdwa s[24:25], v67, v66 src0_sel:BYTE_0 src1_sel:BYTE_0
	v_cmp_lt_i32_e64 s[20:21], v68, v25
	s_or_b64 s[22:23], s[22:23], s[24:25]
	s_and_b64 s[20:21], s[20:21], s[22:23]
	s_xor_b64 s[22:23], s[20:21], -1
                                        ; implicit-def: $vgpr70
	s_and_saveexec_b64 s[24:25], s[22:23]
	s_xor_b64 s[22:23], exec, s[24:25]
; %bb.127:                              ;   in Loop: Header=BB117_2 Depth=1
	ds_read_u8 v70, v69 offset:1
; %bb.128:                              ;   in Loop: Header=BB117_2 Depth=1
	s_or_saveexec_b64 s[22:23], s[22:23]
	v_mov_b32_e32 v71, v67
	s_xor_b64 exec, exec, s[22:23]
	s_cbranch_execz .LBB117_130
; %bb.129:                              ;   in Loop: Header=BB117_2 Depth=1
	ds_read_u8 v71, v68 offset:1
	s_waitcnt lgkmcnt(1)
	v_mov_b32_e32 v70, v66
.LBB117_130:                            ;   in Loop: Header=BB117_2 Depth=1
	s_or_b64 exec, exec, s[22:23]
	v_add_u32_e32 v72, 1, v69
	v_cndmask_b32_e64 v66, v66, v67, s[20:21]
	v_add_u32_e32 v67, 1, v68
	v_cndmask_b32_e64 v72, v72, v69, s[20:21]
	v_cndmask_b32_e64 v67, v68, v67, s[20:21]
	;; [unrolled: 1-line block ×5, first 2 shown]
	v_cmp_ge_i32_e64 s[18:19], v72, v24
	s_waitcnt lgkmcnt(0)
	v_cmp_lt_u16_sdwa s[20:21], v71, v70 src0_sel:BYTE_0 src1_sel:BYTE_0
	v_cndmask_b32_e64 v60, v60, v61, s[16:17]
	v_cndmask_b32_e64 v58, v58, v59, s[16:17]
	v_cmp_lt_i32_e64 s[16:17], v67, v25
	s_or_b64 s[18:19], s[18:19], s[20:21]
	s_and_b64 s[16:17], s[16:17], s[18:19]
	v_cndmask_b32_e64 v61, v72, v67, s[16:17]
	s_barrier
	ds_write_b8 v1, v54
	ds_write_b8 v1, v56 offset:1
	ds_write_b8 v1, v57 offset:2
	;; [unrolled: 1-line block ×3, first 2 shown]
	s_waitcnt lgkmcnt(0)
	s_barrier
	ds_read_u8 v54, v58
	ds_read_u8 v55, v61
	;; [unrolled: 1-line block ×4, first 2 shown]
	v_mov_b32_e32 v58, v51
	v_cndmask_b32_e64 v59, v70, v71, s[16:17]
	s_waitcnt lgkmcnt(0)
	s_barrier
	ds_write_b8 v1, v60
	ds_write_b8 v1, v62 offset:1
	ds_write_b8 v1, v66 offset:2
	;; [unrolled: 1-line block ×3, first 2 shown]
	s_waitcnt lgkmcnt(0)
	s_barrier
	s_and_saveexec_b64 s[18:19], s[14:15]
	s_cbranch_execz .LBB117_134
; %bb.131:                              ;   in Loop: Header=BB117_2 Depth=1
	s_mov_b64 s[20:21], 0
	v_mov_b32_e32 v58, v51
	v_mov_b32_e32 v59, v52
.LBB117_132:                            ;   Parent Loop BB117_2 Depth=1
                                        ; =>  This Inner Loop Header: Depth=2
	v_sub_u32_e32 v60, v59, v58
	v_lshrrev_b32_e32 v60, 1, v60
	v_add_u32_e32 v60, v60, v58
	v_xad_u32 v61, v60, -1, v53
	ds_read_u8 v62, v60
	ds_read_u8 v61, v61
	v_add_u32_e32 v63, 1, v60
	s_waitcnt lgkmcnt(0)
	v_cmp_lt_u16_e64 s[16:17], v61, v62
	v_cndmask_b32_e64 v59, v59, v60, s[16:17]
	v_cndmask_b32_e64 v58, v63, v58, s[16:17]
	v_cmp_ge_i32_e64 s[16:17], v58, v59
	s_or_b64 s[20:21], s[16:17], s[20:21]
	s_andn2_b64 exec, exec, s[20:21]
	s_cbranch_execnz .LBB117_132
; %bb.133:                              ;   in Loop: Header=BB117_2 Depth=1
	s_or_b64 exec, exec, s[20:21]
.LBB117_134:                            ;   in Loop: Header=BB117_2 Depth=1
	s_or_b64 exec, exec, s[18:19]
	v_sub_u32_e32 v61, v53, v58
	ds_read_u8 v59, v58
	ds_read_u8 v63, v61
	v_cmp_le_i32_e64 s[18:19], v50, v58
	v_cmp_gt_i32_e64 s[16:17], s47, v61
                                        ; implicit-def: $vgpr60
	s_waitcnt lgkmcnt(0)
	v_cmp_lt_u16_sdwa s[20:21], v63, v59 src0_sel:BYTE_0 src1_sel:BYTE_0
	s_or_b64 s[18:19], s[18:19], s[20:21]
	s_and_b64 s[16:17], s[16:17], s[18:19]
	s_xor_b64 s[18:19], s[16:17], -1
	s_and_saveexec_b64 s[20:21], s[18:19]
	s_xor_b64 s[18:19], exec, s[20:21]
; %bb.135:                              ;   in Loop: Header=BB117_2 Depth=1
	ds_read_u8 v60, v58 offset:1
; %bb.136:                              ;   in Loop: Header=BB117_2 Depth=1
	s_or_saveexec_b64 s[18:19], s[18:19]
	v_mov_b32_e32 v62, v63
	s_xor_b64 exec, exec, s[18:19]
	s_cbranch_execz .LBB117_138
; %bb.137:                              ;   in Loop: Header=BB117_2 Depth=1
	ds_read_u8 v62, v61 offset:1
	s_waitcnt lgkmcnt(1)
	v_mov_b32_e32 v60, v59
.LBB117_138:                            ;   in Loop: Header=BB117_2 Depth=1
	s_or_b64 exec, exec, s[18:19]
	v_add_u32_e32 v65, 1, v58
	v_add_u32_e32 v64, 1, v61
	v_cndmask_b32_e64 v67, v65, v58, s[16:17]
	v_cndmask_b32_e64 v66, v61, v64, s[16:17]
	v_cmp_ge_i32_e64 s[20:21], v67, v50
	s_waitcnt lgkmcnt(0)
	v_cmp_lt_u16_sdwa s[22:23], v62, v60 src0_sel:BYTE_0 src1_sel:BYTE_0
	v_cmp_gt_i32_e64 s[18:19], s47, v66
	s_or_b64 s[20:21], s[20:21], s[22:23]
	s_and_b64 s[18:19], s[18:19], s[20:21]
	s_xor_b64 s[20:21], s[18:19], -1
                                        ; implicit-def: $vgpr64
	s_and_saveexec_b64 s[22:23], s[20:21]
	s_xor_b64 s[20:21], exec, s[22:23]
; %bb.139:                              ;   in Loop: Header=BB117_2 Depth=1
	ds_read_u8 v64, v67 offset:1
; %bb.140:                              ;   in Loop: Header=BB117_2 Depth=1
	s_or_saveexec_b64 s[20:21], s[20:21]
	v_mov_b32_e32 v65, v62
	s_xor_b64 exec, exec, s[20:21]
	s_cbranch_execz .LBB117_142
; %bb.141:                              ;   in Loop: Header=BB117_2 Depth=1
	ds_read_u8 v65, v66 offset:1
	s_waitcnt lgkmcnt(1)
	v_mov_b32_e32 v64, v60
.LBB117_142:                            ;   in Loop: Header=BB117_2 Depth=1
	s_or_b64 exec, exec, s[20:21]
	v_add_u32_e32 v69, 1, v67
	v_add_u32_e32 v68, 1, v66
	v_cndmask_b32_e64 v72, v69, v67, s[18:19]
	v_cndmask_b32_e64 v68, v66, v68, s[18:19]
	v_cmp_ge_i32_e64 s[22:23], v72, v50
	s_waitcnt lgkmcnt(0)
	v_cmp_lt_u16_sdwa s[24:25], v65, v64 src0_sel:BYTE_0 src1_sel:BYTE_0
	v_cmp_gt_i32_e64 s[20:21], s47, v68
	s_or_b64 s[22:23], s[22:23], s[24:25]
	s_and_b64 s[20:21], s[20:21], s[22:23]
	s_xor_b64 s[22:23], s[20:21], -1
                                        ; implicit-def: $vgpr71
                                        ; implicit-def: $vgpr70
	s_and_saveexec_b64 s[24:25], s[22:23]
	s_xor_b64 s[22:23], exec, s[24:25]
; %bb.143:                              ;   in Loop: Header=BB117_2 Depth=1
	ds_read_u8 v71, v72 offset:1
	v_add_u32_e32 v70, 1, v72
; %bb.144:                              ;   in Loop: Header=BB117_2 Depth=1
	s_or_saveexec_b64 s[22:23], s[22:23]
	v_mov_b32_e32 v69, v72
	v_mov_b32_e32 v73, v65
	s_xor_b64 exec, exec, s[22:23]
	s_cbranch_execz .LBB117_1
; %bb.145:                              ;   in Loop: Header=BB117_2 Depth=1
	ds_read_u8 v73, v68 offset:1
	s_waitcnt lgkmcnt(1)
	v_add_u32_e32 v71, 1, v68
	v_mov_b32_e32 v69, v68
	v_mov_b32_e32 v70, v72
	;; [unrolled: 1-line block ×4, first 2 shown]
	s_branch .LBB117_1
.LBB117_146:
	s_add_u32 s0, s38, s33
	s_addc_u32 s1, s39, 0
	v_mov_b32_e32 v1, s1
	v_add_co_u32_e32 v0, vcc, s0, v0
	s_waitcnt lgkmcnt(3)
	v_add_u16_e32 v2, v59, v54
	v_addc_co_u32_e32 v1, vcc, 0, v1, vcc
	s_waitcnt lgkmcnt(0)
	v_add_u16_e32 v3, v60, v55
	v_add_u16_e32 v4, v61, v56
	v_add_u16_e32 v5, v58, v57
	global_store_byte v[0:1], v2, off
	global_store_byte v[0:1], v3, off offset:512
	global_store_byte v[0:1], v4, off offset:1024
	;; [unrolled: 1-line block ×3, first 2 shown]
	s_endpgm
	.section	.rodata,"a",@progbits
	.p2align	6, 0x0
	.amdhsa_kernel _Z17sort_pairs_kernelIhLj512ELj4EN10test_utils4lessELj10EEvPKT_PS2_T2_
		.amdhsa_group_segment_fixed_size 2049
		.amdhsa_private_segment_fixed_size 0
		.amdhsa_kernarg_size 20
		.amdhsa_user_sgpr_count 6
		.amdhsa_user_sgpr_private_segment_buffer 1
		.amdhsa_user_sgpr_dispatch_ptr 0
		.amdhsa_user_sgpr_queue_ptr 0
		.amdhsa_user_sgpr_kernarg_segment_ptr 1
		.amdhsa_user_sgpr_dispatch_id 0
		.amdhsa_user_sgpr_flat_scratch_init 0
		.amdhsa_user_sgpr_private_segment_size 0
		.amdhsa_uses_dynamic_stack 0
		.amdhsa_system_sgpr_private_segment_wavefront_offset 0
		.amdhsa_system_sgpr_workgroup_id_x 1
		.amdhsa_system_sgpr_workgroup_id_y 0
		.amdhsa_system_sgpr_workgroup_id_z 0
		.amdhsa_system_sgpr_workgroup_info 0
		.amdhsa_system_vgpr_workitem_id 0
		.amdhsa_next_free_vgpr 74
		.amdhsa_next_free_sgpr 50
		.amdhsa_reserve_vcc 1
		.amdhsa_reserve_flat_scratch 0
		.amdhsa_float_round_mode_32 0
		.amdhsa_float_round_mode_16_64 0
		.amdhsa_float_denorm_mode_32 3
		.amdhsa_float_denorm_mode_16_64 3
		.amdhsa_dx10_clamp 1
		.amdhsa_ieee_mode 1
		.amdhsa_fp16_overflow 0
		.amdhsa_exception_fp_ieee_invalid_op 0
		.amdhsa_exception_fp_denorm_src 0
		.amdhsa_exception_fp_ieee_div_zero 0
		.amdhsa_exception_fp_ieee_overflow 0
		.amdhsa_exception_fp_ieee_underflow 0
		.amdhsa_exception_fp_ieee_inexact 0
		.amdhsa_exception_int_div_zero 0
	.end_amdhsa_kernel
	.section	.text._Z17sort_pairs_kernelIhLj512ELj4EN10test_utils4lessELj10EEvPKT_PS2_T2_,"axG",@progbits,_Z17sort_pairs_kernelIhLj512ELj4EN10test_utils4lessELj10EEvPKT_PS2_T2_,comdat
.Lfunc_end117:
	.size	_Z17sort_pairs_kernelIhLj512ELj4EN10test_utils4lessELj10EEvPKT_PS2_T2_, .Lfunc_end117-_Z17sort_pairs_kernelIhLj512ELj4EN10test_utils4lessELj10EEvPKT_PS2_T2_
                                        ; -- End function
	.set _Z17sort_pairs_kernelIhLj512ELj4EN10test_utils4lessELj10EEvPKT_PS2_T2_.num_vgpr, 74
	.set _Z17sort_pairs_kernelIhLj512ELj4EN10test_utils4lessELj10EEvPKT_PS2_T2_.num_agpr, 0
	.set _Z17sort_pairs_kernelIhLj512ELj4EN10test_utils4lessELj10EEvPKT_PS2_T2_.numbered_sgpr, 50
	.set _Z17sort_pairs_kernelIhLj512ELj4EN10test_utils4lessELj10EEvPKT_PS2_T2_.num_named_barrier, 0
	.set _Z17sort_pairs_kernelIhLj512ELj4EN10test_utils4lessELj10EEvPKT_PS2_T2_.private_seg_size, 0
	.set _Z17sort_pairs_kernelIhLj512ELj4EN10test_utils4lessELj10EEvPKT_PS2_T2_.uses_vcc, 1
	.set _Z17sort_pairs_kernelIhLj512ELj4EN10test_utils4lessELj10EEvPKT_PS2_T2_.uses_flat_scratch, 0
	.set _Z17sort_pairs_kernelIhLj512ELj4EN10test_utils4lessELj10EEvPKT_PS2_T2_.has_dyn_sized_stack, 0
	.set _Z17sort_pairs_kernelIhLj512ELj4EN10test_utils4lessELj10EEvPKT_PS2_T2_.has_recursion, 0
	.set _Z17sort_pairs_kernelIhLj512ELj4EN10test_utils4lessELj10EEvPKT_PS2_T2_.has_indirect_call, 0
	.section	.AMDGPU.csdata,"",@progbits
; Kernel info:
; codeLenInByte = 7708
; TotalNumSgprs: 54
; NumVgprs: 74
; ScratchSize: 0
; MemoryBound: 0
; FloatMode: 240
; IeeeMode: 1
; LDSByteSize: 2049 bytes/workgroup (compile time only)
; SGPRBlocks: 6
; VGPRBlocks: 18
; NumSGPRsForWavesPerEU: 54
; NumVGPRsForWavesPerEU: 74
; Occupancy: 3
; WaveLimiterHint : 1
; COMPUTE_PGM_RSRC2:SCRATCH_EN: 0
; COMPUTE_PGM_RSRC2:USER_SGPR: 6
; COMPUTE_PGM_RSRC2:TRAP_HANDLER: 0
; COMPUTE_PGM_RSRC2:TGID_X_EN: 1
; COMPUTE_PGM_RSRC2:TGID_Y_EN: 0
; COMPUTE_PGM_RSRC2:TGID_Z_EN: 0
; COMPUTE_PGM_RSRC2:TIDIG_COMP_CNT: 0
	.section	.text._Z16sort_keys_kernelIhLj512ELj8EN10test_utils4lessELj10EEvPKT_PS2_T2_,"axG",@progbits,_Z16sort_keys_kernelIhLj512ELj8EN10test_utils4lessELj10EEvPKT_PS2_T2_,comdat
	.protected	_Z16sort_keys_kernelIhLj512ELj8EN10test_utils4lessELj10EEvPKT_PS2_T2_ ; -- Begin function _Z16sort_keys_kernelIhLj512ELj8EN10test_utils4lessELj10EEvPKT_PS2_T2_
	.globl	_Z16sort_keys_kernelIhLj512ELj8EN10test_utils4lessELj10EEvPKT_PS2_T2_
	.p2align	8
	.type	_Z16sort_keys_kernelIhLj512ELj8EN10test_utils4lessELj10EEvPKT_PS2_T2_,@function
_Z16sort_keys_kernelIhLj512ELj8EN10test_utils4lessELj10EEvPKT_PS2_T2_: ; @_Z16sort_keys_kernelIhLj512ELj8EN10test_utils4lessELj10EEvPKT_PS2_T2_
; %bb.0:
	s_load_dwordx4 s[36:39], s[4:5], 0x0
	s_lshl_b32 s33, s6, 12
	v_lshlrev_b32_e32 v1, 3, v0
	v_and_b32_e32 v2, 0xff0, v1
	v_and_b32_e32 v3, 0xfe0, v1
	s_waitcnt lgkmcnt(0)
	s_add_u32 s0, s36, s33
	s_addc_u32 s1, s37, 0
	global_load_ubyte v35, v0, s[0:1] offset:512
	global_load_ubyte v36, v0, s[0:1] offset:1024
	;; [unrolled: 1-line block ×5, first 2 shown]
	global_load_ubyte v40, v0, s[0:1]
	global_load_ubyte v41, v0, s[0:1] offset:2048
	global_load_ubyte v42, v0, s[0:1] offset:3072
	v_or_b32_e32 v10, 8, v2
	v_add_u32_e32 v11, 16, v2
	v_and_b32_e32 v32, 8, v1
	v_and_b32_e32 v4, 0xfc0, v1
	v_or_b32_e32 v12, 16, v3
	v_add_u32_e32 v13, 32, v3
	v_sub_u32_e32 v47, v11, v10
	v_and_b32_e32 v33, 24, v1
	v_and_b32_e32 v5, 0xf80, v1
	v_or_b32_e32 v14, 32, v4
	v_add_u32_e32 v15, 64, v4
	v_sub_u32_e32 v48, v13, v12
	v_sub_u32_e32 v29, v10, v2
	;; [unrolled: 1-line block ×3, first 2 shown]
	v_cmp_ge_i32_e32 vcc, v32, v47
	v_and_b32_e32 v34, 56, v1
	v_and_b32_e32 v6, 0xf00, v1
	v_or_b32_e32 v16, 64, v5
	v_add_u32_e32 v17, 0x80, v5
	v_sub_u32_e32 v50, v15, v14
	v_add_u32_e32 v26, v10, v32
	v_sub_u32_e32 v30, v12, v3
	v_sub_u32_e32 v55, v33, v48
	v_min_i32_e32 v29, v32, v29
	v_cndmask_b32_e32 v32, 0, v54, vcc
	v_cmp_ge_i32_e32 vcc, v33, v48
	s_mov_b32 s6, 0xc0c0004
	v_and_b32_e32 v43, 0x78, v1
	v_and_b32_e32 v7, 0xe00, v1
	v_or_b32_e32 v18, 0x80, v6
	v_add_u32_e32 v19, 0x100, v6
	v_sub_u32_e32 v51, v17, v16
	v_add_u32_e32 v27, v12, v33
	v_sub_u32_e32 v31, v14, v4
	v_sub_u32_e32 v58, v34, v50
	v_min_i32_e32 v30, v33, v30
	v_cndmask_b32_e32 v33, 0, v55, vcc
	v_cmp_ge_i32_e32 vcc, v34, v50
	v_and_b32_e32 v44, 0xf8, v1
	v_and_b32_e32 v8, 0xc00, v1
	v_or_b32_e32 v20, 0x100, v7
	v_add_u32_e32 v21, 0x200, v7
	v_sub_u32_e32 v52, v19, v18
	v_add_u32_e32 v28, v14, v34
	v_sub_u32_e32 v59, v43, v51
	v_min_i32_e32 v31, v34, v31
	v_cndmask_b32_e32 v34, 0, v58, vcc
	v_cmp_ge_i32_e32 vcc, v43, v51
	v_and_b32_e32 v45, 0x1f8, v1
	v_and_b32_e32 v9, 0x800, v1
	v_or_b32_e32 v22, 0x200, v8
	v_add_u32_e32 v23, 0x400, v8
	v_sub_u32_e32 v53, v21, v20
	v_sub_u32_e32 v60, v44, v52
	v_and_b32_e32 v46, 0x3f8, v1
	v_or_b32_e32 v24, 0x400, v9
	v_add_u32_e32 v25, 0x800, v9
	v_sub_u32_e32 v56, v23, v22
	v_sub_u32_e32 v61, v45, v53
	v_and_b32_e32 v49, 0x7f8, v1
	v_sub_u32_e32 v57, v25, v24
	v_sub_u32_e32 v62, v46, v56
	;; [unrolled: 1-line block ×4, first 2 shown]
	v_mov_b32_e32 v50, 0x800
	v_min_i32_e32 v48, v49, v48
	v_sub_u32_e64 v51, v1, v50 clamp
	s_mov_b32 s34, 0
	v_cmp_lt_i32_e64 s[0:1], v32, v29
	v_cmp_lt_i32_e64 s[2:3], v33, v30
	;; [unrolled: 1-line block ×3, first 2 shown]
	s_mov_b32 s35, 0x7060405
	s_movk_i32 s36, 0xff
	s_mov_b32 s37, 0xc0c0001
	s_mov_b32 s40, 0xffff
	;; [unrolled: 1-line block ×3, first 2 shown]
	s_waitcnt vmcnt(3)
	v_perm_b32 v36, v36, v39, s6
	s_waitcnt vmcnt(2)
	v_perm_b32 v35, v40, v35, s6
	;; [unrolled: 2-line block ×4, first 2 shown]
	v_lshl_or_b32 v55, v36, 16, v35
	v_cndmask_b32_e32 v35, 0, v59, vcc
	v_cmp_ge_i32_e32 vcc, v44, v52
	v_lshl_or_b32 v54, v37, 16, v38
	v_cndmask_b32_e32 v38, 0, v60, vcc
	v_cmp_ge_i32_e32 vcc, v45, v53
	v_sub_u32_e32 v36, v16, v5
	v_sub_u32_e32 v39, v18, v6
	v_cndmask_b32_e32 v41, 0, v61, vcc
	v_sub_u32_e32 v42, v20, v7
	v_cmp_ge_i32_e32 vcc, v46, v56
	v_min_i32_e32 v36, v43, v36
	v_add_u32_e32 v37, v16, v43
	v_min_i32_e32 v39, v44, v39
	v_add_u32_e32 v40, v18, v44
	;; [unrolled: 2-line block ×3, first 2 shown]
	v_cndmask_b32_e32 v44, 0, v62, vcc
	v_sub_u32_e32 v45, v22, v8
	v_cmp_ge_i32_e32 vcc, v49, v57
	v_min_i32_e32 v45, v46, v45
	v_cndmask_b32_e32 v47, 0, v63, vcc
	v_min_i32_e32 v52, 0x800, v1
	v_cmp_lt_i32_e64 s[6:7], v35, v36
	v_cmp_lt_i32_e64 s[8:9], v38, v39
	;; [unrolled: 1-line block ×4, first 2 shown]
	v_add_u32_e32 v46, v22, v46
	v_cmp_lt_i32_e64 s[14:15], v47, v48
	v_add_u32_e32 v49, v24, v49
	v_cmp_lt_i32_e64 s[16:17], v51, v52
	s_movk_i32 s42, 0xff00
	s_mov_b32 s43, 0xffff0000
	s_movk_i32 s44, 0x1000
	v_add_u32_e32 v53, 0x800, v1
	s_branch .LBB118_2
.LBB118_1:                              ;   in Loop: Header=BB118_2 Depth=1
	s_or_b64 exec, exec, s[30:31]
	v_cndmask_b32_e64 v56, v56, v57, s[18:19]
	v_cndmask_b32_e64 v57, v58, v59, s[20:21]
	v_cmp_ge_i32_e64 s[18:19], v70, v50
	s_waitcnt lgkmcnt(0)
	v_cmp_lt_u16_sdwa s[20:21], v72, v69 src0_sel:BYTE_0 src1_sel:BYTE_0
	v_cndmask_b32_e32 v71, v54, v55, vcc
	v_cndmask_b32_e64 v58, v60, v61, s[22:23]
	v_cmp_gt_i32_e32 vcc, s44, v68
	s_or_b64 s[18:19], s[18:19], s[20:21]
	s_and_b64 vcc, vcc, s[18:19]
	v_lshlrev_b16_e32 v54, 8, v56
	v_lshlrev_b16_e32 v55, 8, v58
	v_cndmask_b32_e64 v59, v62, v63, s[24:25]
	v_cndmask_b32_e64 v60, v64, v65, s[26:27]
	v_cndmask_b32_e32 v62, v69, v72, vcc
	v_or_b32_sdwa v54, v71, v54 dst_sel:DWORD dst_unused:UNUSED_PAD src0_sel:BYTE_0 src1_sel:DWORD
	v_or_b32_sdwa v55, v57, v55 dst_sel:WORD_1 dst_unused:UNUSED_PAD src0_sel:BYTE_0 src1_sel:DWORD
	v_cndmask_b32_e64 v61, v66, v67, s[28:29]
	v_or_b32_sdwa v55, v54, v55 dst_sel:DWORD dst_unused:UNUSED_PAD src0_sel:WORD_0 src1_sel:DWORD
	v_lshlrev_b16_e32 v54, 8, v60
	v_lshlrev_b16_e32 v63, 8, v62
	s_add_i32 s34, s34, 1
	v_or_b32_sdwa v54, v59, v54 dst_sel:DWORD dst_unused:UNUSED_PAD src0_sel:BYTE_0 src1_sel:DWORD
	v_or_b32_sdwa v63, v61, v63 dst_sel:WORD_1 dst_unused:UNUSED_PAD src0_sel:BYTE_0 src1_sel:DWORD
	s_cmp_eq_u32 s34, 10
	v_or_b32_sdwa v54, v54, v63 dst_sel:DWORD dst_unused:UNUSED_PAD src0_sel:WORD_0 src1_sel:DWORD
	s_cbranch_scc1 .LBB118_290
.LBB118_2:                              ; =>This Loop Header: Depth=1
                                        ;     Child Loop BB118_4 Depth 2
                                        ;     Child Loop BB118_36 Depth 2
	;; [unrolled: 1-line block ×9, first 2 shown]
	v_lshrrev_b32_e32 v57, 8, v55
	v_perm_b32 v56, v55, v55, s35
	v_cmp_lt_u16_sdwa vcc, v57, v55 src0_sel:BYTE_0 src1_sel:BYTE_0
	v_cndmask_b32_e32 v56, v55, v56, vcc
	v_lshrrev_b32_e32 v58, 16, v56
	v_perm_b32 v59, 0, v58, s37
	v_min_u16_sdwa v60, v57, v55 dst_sel:DWORD dst_unused:UNUSED_PAD src0_sel:BYTE_0 src1_sel:BYTE_0
	v_max_u16_sdwa v55, v57, v55 dst_sel:DWORD dst_unused:UNUSED_PAD src0_sel:BYTE_0 src1_sel:BYTE_0
	v_lshlrev_b32_e32 v57, 16, v59
	v_and_or_b32 v57, v56, s40, v57
	v_cmp_lt_u16_sdwa vcc, v56, v58 src0_sel:BYTE_3 src1_sel:BYTE_0
	v_cndmask_b32_e32 v57, v56, v57, vcc
	v_max_u16_sdwa v61, v56, v58 dst_sel:DWORD dst_unused:UNUSED_PAD src0_sel:BYTE_3 src1_sel:BYTE_0
	v_min_u16_sdwa v56, v56, v58 dst_sel:DWORD dst_unused:UNUSED_PAD src0_sel:BYTE_3 src1_sel:BYTE_0
	v_lshrrev_b32_e32 v58, 8, v54
	v_perm_b32 v59, v54, v54, s35
	v_cmp_lt_u16_sdwa vcc, v58, v54 src0_sel:BYTE_0 src1_sel:BYTE_0
	v_cndmask_b32_e32 v59, v54, v59, vcc
	v_max_u16_sdwa v62, v58, v54 dst_sel:DWORD dst_unused:UNUSED_PAD src0_sel:BYTE_0 src1_sel:BYTE_0
	v_min_u16_sdwa v54, v58, v54 dst_sel:DWORD dst_unused:UNUSED_PAD src0_sel:BYTE_0 src1_sel:BYTE_0
	v_and_b32_sdwa v58, v59, s36 dst_sel:DWORD dst_unused:UNUSED_PAD src0_sel:WORD_1 src1_sel:DWORD
	v_perm_b32 v63, v59, v59, s41
	v_cmp_lt_u16_sdwa vcc, v59, v58 src0_sel:BYTE_3 src1_sel:DWORD
	v_and_b32_sdwa v64, v57, s42 dst_sel:DWORD dst_unused:UNUSED_PAD src0_sel:WORD_1 src1_sel:DWORD
	v_cndmask_b32_e32 v63, v59, v63, vcc
	v_max_u16_sdwa v65, v59, v58 dst_sel:DWORD dst_unused:UNUSED_PAD src0_sel:BYTE_3 src1_sel:DWORD
	v_min_u16_sdwa v58, v59, v58 dst_sel:DWORD dst_unused:UNUSED_PAD src0_sel:BYTE_3 src1_sel:DWORD
	v_lshlrev_b16_e32 v59, 8, v56
	v_or_b32_sdwa v64, v55, v64 dst_sel:WORD_1 dst_unused:UNUSED_PAD src0_sel:DWORD src1_sel:DWORD
	v_or_b32_sdwa v59, v57, v59 dst_sel:DWORD dst_unused:UNUSED_PAD src0_sel:BYTE_0 src1_sel:DWORD
	v_or_b32_sdwa v59, v59, v64 dst_sel:DWORD dst_unused:UNUSED_PAD src0_sel:WORD_0 src1_sel:DWORD
	v_cmp_lt_u16_e32 vcc, v56, v55
	v_cndmask_b32_e32 v57, v57, v59, vcc
	v_and_b32_e32 v64, 0xffffff00, v63
	v_and_b32_sdwa v59, v57, s36 dst_sel:DWORD dst_unused:UNUSED_PAD src0_sel:WORD_1 src1_sel:DWORD
	v_or_b32_e32 v64, v61, v64
	v_lshlrev_b16_e32 v67, 8, v54
	v_and_b32_e32 v64, 0xffff, v64
	v_or_b32_sdwa v59, v59, v67 dst_sel:WORD_1 dst_unused:UNUSED_PAD src0_sel:DWORD src1_sel:DWORD
	v_and_or_b32 v64, v63, s43, v64
	v_and_or_b32 v59, v57, s40, v59
	v_cmp_lt_u16_e32 vcc, v54, v61
	v_cndmask_b32_e32 v57, v57, v59, vcc
	v_cndmask_b32_e32 v59, v63, v64, vcc
	v_and_b32_sdwa v63, v59, s42 dst_sel:DWORD dst_unused:UNUSED_PAD src0_sel:WORD_1 src1_sel:DWORD
	v_max_u16_e32 v64, v54, v61
	v_min_u16_e32 v54, v54, v61
	v_lshlrev_b16_e32 v61, 8, v58
	v_or_b32_sdwa v63, v62, v63 dst_sel:WORD_1 dst_unused:UNUSED_PAD src0_sel:DWORD src1_sel:DWORD
	v_or_b32_sdwa v61, v59, v61 dst_sel:DWORD dst_unused:UNUSED_PAD src0_sel:BYTE_0 src1_sel:DWORD
	v_max_u16_e32 v66, v56, v55
	v_min_u16_e32 v55, v56, v55
	v_or_b32_sdwa v61, v61, v63 dst_sel:DWORD dst_unused:UNUSED_PAD src0_sel:WORD_0 src1_sel:DWORD
	v_lshlrev_b16_e32 v63, 8, v60
	v_or_b32_e32 v63, v55, v63
	v_and_b32_e32 v63, 0xffff, v63
	v_cmp_lt_u16_e32 vcc, v58, v62
	v_and_or_b32 v63, v57, s43, v63
	v_cndmask_b32_e32 v59, v59, v61, vcc
	v_cmp_lt_u16_e32 vcc, v56, v60
	v_cndmask_b32_e32 v56, v57, v63, vcc
	v_cndmask_b32_e32 v57, v60, v55, vcc
	;; [unrolled: 1-line block ×3, first 2 shown]
	v_lshlrev_b16_e32 v60, 8, v66
	v_or_b32_sdwa v60, v54, v60 dst_sel:WORD_1 dst_unused:UNUSED_PAD src0_sel:DWORD src1_sel:DWORD
	v_and_or_b32 v60, v56, s40, v60
	v_cmp_lt_u16_e32 vcc, v54, v66
	v_max_u16_e32 v61, v58, v62
	v_min_u16_e32 v58, v58, v62
	v_cndmask_b32_e32 v56, v56, v60, vcc
	v_lshlrev_b16_e32 v60, 8, v64
	v_or_b32_e32 v60, v58, v60
	v_and_b32_e32 v60, 0xffff, v60
	v_and_or_b32 v60, v59, s43, v60
	v_cmp_lt_u16_e32 vcc, v58, v64
	v_cndmask_b32_e32 v59, v59, v60, vcc
	v_max_u16_e32 v60, v58, v64
	v_min_u16_e32 v58, v58, v64
	v_lshlrev_b16_e32 v64, 8, v61
	v_or_b32_sdwa v64, v65, v64 dst_sel:WORD_1 dst_unused:UNUSED_PAD src0_sel:DWORD src1_sel:DWORD
	v_max_u16_e32 v63, v54, v66
	v_min_u16_e32 v54, v54, v66
	v_and_or_b32 v64, v59, s40, v64
	v_cmp_gt_u16_e32 vcc, v62, v65
	v_and_b32_sdwa v66, v56, s42 dst_sel:DWORD dst_unused:UNUSED_PAD src0_sel:WORD_1 src1_sel:DWORD
	v_cndmask_b32_e32 v59, v59, v64, vcc
	v_lshlrev_b16_e32 v64, 8, v54
	v_or_b32_sdwa v66, v55, v66 dst_sel:WORD_1 dst_unused:UNUSED_PAD src0_sel:DWORD src1_sel:DWORD
	v_or_b32_sdwa v64, v56, v64 dst_sel:DWORD dst_unused:UNUSED_PAD src0_sel:BYTE_0 src1_sel:DWORD
	v_cndmask_b32_e32 v62, v65, v61, vcc
	v_cndmask_b32_e32 v61, v61, v65, vcc
	v_or_b32_sdwa v64, v64, v66 dst_sel:DWORD dst_unused:UNUSED_PAD src0_sel:WORD_0 src1_sel:DWORD
	v_cmp_lt_u16_e32 vcc, v54, v55
	v_cndmask_b32_e32 v56, v56, v64, vcc
	v_and_b32_e32 v65, 0xffffff00, v59
	v_and_b32_sdwa v64, v56, s36 dst_sel:DWORD dst_unused:UNUSED_PAD src0_sel:WORD_1 src1_sel:DWORD
	v_or_b32_e32 v65, v63, v65
	v_max_u16_e32 v66, v54, v55
	v_min_u16_e32 v54, v54, v55
	v_lshlrev_b16_e32 v55, 8, v58
	v_and_b32_e32 v65, 0xffff, v65
	v_or_b32_sdwa v55, v64, v55 dst_sel:WORD_1 dst_unused:UNUSED_PAD src0_sel:DWORD src1_sel:DWORD
	v_and_or_b32 v65, v59, s43, v65
	v_and_or_b32 v55, v56, s40, v55
	v_cmp_lt_u16_e32 vcc, v58, v63
	v_cndmask_b32_e32 v55, v56, v55, vcc
	v_cndmask_b32_e32 v56, v59, v65, vcc
	v_and_b32_sdwa v59, v56, s42 dst_sel:DWORD dst_unused:UNUSED_PAD src0_sel:WORD_1 src1_sel:DWORD
	v_max_u16_e32 v64, v58, v63
	v_min_u16_e32 v58, v58, v63
	v_lshlrev_b16_e32 v63, 8, v61
	v_or_b32_sdwa v59, v60, v59 dst_sel:WORD_1 dst_unused:UNUSED_PAD src0_sel:DWORD src1_sel:DWORD
	v_or_b32_sdwa v63, v56, v63 dst_sel:DWORD dst_unused:UNUSED_PAD src0_sel:BYTE_0 src1_sel:DWORD
	v_or_b32_sdwa v59, v63, v59 dst_sel:DWORD dst_unused:UNUSED_PAD src0_sel:WORD_0 src1_sel:DWORD
	v_lshlrev_b16_e32 v63, 8, v57
	v_or_b32_e32 v63, v54, v63
	v_and_b32_e32 v63, 0xffff, v63
	v_cmp_lt_u16_e32 vcc, v61, v60
	v_and_or_b32 v63, v55, s43, v63
	v_cndmask_b32_e32 v56, v56, v59, vcc
	v_max_u16_e32 v59, v61, v60
	v_min_u16_e32 v60, v61, v60
	v_cmp_lt_u16_e32 vcc, v54, v57
	v_min_u16_e32 v61, v54, v57
	v_max_u16_e32 v54, v54, v57
	v_lshlrev_b16_e32 v57, 8, v66
	v_cndmask_b32_e32 v55, v55, v63, vcc
	v_or_b32_sdwa v57, v58, v57 dst_sel:WORD_1 dst_unused:UNUSED_PAD src0_sel:DWORD src1_sel:DWORD
	v_and_or_b32 v57, v55, s40, v57
	v_cmp_lt_u16_e32 vcc, v58, v66
	v_cndmask_b32_e32 v55, v55, v57, vcc
	v_lshlrev_b16_e32 v57, 8, v64
	v_or_b32_e32 v57, v60, v57
	v_and_b32_e32 v57, 0xffff, v57
	v_and_or_b32 v57, v56, s43, v57
	v_cmp_lt_u16_e32 vcc, v60, v64
	v_cndmask_b32_e32 v56, v56, v57, vcc
	v_max_u16_e32 v57, v60, v64
	v_min_u16_e32 v60, v60, v64
	v_lshlrev_b16_e32 v64, 8, v59
	v_or_b32_sdwa v64, v62, v64 dst_sel:WORD_1 dst_unused:UNUSED_PAD src0_sel:DWORD src1_sel:DWORD
	v_max_u16_e32 v63, v58, v66
	v_min_u16_e32 v58, v58, v66
	v_and_or_b32 v64, v56, s40, v64
	v_cmp_lt_u16_e32 vcc, v62, v59
	v_and_b32_sdwa v65, v55, s42 dst_sel:DWORD dst_unused:UNUSED_PAD src0_sel:WORD_1 src1_sel:DWORD
	v_cndmask_b32_e32 v56, v56, v64, vcc
	v_max_u16_e32 v64, v62, v59
	v_min_u16_e32 v59, v62, v59
	v_lshlrev_b16_e32 v62, 8, v58
	v_or_b32_sdwa v65, v54, v65 dst_sel:WORD_1 dst_unused:UNUSED_PAD src0_sel:DWORD src1_sel:DWORD
	v_or_b32_sdwa v62, v55, v62 dst_sel:DWORD dst_unused:UNUSED_PAD src0_sel:BYTE_0 src1_sel:DWORD
	v_or_b32_sdwa v62, v62, v65 dst_sel:DWORD dst_unused:UNUSED_PAD src0_sel:WORD_0 src1_sel:DWORD
	v_cmp_lt_u16_e32 vcc, v58, v54
	v_and_b32_e32 v65, 0xffffff00, v56
	v_cndmask_b32_e32 v55, v55, v62, vcc
	v_or_b32_e32 v65, v63, v65
	v_and_b32_sdwa v62, v55, s36 dst_sel:DWORD dst_unused:UNUSED_PAD src0_sel:WORD_1 src1_sel:DWORD
	v_and_b32_e32 v65, 0xffff, v65
	v_lshlrev_b16_e32 v67, 8, v60
	v_and_or_b32 v65, v56, s43, v65
	v_or_b32_sdwa v62, v62, v67 dst_sel:WORD_1 dst_unused:UNUSED_PAD src0_sel:DWORD src1_sel:DWORD
	v_cmp_lt_u16_e32 vcc, v60, v63
	v_and_or_b32 v62, v55, s40, v62
	v_cndmask_b32_e32 v56, v56, v65, vcc
	v_cndmask_b32_e32 v55, v55, v62, vcc
	v_and_b32_sdwa v62, v56, s42 dst_sel:DWORD dst_unused:UNUSED_PAD src0_sel:WORD_1 src1_sel:DWORD
	v_max_u16_e32 v65, v60, v63
	v_min_u16_e32 v60, v60, v63
	v_lshlrev_b16_e32 v63, 8, v59
	v_or_b32_sdwa v62, v57, v62 dst_sel:WORD_1 dst_unused:UNUSED_PAD src0_sel:DWORD src1_sel:DWORD
	v_or_b32_sdwa v63, v56, v63 dst_sel:DWORD dst_unused:UNUSED_PAD src0_sel:BYTE_0 src1_sel:DWORD
	v_max_u16_e32 v66, v58, v54
	v_min_u16_e32 v54, v58, v54
	v_or_b32_sdwa v62, v63, v62 dst_sel:DWORD dst_unused:UNUSED_PAD src0_sel:WORD_0 src1_sel:DWORD
	v_lshlrev_b16_e32 v63, 8, v61
	v_or_b32_e32 v63, v54, v63
	v_and_b32_e32 v63, 0xffff, v63
	v_cmp_lt_u16_e32 vcc, v59, v57
	v_and_or_b32 v63, v55, s43, v63
	v_cndmask_b32_e32 v56, v56, v62, vcc
	v_cmp_lt_u16_e32 vcc, v58, v61
	v_lshlrev_b16_e32 v58, 8, v66
	v_cndmask_b32_e32 v55, v55, v63, vcc
	v_or_b32_sdwa v58, v60, v58 dst_sel:WORD_1 dst_unused:UNUSED_PAD src0_sel:DWORD src1_sel:DWORD
	v_cndmask_b32_e32 v54, v54, v61, vcc
	v_and_or_b32 v58, v55, s40, v58
	v_cmp_lt_u16_e32 vcc, v60, v66
	v_max_u16_e32 v62, v59, v57
	v_min_u16_e32 v59, v59, v57
	v_cndmask_b32_e32 v55, v55, v58, vcc
	v_lshlrev_b16_e32 v58, 8, v65
	v_or_b32_e32 v58, v59, v58
	v_and_b32_e32 v58, 0xffff, v58
	v_and_or_b32 v58, v56, s43, v58
	v_cmp_lt_u16_e32 vcc, v59, v65
	v_max_u16_e32 v61, v60, v66
	v_min_u16_e32 v60, v60, v66
	v_cndmask_b32_e32 v56, v56, v58, vcc
	v_lshlrev_b16_e32 v63, 8, v62
	v_cmp_gt_u16_e32 vcc, v57, v64
	v_max_u16_e32 v58, v59, v65
	v_min_u16_e32 v59, v59, v65
	v_or_b32_sdwa v63, v64, v63 dst_sel:WORD_1 dst_unused:UNUSED_PAD src0_sel:DWORD src1_sel:DWORD
	v_and_b32_sdwa v65, v55, s42 dst_sel:DWORD dst_unused:UNUSED_PAD src0_sel:WORD_1 src1_sel:DWORD
	v_cndmask_b32_e32 v57, v62, v64, vcc
	v_lshlrev_b16_e32 v62, 8, v60
	v_and_or_b32 v63, v56, s40, v63
	v_or_b32_sdwa v65, v54, v65 dst_sel:WORD_1 dst_unused:UNUSED_PAD src0_sel:DWORD src1_sel:DWORD
	v_or_b32_sdwa v62, v55, v62 dst_sel:DWORD dst_unused:UNUSED_PAD src0_sel:BYTE_0 src1_sel:DWORD
	v_cndmask_b32_e32 v56, v56, v63, vcc
	v_or_b32_sdwa v62, v62, v65 dst_sel:DWORD dst_unused:UNUSED_PAD src0_sel:WORD_0 src1_sel:DWORD
	v_cmp_lt_u16_e32 vcc, v60, v54
	v_cndmask_b32_e32 v54, v55, v62, vcc
	v_and_b32_e32 v60, 0xffffff00, v56
	v_and_b32_sdwa v55, v54, s36 dst_sel:DWORD dst_unused:UNUSED_PAD src0_sel:WORD_1 src1_sel:DWORD
	v_or_b32_e32 v60, v61, v60
	v_lshlrev_b16_e32 v62, 8, v59
	v_and_b32_e32 v60, 0xffff, v60
	v_or_b32_sdwa v55, v55, v62 dst_sel:WORD_1 dst_unused:UNUSED_PAD src0_sel:DWORD src1_sel:DWORD
	v_and_or_b32 v60, v56, s43, v60
	v_and_or_b32 v55, v54, s40, v55
	v_cmp_lt_u16_e32 vcc, v59, v61
	v_cndmask_b32_e32 v54, v54, v55, vcc
	v_cndmask_b32_e32 v55, v56, v60, vcc
	v_and_b32_sdwa v56, v55, s42 dst_sel:DWORD dst_unused:UNUSED_PAD src0_sel:WORD_1 src1_sel:DWORD
	v_lshlrev_b16_e32 v59, 8, v57
	v_or_b32_sdwa v56, v58, v56 dst_sel:WORD_1 dst_unused:UNUSED_PAD src0_sel:DWORD src1_sel:DWORD
	v_or_b32_sdwa v59, v55, v59 dst_sel:DWORD dst_unused:UNUSED_PAD src0_sel:BYTE_0 src1_sel:DWORD
	v_or_b32_sdwa v56, v59, v56 dst_sel:DWORD dst_unused:UNUSED_PAD src0_sel:WORD_0 src1_sel:DWORD
	v_cmp_lt_u16_e32 vcc, v57, v58
	v_cndmask_b32_e32 v55, v55, v56, vcc
	s_barrier
	ds_write_b64 v1, v[54:55]
	v_mov_b32_e32 v54, v32
	s_waitcnt lgkmcnt(0)
	s_barrier
	s_and_saveexec_b64 s[18:19], s[0:1]
	s_cbranch_execz .LBB118_6
; %bb.3:                                ;   in Loop: Header=BB118_2 Depth=1
	s_mov_b64 s[20:21], 0
	v_mov_b32_e32 v54, v32
	v_mov_b32_e32 v55, v29
.LBB118_4:                              ;   Parent Loop BB118_2 Depth=1
                                        ; =>  This Inner Loop Header: Depth=2
	v_sub_u32_e32 v56, v55, v54
	v_lshrrev_b32_e32 v56, 1, v56
	v_add_u32_e32 v56, v56, v54
	v_add_u32_e32 v57, v2, v56
	v_xad_u32 v58, v56, -1, v26
	ds_read_u8 v57, v57
	ds_read_u8 v58, v58
	v_add_u32_e32 v59, 1, v56
	s_waitcnt lgkmcnt(0)
	v_cmp_lt_u16_e32 vcc, v58, v57
	v_cndmask_b32_e32 v55, v55, v56, vcc
	v_cndmask_b32_e32 v54, v59, v54, vcc
	v_cmp_ge_i32_e32 vcc, v54, v55
	s_or_b64 s[20:21], vcc, s[20:21]
	s_andn2_b64 exec, exec, s[20:21]
	s_cbranch_execnz .LBB118_4
; %bb.5:                                ;   in Loop: Header=BB118_2 Depth=1
	s_or_b64 exec, exec, s[20:21]
.LBB118_6:                              ;   in Loop: Header=BB118_2 Depth=1
	s_or_b64 exec, exec, s[18:19]
	v_add_u32_e32 v58, v54, v2
	v_sub_u32_e32 v59, v26, v54
	ds_read_u8 v54, v58
	ds_read_u8 v55, v59
	v_cmp_le_i32_e64 s[18:19], v10, v58
	v_cmp_gt_i32_e32 vcc, v11, v59
                                        ; implicit-def: $vgpr56
	s_waitcnt lgkmcnt(0)
	v_cmp_lt_u16_sdwa s[20:21], v55, v54 src0_sel:BYTE_0 src1_sel:BYTE_0
	s_or_b64 s[18:19], s[18:19], s[20:21]
	s_and_b64 s[18:19], vcc, s[18:19]
	s_xor_b64 s[20:21], s[18:19], -1
	s_and_saveexec_b64 s[22:23], s[20:21]
	s_xor_b64 s[20:21], exec, s[22:23]
; %bb.7:                                ;   in Loop: Header=BB118_2 Depth=1
	ds_read_u8 v56, v58 offset:1
; %bb.8:                                ;   in Loop: Header=BB118_2 Depth=1
	s_or_saveexec_b64 s[20:21], s[20:21]
	v_mov_b32_e32 v57, v55
	s_xor_b64 exec, exec, s[20:21]
	s_cbranch_execz .LBB118_10
; %bb.9:                                ;   in Loop: Header=BB118_2 Depth=1
	ds_read_u8 v57, v59 offset:1
	s_waitcnt lgkmcnt(1)
	v_mov_b32_e32 v56, v54
.LBB118_10:                             ;   in Loop: Header=BB118_2 Depth=1
	s_or_b64 exec, exec, s[20:21]
	v_add_u32_e32 v61, 1, v58
	v_add_u32_e32 v60, 1, v59
	v_cndmask_b32_e64 v61, v61, v58, s[18:19]
	v_cndmask_b32_e64 v60, v59, v60, s[18:19]
	v_cmp_ge_i32_e64 s[20:21], v61, v10
	s_waitcnt lgkmcnt(0)
	v_cmp_lt_u16_sdwa s[22:23], v57, v56 src0_sel:BYTE_0 src1_sel:BYTE_0
	v_cmp_lt_i32_e32 vcc, v60, v11
	s_or_b64 s[20:21], s[20:21], s[22:23]
	s_and_b64 s[20:21], vcc, s[20:21]
	s_xor_b64 s[22:23], s[20:21], -1
                                        ; implicit-def: $vgpr58
	s_and_saveexec_b64 s[24:25], s[22:23]
	s_xor_b64 s[22:23], exec, s[24:25]
; %bb.11:                               ;   in Loop: Header=BB118_2 Depth=1
	ds_read_u8 v58, v61 offset:1
; %bb.12:                               ;   in Loop: Header=BB118_2 Depth=1
	s_or_saveexec_b64 s[22:23], s[22:23]
	v_mov_b32_e32 v59, v57
	s_xor_b64 exec, exec, s[22:23]
	s_cbranch_execz .LBB118_14
; %bb.13:                               ;   in Loop: Header=BB118_2 Depth=1
	ds_read_u8 v59, v60 offset:1
	s_waitcnt lgkmcnt(1)
	v_mov_b32_e32 v58, v56
.LBB118_14:                             ;   in Loop: Header=BB118_2 Depth=1
	s_or_b64 exec, exec, s[22:23]
	v_add_u32_e32 v63, 1, v61
	v_add_u32_e32 v62, 1, v60
	v_cndmask_b32_e64 v63, v63, v61, s[20:21]
	v_cndmask_b32_e64 v62, v60, v62, s[20:21]
	v_cmp_ge_i32_e64 s[22:23], v63, v10
	s_waitcnt lgkmcnt(0)
	v_cmp_lt_u16_sdwa s[24:25], v59, v58 src0_sel:BYTE_0 src1_sel:BYTE_0
	v_cmp_lt_i32_e32 vcc, v62, v11
	s_or_b64 s[22:23], s[22:23], s[24:25]
	s_and_b64 s[22:23], vcc, s[22:23]
	s_xor_b64 s[24:25], s[22:23], -1
                                        ; implicit-def: $vgpr60
	s_and_saveexec_b64 s[26:27], s[24:25]
	s_xor_b64 s[24:25], exec, s[26:27]
; %bb.15:                               ;   in Loop: Header=BB118_2 Depth=1
	ds_read_u8 v60, v63 offset:1
; %bb.16:                               ;   in Loop: Header=BB118_2 Depth=1
	s_or_saveexec_b64 s[24:25], s[24:25]
	v_mov_b32_e32 v61, v59
	s_xor_b64 exec, exec, s[24:25]
	s_cbranch_execz .LBB118_18
; %bb.17:                               ;   in Loop: Header=BB118_2 Depth=1
	ds_read_u8 v61, v62 offset:1
	s_waitcnt lgkmcnt(1)
	v_mov_b32_e32 v60, v58
.LBB118_18:                             ;   in Loop: Header=BB118_2 Depth=1
	s_or_b64 exec, exec, s[24:25]
	v_add_u32_e32 v65, 1, v63
	v_add_u32_e32 v64, 1, v62
	v_cndmask_b32_e64 v65, v65, v63, s[22:23]
	v_cndmask_b32_e64 v64, v62, v64, s[22:23]
	v_cmp_ge_i32_e64 s[24:25], v65, v10
	s_waitcnt lgkmcnt(0)
	v_cmp_lt_u16_sdwa s[26:27], v61, v60 src0_sel:BYTE_0 src1_sel:BYTE_0
	v_cmp_lt_i32_e32 vcc, v64, v11
	s_or_b64 s[24:25], s[24:25], s[26:27]
	s_and_b64 s[24:25], vcc, s[24:25]
	s_xor_b64 s[26:27], s[24:25], -1
                                        ; implicit-def: $vgpr62
	s_and_saveexec_b64 s[28:29], s[26:27]
	s_xor_b64 s[26:27], exec, s[28:29]
; %bb.19:                               ;   in Loop: Header=BB118_2 Depth=1
	ds_read_u8 v62, v65 offset:1
; %bb.20:                               ;   in Loop: Header=BB118_2 Depth=1
	s_or_saveexec_b64 s[26:27], s[26:27]
	v_mov_b32_e32 v63, v61
	s_xor_b64 exec, exec, s[26:27]
	s_cbranch_execz .LBB118_22
; %bb.21:                               ;   in Loop: Header=BB118_2 Depth=1
	ds_read_u8 v63, v64 offset:1
	s_waitcnt lgkmcnt(1)
	v_mov_b32_e32 v62, v60
.LBB118_22:                             ;   in Loop: Header=BB118_2 Depth=1
	s_or_b64 exec, exec, s[26:27]
	v_add_u32_e32 v67, 1, v65
	v_add_u32_e32 v66, 1, v64
	v_cndmask_b32_e64 v67, v67, v65, s[24:25]
	v_cndmask_b32_e64 v66, v64, v66, s[24:25]
	v_cmp_ge_i32_e64 s[26:27], v67, v10
	s_waitcnt lgkmcnt(0)
	v_cmp_lt_u16_sdwa s[28:29], v63, v62 src0_sel:BYTE_0 src1_sel:BYTE_0
	v_cmp_lt_i32_e32 vcc, v66, v11
	s_or_b64 s[26:27], s[26:27], s[28:29]
	s_and_b64 s[26:27], vcc, s[26:27]
	s_xor_b64 s[28:29], s[26:27], -1
                                        ; implicit-def: $vgpr64
	s_and_saveexec_b64 s[30:31], s[28:29]
	s_xor_b64 s[28:29], exec, s[30:31]
; %bb.23:                               ;   in Loop: Header=BB118_2 Depth=1
	ds_read_u8 v64, v67 offset:1
; %bb.24:                               ;   in Loop: Header=BB118_2 Depth=1
	s_or_saveexec_b64 s[28:29], s[28:29]
	v_mov_b32_e32 v65, v63
	s_xor_b64 exec, exec, s[28:29]
	s_cbranch_execz .LBB118_26
; %bb.25:                               ;   in Loop: Header=BB118_2 Depth=1
	ds_read_u8 v65, v66 offset:1
	s_waitcnt lgkmcnt(1)
	v_mov_b32_e32 v64, v62
.LBB118_26:                             ;   in Loop: Header=BB118_2 Depth=1
	s_or_b64 exec, exec, s[28:29]
	v_add_u32_e32 v69, 1, v67
	v_add_u32_e32 v68, 1, v66
	v_cndmask_b32_e64 v70, v69, v67, s[26:27]
	v_cndmask_b32_e64 v68, v66, v68, s[26:27]
	v_cmp_ge_i32_e64 s[28:29], v70, v10
	s_waitcnt lgkmcnt(0)
	v_cmp_lt_u16_sdwa s[30:31], v65, v64 src0_sel:BYTE_0 src1_sel:BYTE_0
	v_cmp_lt_i32_e32 vcc, v68, v11
	s_or_b64 s[28:29], s[28:29], s[30:31]
	s_and_b64 vcc, vcc, s[28:29]
	s_xor_b64 s[28:29], vcc, -1
                                        ; implicit-def: $vgpr66
	s_and_saveexec_b64 s[30:31], s[28:29]
	s_xor_b64 s[28:29], exec, s[30:31]
; %bb.27:                               ;   in Loop: Header=BB118_2 Depth=1
	ds_read_u8 v66, v70 offset:1
; %bb.28:                               ;   in Loop: Header=BB118_2 Depth=1
	s_or_saveexec_b64 s[28:29], s[28:29]
	v_mov_b32_e32 v67, v65
	s_xor_b64 exec, exec, s[28:29]
	s_cbranch_execz .LBB118_30
; %bb.29:                               ;   in Loop: Header=BB118_2 Depth=1
	ds_read_u8 v67, v68 offset:1
	s_waitcnt lgkmcnt(1)
	v_mov_b32_e32 v66, v64
.LBB118_30:                             ;   in Loop: Header=BB118_2 Depth=1
	s_or_b64 exec, exec, s[28:29]
	v_add_u32_e32 v71, 1, v70
	v_add_u32_e32 v69, 1, v68
	v_cndmask_b32_e32 v70, v71, v70, vcc
	v_cndmask_b32_e32 v69, v68, v69, vcc
	v_cmp_ge_i32_e64 s[30:31], v70, v10
	s_waitcnt lgkmcnt(0)
	v_cmp_lt_u16_sdwa s[46:47], v67, v66 src0_sel:BYTE_0 src1_sel:BYTE_0
	v_cmp_lt_i32_e64 s[28:29], v69, v11
	s_or_b64 s[30:31], s[30:31], s[46:47]
	s_and_b64 s[28:29], s[28:29], s[30:31]
	s_xor_b64 s[30:31], s[28:29], -1
                                        ; implicit-def: $vgpr68
	s_and_saveexec_b64 s[46:47], s[30:31]
	s_xor_b64 s[30:31], exec, s[46:47]
; %bb.31:                               ;   in Loop: Header=BB118_2 Depth=1
	ds_read_u8 v68, v70 offset:1
; %bb.32:                               ;   in Loop: Header=BB118_2 Depth=1
	s_or_saveexec_b64 s[30:31], s[30:31]
	v_mov_b32_e32 v71, v67
	s_xor_b64 exec, exec, s[30:31]
	s_cbranch_execz .LBB118_34
; %bb.33:                               ;   in Loop: Header=BB118_2 Depth=1
	ds_read_u8 v71, v69 offset:1
	s_waitcnt lgkmcnt(1)
	v_mov_b32_e32 v68, v66
.LBB118_34:                             ;   in Loop: Header=BB118_2 Depth=1
	s_or_b64 exec, exec, s[30:31]
	v_cndmask_b32_e64 v66, v66, v67, s[28:29]
	v_add_u32_e32 v67, 1, v69
	v_add_u32_e32 v72, 1, v70
	v_cndmask_b32_e64 v67, v69, v67, s[28:29]
	v_cndmask_b32_e64 v69, v72, v70, s[28:29]
	v_cndmask_b32_sdwa v64, v64, v65, vcc dst_sel:BYTE_1 dst_unused:UNUSED_PAD src0_sel:DWORD src1_sel:DWORD
	s_mov_b64 vcc, s[24:25]
	v_cndmask_b32_e64 v56, v56, v57, s[20:21]
	v_cndmask_b32_e64 v54, v54, v55, s[18:19]
	v_cmp_ge_i32_e64 s[18:19], v69, v10
	s_waitcnt lgkmcnt(0)
	v_cmp_lt_u16_sdwa s[20:21], v71, v68 src0_sel:BYTE_0 src1_sel:BYTE_0
	v_cndmask_b32_sdwa v60, v60, v61, vcc dst_sel:BYTE_1 dst_unused:UNUSED_PAD src0_sel:DWORD src1_sel:DWORD
	v_cmp_lt_i32_e32 vcc, v67, v11
	s_or_b64 s[18:19], s[18:19], s[20:21]
	s_and_b64 vcc, vcc, s[18:19]
	v_cndmask_b32_e64 v58, v58, v59, s[22:23]
	v_cndmask_b32_e32 v55, v68, v71, vcc
	v_lshlrev_b16_e32 v56, 8, v56
	v_cndmask_b32_e64 v62, v62, v63, s[26:27]
	v_or_b32_sdwa v54, v54, v56 dst_sel:DWORD dst_unused:UNUSED_PAD src0_sel:BYTE_0 src1_sel:DWORD
	v_or_b32_sdwa v56, v58, v60 dst_sel:WORD_1 dst_unused:UNUSED_PAD src0_sel:BYTE_0 src1_sel:DWORD
	v_lshlrev_b16_e32 v55, 8, v55
	v_or_b32_sdwa v54, v54, v56 dst_sel:DWORD dst_unused:UNUSED_PAD src0_sel:WORD_0 src1_sel:DWORD
	v_or_b32_sdwa v56, v62, v64 dst_sel:DWORD dst_unused:UNUSED_PAD src0_sel:BYTE_0 src1_sel:DWORD
	v_or_b32_sdwa v55, v66, v55 dst_sel:WORD_1 dst_unused:UNUSED_PAD src0_sel:BYTE_0 src1_sel:DWORD
	v_or_b32_sdwa v55, v56, v55 dst_sel:DWORD dst_unused:UNUSED_PAD src0_sel:WORD_0 src1_sel:DWORD
	s_barrier
	ds_write_b64 v1, v[54:55]
	v_mov_b32_e32 v54, v33
	s_waitcnt lgkmcnt(0)
	s_barrier
	s_and_saveexec_b64 s[18:19], s[2:3]
	s_cbranch_execz .LBB118_38
; %bb.35:                               ;   in Loop: Header=BB118_2 Depth=1
	s_mov_b64 s[20:21], 0
	v_mov_b32_e32 v54, v33
	v_mov_b32_e32 v55, v30
.LBB118_36:                             ;   Parent Loop BB118_2 Depth=1
                                        ; =>  This Inner Loop Header: Depth=2
	v_sub_u32_e32 v56, v55, v54
	v_lshrrev_b32_e32 v56, 1, v56
	v_add_u32_e32 v56, v56, v54
	v_add_u32_e32 v57, v3, v56
	v_xad_u32 v58, v56, -1, v27
	ds_read_u8 v57, v57
	ds_read_u8 v58, v58
	v_add_u32_e32 v59, 1, v56
	s_waitcnt lgkmcnt(0)
	v_cmp_lt_u16_e32 vcc, v58, v57
	v_cndmask_b32_e32 v55, v55, v56, vcc
	v_cndmask_b32_e32 v54, v59, v54, vcc
	v_cmp_ge_i32_e32 vcc, v54, v55
	s_or_b64 s[20:21], vcc, s[20:21]
	s_andn2_b64 exec, exec, s[20:21]
	s_cbranch_execnz .LBB118_36
; %bb.37:                               ;   in Loop: Header=BB118_2 Depth=1
	s_or_b64 exec, exec, s[20:21]
.LBB118_38:                             ;   in Loop: Header=BB118_2 Depth=1
	s_or_b64 exec, exec, s[18:19]
	v_add_u32_e32 v58, v54, v3
	v_sub_u32_e32 v59, v27, v54
	ds_read_u8 v54, v58
	ds_read_u8 v55, v59
	v_cmp_le_i32_e64 s[18:19], v12, v58
	v_cmp_gt_i32_e32 vcc, v13, v59
                                        ; implicit-def: $vgpr56
	s_waitcnt lgkmcnt(0)
	v_cmp_lt_u16_sdwa s[20:21], v55, v54 src0_sel:BYTE_0 src1_sel:BYTE_0
	s_or_b64 s[18:19], s[18:19], s[20:21]
	s_and_b64 s[18:19], vcc, s[18:19]
	s_xor_b64 s[20:21], s[18:19], -1
	s_and_saveexec_b64 s[22:23], s[20:21]
	s_xor_b64 s[20:21], exec, s[22:23]
; %bb.39:                               ;   in Loop: Header=BB118_2 Depth=1
	ds_read_u8 v56, v58 offset:1
; %bb.40:                               ;   in Loop: Header=BB118_2 Depth=1
	s_or_saveexec_b64 s[20:21], s[20:21]
	v_mov_b32_e32 v57, v55
	s_xor_b64 exec, exec, s[20:21]
	s_cbranch_execz .LBB118_42
; %bb.41:                               ;   in Loop: Header=BB118_2 Depth=1
	ds_read_u8 v57, v59 offset:1
	s_waitcnt lgkmcnt(1)
	v_mov_b32_e32 v56, v54
.LBB118_42:                             ;   in Loop: Header=BB118_2 Depth=1
	s_or_b64 exec, exec, s[20:21]
	v_add_u32_e32 v61, 1, v58
	v_add_u32_e32 v60, 1, v59
	v_cndmask_b32_e64 v61, v61, v58, s[18:19]
	v_cndmask_b32_e64 v60, v59, v60, s[18:19]
	v_cmp_ge_i32_e64 s[20:21], v61, v12
	s_waitcnt lgkmcnt(0)
	v_cmp_lt_u16_sdwa s[22:23], v57, v56 src0_sel:BYTE_0 src1_sel:BYTE_0
	v_cmp_lt_i32_e32 vcc, v60, v13
	s_or_b64 s[20:21], s[20:21], s[22:23]
	s_and_b64 s[20:21], vcc, s[20:21]
	s_xor_b64 s[22:23], s[20:21], -1
                                        ; implicit-def: $vgpr58
	s_and_saveexec_b64 s[24:25], s[22:23]
	s_xor_b64 s[22:23], exec, s[24:25]
; %bb.43:                               ;   in Loop: Header=BB118_2 Depth=1
	ds_read_u8 v58, v61 offset:1
; %bb.44:                               ;   in Loop: Header=BB118_2 Depth=1
	s_or_saveexec_b64 s[22:23], s[22:23]
	v_mov_b32_e32 v59, v57
	s_xor_b64 exec, exec, s[22:23]
	s_cbranch_execz .LBB118_46
; %bb.45:                               ;   in Loop: Header=BB118_2 Depth=1
	ds_read_u8 v59, v60 offset:1
	s_waitcnt lgkmcnt(1)
	v_mov_b32_e32 v58, v56
.LBB118_46:                             ;   in Loop: Header=BB118_2 Depth=1
	s_or_b64 exec, exec, s[22:23]
	v_add_u32_e32 v63, 1, v61
	v_add_u32_e32 v62, 1, v60
	v_cndmask_b32_e64 v63, v63, v61, s[20:21]
	v_cndmask_b32_e64 v62, v60, v62, s[20:21]
	v_cmp_ge_i32_e64 s[22:23], v63, v12
	s_waitcnt lgkmcnt(0)
	v_cmp_lt_u16_sdwa s[24:25], v59, v58 src0_sel:BYTE_0 src1_sel:BYTE_0
	v_cmp_lt_i32_e32 vcc, v62, v13
	s_or_b64 s[22:23], s[22:23], s[24:25]
	s_and_b64 s[22:23], vcc, s[22:23]
	s_xor_b64 s[24:25], s[22:23], -1
                                        ; implicit-def: $vgpr60
	s_and_saveexec_b64 s[26:27], s[24:25]
	s_xor_b64 s[24:25], exec, s[26:27]
; %bb.47:                               ;   in Loop: Header=BB118_2 Depth=1
	ds_read_u8 v60, v63 offset:1
; %bb.48:                               ;   in Loop: Header=BB118_2 Depth=1
	s_or_saveexec_b64 s[24:25], s[24:25]
	v_mov_b32_e32 v61, v59
	s_xor_b64 exec, exec, s[24:25]
	s_cbranch_execz .LBB118_50
; %bb.49:                               ;   in Loop: Header=BB118_2 Depth=1
	ds_read_u8 v61, v62 offset:1
	s_waitcnt lgkmcnt(1)
	v_mov_b32_e32 v60, v58
.LBB118_50:                             ;   in Loop: Header=BB118_2 Depth=1
	s_or_b64 exec, exec, s[24:25]
	v_add_u32_e32 v65, 1, v63
	v_add_u32_e32 v64, 1, v62
	v_cndmask_b32_e64 v65, v65, v63, s[22:23]
	v_cndmask_b32_e64 v64, v62, v64, s[22:23]
	v_cmp_ge_i32_e64 s[24:25], v65, v12
	s_waitcnt lgkmcnt(0)
	v_cmp_lt_u16_sdwa s[26:27], v61, v60 src0_sel:BYTE_0 src1_sel:BYTE_0
	v_cmp_lt_i32_e32 vcc, v64, v13
	s_or_b64 s[24:25], s[24:25], s[26:27]
	s_and_b64 s[24:25], vcc, s[24:25]
	s_xor_b64 s[26:27], s[24:25], -1
                                        ; implicit-def: $vgpr62
	s_and_saveexec_b64 s[28:29], s[26:27]
	s_xor_b64 s[26:27], exec, s[28:29]
; %bb.51:                               ;   in Loop: Header=BB118_2 Depth=1
	ds_read_u8 v62, v65 offset:1
; %bb.52:                               ;   in Loop: Header=BB118_2 Depth=1
	s_or_saveexec_b64 s[26:27], s[26:27]
	v_mov_b32_e32 v63, v61
	s_xor_b64 exec, exec, s[26:27]
	s_cbranch_execz .LBB118_54
; %bb.53:                               ;   in Loop: Header=BB118_2 Depth=1
	ds_read_u8 v63, v64 offset:1
	s_waitcnt lgkmcnt(1)
	v_mov_b32_e32 v62, v60
.LBB118_54:                             ;   in Loop: Header=BB118_2 Depth=1
	s_or_b64 exec, exec, s[26:27]
	v_add_u32_e32 v67, 1, v65
	v_add_u32_e32 v66, 1, v64
	v_cndmask_b32_e64 v67, v67, v65, s[24:25]
	v_cndmask_b32_e64 v66, v64, v66, s[24:25]
	v_cmp_ge_i32_e64 s[26:27], v67, v12
	s_waitcnt lgkmcnt(0)
	v_cmp_lt_u16_sdwa s[28:29], v63, v62 src0_sel:BYTE_0 src1_sel:BYTE_0
	v_cmp_lt_i32_e32 vcc, v66, v13
	s_or_b64 s[26:27], s[26:27], s[28:29]
	s_and_b64 s[26:27], vcc, s[26:27]
	s_xor_b64 s[28:29], s[26:27], -1
                                        ; implicit-def: $vgpr64
	s_and_saveexec_b64 s[30:31], s[28:29]
	s_xor_b64 s[28:29], exec, s[30:31]
; %bb.55:                               ;   in Loop: Header=BB118_2 Depth=1
	ds_read_u8 v64, v67 offset:1
; %bb.56:                               ;   in Loop: Header=BB118_2 Depth=1
	s_or_saveexec_b64 s[28:29], s[28:29]
	v_mov_b32_e32 v65, v63
	s_xor_b64 exec, exec, s[28:29]
	s_cbranch_execz .LBB118_58
; %bb.57:                               ;   in Loop: Header=BB118_2 Depth=1
	ds_read_u8 v65, v66 offset:1
	s_waitcnt lgkmcnt(1)
	v_mov_b32_e32 v64, v62
.LBB118_58:                             ;   in Loop: Header=BB118_2 Depth=1
	s_or_b64 exec, exec, s[28:29]
	v_add_u32_e32 v69, 1, v67
	v_add_u32_e32 v68, 1, v66
	v_cndmask_b32_e64 v70, v69, v67, s[26:27]
	v_cndmask_b32_e64 v68, v66, v68, s[26:27]
	v_cmp_ge_i32_e64 s[28:29], v70, v12
	s_waitcnt lgkmcnt(0)
	v_cmp_lt_u16_sdwa s[30:31], v65, v64 src0_sel:BYTE_0 src1_sel:BYTE_0
	v_cmp_lt_i32_e32 vcc, v68, v13
	s_or_b64 s[28:29], s[28:29], s[30:31]
	s_and_b64 vcc, vcc, s[28:29]
	s_xor_b64 s[28:29], vcc, -1
                                        ; implicit-def: $vgpr66
	s_and_saveexec_b64 s[30:31], s[28:29]
	s_xor_b64 s[28:29], exec, s[30:31]
; %bb.59:                               ;   in Loop: Header=BB118_2 Depth=1
	ds_read_u8 v66, v70 offset:1
; %bb.60:                               ;   in Loop: Header=BB118_2 Depth=1
	s_or_saveexec_b64 s[28:29], s[28:29]
	v_mov_b32_e32 v67, v65
	s_xor_b64 exec, exec, s[28:29]
	s_cbranch_execz .LBB118_62
; %bb.61:                               ;   in Loop: Header=BB118_2 Depth=1
	ds_read_u8 v67, v68 offset:1
	s_waitcnt lgkmcnt(1)
	v_mov_b32_e32 v66, v64
.LBB118_62:                             ;   in Loop: Header=BB118_2 Depth=1
	s_or_b64 exec, exec, s[28:29]
	v_add_u32_e32 v71, 1, v70
	v_add_u32_e32 v69, 1, v68
	v_cndmask_b32_e32 v70, v71, v70, vcc
	v_cndmask_b32_e32 v69, v68, v69, vcc
	v_cmp_ge_i32_e64 s[30:31], v70, v12
	s_waitcnt lgkmcnt(0)
	v_cmp_lt_u16_sdwa s[46:47], v67, v66 src0_sel:BYTE_0 src1_sel:BYTE_0
	v_cmp_lt_i32_e64 s[28:29], v69, v13
	s_or_b64 s[30:31], s[30:31], s[46:47]
	s_and_b64 s[28:29], s[28:29], s[30:31]
	s_xor_b64 s[30:31], s[28:29], -1
                                        ; implicit-def: $vgpr68
	s_and_saveexec_b64 s[46:47], s[30:31]
	s_xor_b64 s[30:31], exec, s[46:47]
; %bb.63:                               ;   in Loop: Header=BB118_2 Depth=1
	ds_read_u8 v68, v70 offset:1
; %bb.64:                               ;   in Loop: Header=BB118_2 Depth=1
	s_or_saveexec_b64 s[30:31], s[30:31]
	v_mov_b32_e32 v71, v67
	s_xor_b64 exec, exec, s[30:31]
	s_cbranch_execz .LBB118_66
; %bb.65:                               ;   in Loop: Header=BB118_2 Depth=1
	ds_read_u8 v71, v69 offset:1
	s_waitcnt lgkmcnt(1)
	v_mov_b32_e32 v68, v66
.LBB118_66:                             ;   in Loop: Header=BB118_2 Depth=1
	s_or_b64 exec, exec, s[30:31]
	v_cndmask_b32_e64 v66, v66, v67, s[28:29]
	v_add_u32_e32 v67, 1, v69
	v_add_u32_e32 v72, 1, v70
	v_cndmask_b32_e64 v67, v69, v67, s[28:29]
	v_cndmask_b32_e64 v69, v72, v70, s[28:29]
	v_cndmask_b32_sdwa v64, v64, v65, vcc dst_sel:BYTE_1 dst_unused:UNUSED_PAD src0_sel:DWORD src1_sel:DWORD
	s_mov_b64 vcc, s[24:25]
	v_cndmask_b32_e64 v56, v56, v57, s[20:21]
	v_cndmask_b32_e64 v54, v54, v55, s[18:19]
	v_cmp_ge_i32_e64 s[18:19], v69, v12
	s_waitcnt lgkmcnt(0)
	v_cmp_lt_u16_sdwa s[20:21], v71, v68 src0_sel:BYTE_0 src1_sel:BYTE_0
	v_cndmask_b32_sdwa v60, v60, v61, vcc dst_sel:BYTE_1 dst_unused:UNUSED_PAD src0_sel:DWORD src1_sel:DWORD
	v_cmp_lt_i32_e32 vcc, v67, v13
	s_or_b64 s[18:19], s[18:19], s[20:21]
	s_and_b64 vcc, vcc, s[18:19]
	v_cndmask_b32_e64 v58, v58, v59, s[22:23]
	v_cndmask_b32_e32 v55, v68, v71, vcc
	v_lshlrev_b16_e32 v56, 8, v56
	v_cndmask_b32_e64 v62, v62, v63, s[26:27]
	v_or_b32_sdwa v54, v54, v56 dst_sel:DWORD dst_unused:UNUSED_PAD src0_sel:BYTE_0 src1_sel:DWORD
	v_or_b32_sdwa v56, v58, v60 dst_sel:WORD_1 dst_unused:UNUSED_PAD src0_sel:BYTE_0 src1_sel:DWORD
	v_lshlrev_b16_e32 v55, 8, v55
	v_or_b32_sdwa v54, v54, v56 dst_sel:DWORD dst_unused:UNUSED_PAD src0_sel:WORD_0 src1_sel:DWORD
	v_or_b32_sdwa v56, v62, v64 dst_sel:DWORD dst_unused:UNUSED_PAD src0_sel:BYTE_0 src1_sel:DWORD
	v_or_b32_sdwa v55, v66, v55 dst_sel:WORD_1 dst_unused:UNUSED_PAD src0_sel:BYTE_0 src1_sel:DWORD
	v_or_b32_sdwa v55, v56, v55 dst_sel:DWORD dst_unused:UNUSED_PAD src0_sel:WORD_0 src1_sel:DWORD
	s_barrier
	ds_write_b64 v1, v[54:55]
	v_mov_b32_e32 v54, v34
	s_waitcnt lgkmcnt(0)
	s_barrier
	s_and_saveexec_b64 s[18:19], s[4:5]
	s_cbranch_execz .LBB118_70
; %bb.67:                               ;   in Loop: Header=BB118_2 Depth=1
	s_mov_b64 s[20:21], 0
	v_mov_b32_e32 v54, v34
	v_mov_b32_e32 v55, v31
.LBB118_68:                             ;   Parent Loop BB118_2 Depth=1
                                        ; =>  This Inner Loop Header: Depth=2
	v_sub_u32_e32 v56, v55, v54
	v_lshrrev_b32_e32 v56, 1, v56
	v_add_u32_e32 v56, v56, v54
	v_add_u32_e32 v57, v4, v56
	v_xad_u32 v58, v56, -1, v28
	ds_read_u8 v57, v57
	ds_read_u8 v58, v58
	v_add_u32_e32 v59, 1, v56
	s_waitcnt lgkmcnt(0)
	v_cmp_lt_u16_e32 vcc, v58, v57
	v_cndmask_b32_e32 v55, v55, v56, vcc
	v_cndmask_b32_e32 v54, v59, v54, vcc
	v_cmp_ge_i32_e32 vcc, v54, v55
	s_or_b64 s[20:21], vcc, s[20:21]
	s_andn2_b64 exec, exec, s[20:21]
	s_cbranch_execnz .LBB118_68
; %bb.69:                               ;   in Loop: Header=BB118_2 Depth=1
	s_or_b64 exec, exec, s[20:21]
.LBB118_70:                             ;   in Loop: Header=BB118_2 Depth=1
	s_or_b64 exec, exec, s[18:19]
	v_add_u32_e32 v58, v54, v4
	v_sub_u32_e32 v59, v28, v54
	ds_read_u8 v54, v58
	ds_read_u8 v55, v59
	v_cmp_le_i32_e64 s[18:19], v14, v58
	v_cmp_gt_i32_e32 vcc, v15, v59
                                        ; implicit-def: $vgpr56
	s_waitcnt lgkmcnt(0)
	v_cmp_lt_u16_sdwa s[20:21], v55, v54 src0_sel:BYTE_0 src1_sel:BYTE_0
	s_or_b64 s[18:19], s[18:19], s[20:21]
	s_and_b64 s[18:19], vcc, s[18:19]
	s_xor_b64 s[20:21], s[18:19], -1
	s_and_saveexec_b64 s[22:23], s[20:21]
	s_xor_b64 s[20:21], exec, s[22:23]
; %bb.71:                               ;   in Loop: Header=BB118_2 Depth=1
	ds_read_u8 v56, v58 offset:1
; %bb.72:                               ;   in Loop: Header=BB118_2 Depth=1
	s_or_saveexec_b64 s[20:21], s[20:21]
	v_mov_b32_e32 v57, v55
	s_xor_b64 exec, exec, s[20:21]
	s_cbranch_execz .LBB118_74
; %bb.73:                               ;   in Loop: Header=BB118_2 Depth=1
	ds_read_u8 v57, v59 offset:1
	s_waitcnt lgkmcnt(1)
	v_mov_b32_e32 v56, v54
.LBB118_74:                             ;   in Loop: Header=BB118_2 Depth=1
	s_or_b64 exec, exec, s[20:21]
	v_add_u32_e32 v61, 1, v58
	v_add_u32_e32 v60, 1, v59
	v_cndmask_b32_e64 v61, v61, v58, s[18:19]
	v_cndmask_b32_e64 v60, v59, v60, s[18:19]
	v_cmp_ge_i32_e64 s[20:21], v61, v14
	s_waitcnt lgkmcnt(0)
	v_cmp_lt_u16_sdwa s[22:23], v57, v56 src0_sel:BYTE_0 src1_sel:BYTE_0
	v_cmp_lt_i32_e32 vcc, v60, v15
	s_or_b64 s[20:21], s[20:21], s[22:23]
	s_and_b64 s[20:21], vcc, s[20:21]
	s_xor_b64 s[22:23], s[20:21], -1
                                        ; implicit-def: $vgpr58
	s_and_saveexec_b64 s[24:25], s[22:23]
	s_xor_b64 s[22:23], exec, s[24:25]
; %bb.75:                               ;   in Loop: Header=BB118_2 Depth=1
	ds_read_u8 v58, v61 offset:1
; %bb.76:                               ;   in Loop: Header=BB118_2 Depth=1
	s_or_saveexec_b64 s[22:23], s[22:23]
	v_mov_b32_e32 v59, v57
	s_xor_b64 exec, exec, s[22:23]
	s_cbranch_execz .LBB118_78
; %bb.77:                               ;   in Loop: Header=BB118_2 Depth=1
	ds_read_u8 v59, v60 offset:1
	s_waitcnt lgkmcnt(1)
	v_mov_b32_e32 v58, v56
.LBB118_78:                             ;   in Loop: Header=BB118_2 Depth=1
	s_or_b64 exec, exec, s[22:23]
	v_add_u32_e32 v63, 1, v61
	v_add_u32_e32 v62, 1, v60
	v_cndmask_b32_e64 v63, v63, v61, s[20:21]
	v_cndmask_b32_e64 v62, v60, v62, s[20:21]
	v_cmp_ge_i32_e64 s[22:23], v63, v14
	s_waitcnt lgkmcnt(0)
	v_cmp_lt_u16_sdwa s[24:25], v59, v58 src0_sel:BYTE_0 src1_sel:BYTE_0
	v_cmp_lt_i32_e32 vcc, v62, v15
	s_or_b64 s[22:23], s[22:23], s[24:25]
	s_and_b64 s[22:23], vcc, s[22:23]
	s_xor_b64 s[24:25], s[22:23], -1
                                        ; implicit-def: $vgpr60
	s_and_saveexec_b64 s[26:27], s[24:25]
	s_xor_b64 s[24:25], exec, s[26:27]
; %bb.79:                               ;   in Loop: Header=BB118_2 Depth=1
	ds_read_u8 v60, v63 offset:1
; %bb.80:                               ;   in Loop: Header=BB118_2 Depth=1
	s_or_saveexec_b64 s[24:25], s[24:25]
	v_mov_b32_e32 v61, v59
	s_xor_b64 exec, exec, s[24:25]
	s_cbranch_execz .LBB118_82
; %bb.81:                               ;   in Loop: Header=BB118_2 Depth=1
	ds_read_u8 v61, v62 offset:1
	s_waitcnt lgkmcnt(1)
	v_mov_b32_e32 v60, v58
.LBB118_82:                             ;   in Loop: Header=BB118_2 Depth=1
	s_or_b64 exec, exec, s[24:25]
	v_add_u32_e32 v65, 1, v63
	v_add_u32_e32 v64, 1, v62
	v_cndmask_b32_e64 v65, v65, v63, s[22:23]
	v_cndmask_b32_e64 v64, v62, v64, s[22:23]
	v_cmp_ge_i32_e64 s[24:25], v65, v14
	s_waitcnt lgkmcnt(0)
	v_cmp_lt_u16_sdwa s[26:27], v61, v60 src0_sel:BYTE_0 src1_sel:BYTE_0
	v_cmp_lt_i32_e32 vcc, v64, v15
	s_or_b64 s[24:25], s[24:25], s[26:27]
	s_and_b64 s[24:25], vcc, s[24:25]
	s_xor_b64 s[26:27], s[24:25], -1
                                        ; implicit-def: $vgpr62
	s_and_saveexec_b64 s[28:29], s[26:27]
	s_xor_b64 s[26:27], exec, s[28:29]
; %bb.83:                               ;   in Loop: Header=BB118_2 Depth=1
	ds_read_u8 v62, v65 offset:1
; %bb.84:                               ;   in Loop: Header=BB118_2 Depth=1
	s_or_saveexec_b64 s[26:27], s[26:27]
	v_mov_b32_e32 v63, v61
	s_xor_b64 exec, exec, s[26:27]
	s_cbranch_execz .LBB118_86
; %bb.85:                               ;   in Loop: Header=BB118_2 Depth=1
	ds_read_u8 v63, v64 offset:1
	s_waitcnt lgkmcnt(1)
	v_mov_b32_e32 v62, v60
.LBB118_86:                             ;   in Loop: Header=BB118_2 Depth=1
	s_or_b64 exec, exec, s[26:27]
	v_add_u32_e32 v67, 1, v65
	v_add_u32_e32 v66, 1, v64
	v_cndmask_b32_e64 v67, v67, v65, s[24:25]
	v_cndmask_b32_e64 v66, v64, v66, s[24:25]
	v_cmp_ge_i32_e64 s[26:27], v67, v14
	s_waitcnt lgkmcnt(0)
	v_cmp_lt_u16_sdwa s[28:29], v63, v62 src0_sel:BYTE_0 src1_sel:BYTE_0
	v_cmp_lt_i32_e32 vcc, v66, v15
	s_or_b64 s[26:27], s[26:27], s[28:29]
	s_and_b64 s[26:27], vcc, s[26:27]
	s_xor_b64 s[28:29], s[26:27], -1
                                        ; implicit-def: $vgpr64
	s_and_saveexec_b64 s[30:31], s[28:29]
	s_xor_b64 s[28:29], exec, s[30:31]
; %bb.87:                               ;   in Loop: Header=BB118_2 Depth=1
	ds_read_u8 v64, v67 offset:1
; %bb.88:                               ;   in Loop: Header=BB118_2 Depth=1
	s_or_saveexec_b64 s[28:29], s[28:29]
	v_mov_b32_e32 v65, v63
	s_xor_b64 exec, exec, s[28:29]
	s_cbranch_execz .LBB118_90
; %bb.89:                               ;   in Loop: Header=BB118_2 Depth=1
	ds_read_u8 v65, v66 offset:1
	s_waitcnt lgkmcnt(1)
	v_mov_b32_e32 v64, v62
.LBB118_90:                             ;   in Loop: Header=BB118_2 Depth=1
	s_or_b64 exec, exec, s[28:29]
	v_add_u32_e32 v69, 1, v67
	v_add_u32_e32 v68, 1, v66
	v_cndmask_b32_e64 v70, v69, v67, s[26:27]
	v_cndmask_b32_e64 v68, v66, v68, s[26:27]
	v_cmp_ge_i32_e64 s[28:29], v70, v14
	s_waitcnt lgkmcnt(0)
	v_cmp_lt_u16_sdwa s[30:31], v65, v64 src0_sel:BYTE_0 src1_sel:BYTE_0
	v_cmp_lt_i32_e32 vcc, v68, v15
	s_or_b64 s[28:29], s[28:29], s[30:31]
	s_and_b64 vcc, vcc, s[28:29]
	s_xor_b64 s[28:29], vcc, -1
                                        ; implicit-def: $vgpr66
	s_and_saveexec_b64 s[30:31], s[28:29]
	s_xor_b64 s[28:29], exec, s[30:31]
; %bb.91:                               ;   in Loop: Header=BB118_2 Depth=1
	ds_read_u8 v66, v70 offset:1
; %bb.92:                               ;   in Loop: Header=BB118_2 Depth=1
	s_or_saveexec_b64 s[28:29], s[28:29]
	v_mov_b32_e32 v67, v65
	s_xor_b64 exec, exec, s[28:29]
	s_cbranch_execz .LBB118_94
; %bb.93:                               ;   in Loop: Header=BB118_2 Depth=1
	ds_read_u8 v67, v68 offset:1
	s_waitcnt lgkmcnt(1)
	v_mov_b32_e32 v66, v64
.LBB118_94:                             ;   in Loop: Header=BB118_2 Depth=1
	s_or_b64 exec, exec, s[28:29]
	v_add_u32_e32 v71, 1, v70
	v_add_u32_e32 v69, 1, v68
	v_cndmask_b32_e32 v70, v71, v70, vcc
	v_cndmask_b32_e32 v69, v68, v69, vcc
	v_cmp_ge_i32_e64 s[30:31], v70, v14
	s_waitcnt lgkmcnt(0)
	v_cmp_lt_u16_sdwa s[46:47], v67, v66 src0_sel:BYTE_0 src1_sel:BYTE_0
	v_cmp_lt_i32_e64 s[28:29], v69, v15
	s_or_b64 s[30:31], s[30:31], s[46:47]
	s_and_b64 s[28:29], s[28:29], s[30:31]
	s_xor_b64 s[30:31], s[28:29], -1
                                        ; implicit-def: $vgpr68
	s_and_saveexec_b64 s[46:47], s[30:31]
	s_xor_b64 s[30:31], exec, s[46:47]
; %bb.95:                               ;   in Loop: Header=BB118_2 Depth=1
	ds_read_u8 v68, v70 offset:1
; %bb.96:                               ;   in Loop: Header=BB118_2 Depth=1
	s_or_saveexec_b64 s[30:31], s[30:31]
	v_mov_b32_e32 v71, v67
	s_xor_b64 exec, exec, s[30:31]
	s_cbranch_execz .LBB118_98
; %bb.97:                               ;   in Loop: Header=BB118_2 Depth=1
	ds_read_u8 v71, v69 offset:1
	s_waitcnt lgkmcnt(1)
	v_mov_b32_e32 v68, v66
.LBB118_98:                             ;   in Loop: Header=BB118_2 Depth=1
	s_or_b64 exec, exec, s[30:31]
	v_cndmask_b32_e64 v66, v66, v67, s[28:29]
	v_add_u32_e32 v67, 1, v69
	v_add_u32_e32 v72, 1, v70
	v_cndmask_b32_e64 v67, v69, v67, s[28:29]
	v_cndmask_b32_e64 v69, v72, v70, s[28:29]
	v_cndmask_b32_sdwa v64, v64, v65, vcc dst_sel:BYTE_1 dst_unused:UNUSED_PAD src0_sel:DWORD src1_sel:DWORD
	s_mov_b64 vcc, s[24:25]
	v_cndmask_b32_e64 v56, v56, v57, s[20:21]
	v_cndmask_b32_e64 v54, v54, v55, s[18:19]
	v_cmp_ge_i32_e64 s[18:19], v69, v14
	s_waitcnt lgkmcnt(0)
	v_cmp_lt_u16_sdwa s[20:21], v71, v68 src0_sel:BYTE_0 src1_sel:BYTE_0
	v_cndmask_b32_sdwa v60, v60, v61, vcc dst_sel:BYTE_1 dst_unused:UNUSED_PAD src0_sel:DWORD src1_sel:DWORD
	v_cmp_lt_i32_e32 vcc, v67, v15
	s_or_b64 s[18:19], s[18:19], s[20:21]
	s_and_b64 vcc, vcc, s[18:19]
	v_cndmask_b32_e64 v58, v58, v59, s[22:23]
	v_cndmask_b32_e32 v55, v68, v71, vcc
	v_lshlrev_b16_e32 v56, 8, v56
	v_cndmask_b32_e64 v62, v62, v63, s[26:27]
	v_or_b32_sdwa v54, v54, v56 dst_sel:DWORD dst_unused:UNUSED_PAD src0_sel:BYTE_0 src1_sel:DWORD
	v_or_b32_sdwa v56, v58, v60 dst_sel:WORD_1 dst_unused:UNUSED_PAD src0_sel:BYTE_0 src1_sel:DWORD
	v_lshlrev_b16_e32 v55, 8, v55
	v_or_b32_sdwa v54, v54, v56 dst_sel:DWORD dst_unused:UNUSED_PAD src0_sel:WORD_0 src1_sel:DWORD
	v_or_b32_sdwa v56, v62, v64 dst_sel:DWORD dst_unused:UNUSED_PAD src0_sel:BYTE_0 src1_sel:DWORD
	v_or_b32_sdwa v55, v66, v55 dst_sel:WORD_1 dst_unused:UNUSED_PAD src0_sel:BYTE_0 src1_sel:DWORD
	v_or_b32_sdwa v55, v56, v55 dst_sel:DWORD dst_unused:UNUSED_PAD src0_sel:WORD_0 src1_sel:DWORD
	s_barrier
	ds_write_b64 v1, v[54:55]
	v_mov_b32_e32 v54, v35
	s_waitcnt lgkmcnt(0)
	s_barrier
	s_and_saveexec_b64 s[18:19], s[6:7]
	s_cbranch_execz .LBB118_102
; %bb.99:                               ;   in Loop: Header=BB118_2 Depth=1
	s_mov_b64 s[20:21], 0
	v_mov_b32_e32 v54, v35
	v_mov_b32_e32 v55, v36
.LBB118_100:                            ;   Parent Loop BB118_2 Depth=1
                                        ; =>  This Inner Loop Header: Depth=2
	v_sub_u32_e32 v56, v55, v54
	v_lshrrev_b32_e32 v56, 1, v56
	v_add_u32_e32 v56, v56, v54
	v_add_u32_e32 v57, v5, v56
	v_xad_u32 v58, v56, -1, v37
	ds_read_u8 v57, v57
	ds_read_u8 v58, v58
	v_add_u32_e32 v59, 1, v56
	s_waitcnt lgkmcnt(0)
	v_cmp_lt_u16_e32 vcc, v58, v57
	v_cndmask_b32_e32 v55, v55, v56, vcc
	v_cndmask_b32_e32 v54, v59, v54, vcc
	v_cmp_ge_i32_e32 vcc, v54, v55
	s_or_b64 s[20:21], vcc, s[20:21]
	s_andn2_b64 exec, exec, s[20:21]
	s_cbranch_execnz .LBB118_100
; %bb.101:                              ;   in Loop: Header=BB118_2 Depth=1
	s_or_b64 exec, exec, s[20:21]
.LBB118_102:                            ;   in Loop: Header=BB118_2 Depth=1
	s_or_b64 exec, exec, s[18:19]
	v_add_u32_e32 v58, v54, v5
	v_sub_u32_e32 v59, v37, v54
	ds_read_u8 v54, v58
	ds_read_u8 v55, v59
	v_cmp_le_i32_e64 s[18:19], v16, v58
	v_cmp_gt_i32_e32 vcc, v17, v59
                                        ; implicit-def: $vgpr56
	s_waitcnt lgkmcnt(0)
	v_cmp_lt_u16_sdwa s[20:21], v55, v54 src0_sel:BYTE_0 src1_sel:BYTE_0
	s_or_b64 s[18:19], s[18:19], s[20:21]
	s_and_b64 s[18:19], vcc, s[18:19]
	s_xor_b64 s[20:21], s[18:19], -1
	s_and_saveexec_b64 s[22:23], s[20:21]
	s_xor_b64 s[20:21], exec, s[22:23]
; %bb.103:                              ;   in Loop: Header=BB118_2 Depth=1
	ds_read_u8 v56, v58 offset:1
; %bb.104:                              ;   in Loop: Header=BB118_2 Depth=1
	s_or_saveexec_b64 s[20:21], s[20:21]
	v_mov_b32_e32 v57, v55
	s_xor_b64 exec, exec, s[20:21]
	s_cbranch_execz .LBB118_106
; %bb.105:                              ;   in Loop: Header=BB118_2 Depth=1
	ds_read_u8 v57, v59 offset:1
	s_waitcnt lgkmcnt(1)
	v_mov_b32_e32 v56, v54
.LBB118_106:                            ;   in Loop: Header=BB118_2 Depth=1
	s_or_b64 exec, exec, s[20:21]
	v_add_u32_e32 v61, 1, v58
	v_add_u32_e32 v60, 1, v59
	v_cndmask_b32_e64 v61, v61, v58, s[18:19]
	v_cndmask_b32_e64 v60, v59, v60, s[18:19]
	v_cmp_ge_i32_e64 s[20:21], v61, v16
	s_waitcnt lgkmcnt(0)
	v_cmp_lt_u16_sdwa s[22:23], v57, v56 src0_sel:BYTE_0 src1_sel:BYTE_0
	v_cmp_lt_i32_e32 vcc, v60, v17
	s_or_b64 s[20:21], s[20:21], s[22:23]
	s_and_b64 s[20:21], vcc, s[20:21]
	s_xor_b64 s[22:23], s[20:21], -1
                                        ; implicit-def: $vgpr58
	s_and_saveexec_b64 s[24:25], s[22:23]
	s_xor_b64 s[22:23], exec, s[24:25]
; %bb.107:                              ;   in Loop: Header=BB118_2 Depth=1
	ds_read_u8 v58, v61 offset:1
; %bb.108:                              ;   in Loop: Header=BB118_2 Depth=1
	s_or_saveexec_b64 s[22:23], s[22:23]
	v_mov_b32_e32 v59, v57
	s_xor_b64 exec, exec, s[22:23]
	s_cbranch_execz .LBB118_110
; %bb.109:                              ;   in Loop: Header=BB118_2 Depth=1
	ds_read_u8 v59, v60 offset:1
	s_waitcnt lgkmcnt(1)
	v_mov_b32_e32 v58, v56
.LBB118_110:                            ;   in Loop: Header=BB118_2 Depth=1
	s_or_b64 exec, exec, s[22:23]
	v_add_u32_e32 v63, 1, v61
	v_add_u32_e32 v62, 1, v60
	v_cndmask_b32_e64 v63, v63, v61, s[20:21]
	v_cndmask_b32_e64 v62, v60, v62, s[20:21]
	v_cmp_ge_i32_e64 s[22:23], v63, v16
	s_waitcnt lgkmcnt(0)
	v_cmp_lt_u16_sdwa s[24:25], v59, v58 src0_sel:BYTE_0 src1_sel:BYTE_0
	v_cmp_lt_i32_e32 vcc, v62, v17
	s_or_b64 s[22:23], s[22:23], s[24:25]
	s_and_b64 s[22:23], vcc, s[22:23]
	s_xor_b64 s[24:25], s[22:23], -1
                                        ; implicit-def: $vgpr60
	s_and_saveexec_b64 s[26:27], s[24:25]
	s_xor_b64 s[24:25], exec, s[26:27]
; %bb.111:                              ;   in Loop: Header=BB118_2 Depth=1
	ds_read_u8 v60, v63 offset:1
; %bb.112:                              ;   in Loop: Header=BB118_2 Depth=1
	s_or_saveexec_b64 s[24:25], s[24:25]
	v_mov_b32_e32 v61, v59
	s_xor_b64 exec, exec, s[24:25]
	s_cbranch_execz .LBB118_114
; %bb.113:                              ;   in Loop: Header=BB118_2 Depth=1
	ds_read_u8 v61, v62 offset:1
	s_waitcnt lgkmcnt(1)
	v_mov_b32_e32 v60, v58
.LBB118_114:                            ;   in Loop: Header=BB118_2 Depth=1
	s_or_b64 exec, exec, s[24:25]
	v_add_u32_e32 v65, 1, v63
	v_add_u32_e32 v64, 1, v62
	v_cndmask_b32_e64 v65, v65, v63, s[22:23]
	v_cndmask_b32_e64 v64, v62, v64, s[22:23]
	v_cmp_ge_i32_e64 s[24:25], v65, v16
	s_waitcnt lgkmcnt(0)
	v_cmp_lt_u16_sdwa s[26:27], v61, v60 src0_sel:BYTE_0 src1_sel:BYTE_0
	v_cmp_lt_i32_e32 vcc, v64, v17
	s_or_b64 s[24:25], s[24:25], s[26:27]
	s_and_b64 s[24:25], vcc, s[24:25]
	s_xor_b64 s[26:27], s[24:25], -1
                                        ; implicit-def: $vgpr62
	s_and_saveexec_b64 s[28:29], s[26:27]
	s_xor_b64 s[26:27], exec, s[28:29]
; %bb.115:                              ;   in Loop: Header=BB118_2 Depth=1
	ds_read_u8 v62, v65 offset:1
; %bb.116:                              ;   in Loop: Header=BB118_2 Depth=1
	s_or_saveexec_b64 s[26:27], s[26:27]
	v_mov_b32_e32 v63, v61
	s_xor_b64 exec, exec, s[26:27]
	s_cbranch_execz .LBB118_118
; %bb.117:                              ;   in Loop: Header=BB118_2 Depth=1
	ds_read_u8 v63, v64 offset:1
	s_waitcnt lgkmcnt(1)
	v_mov_b32_e32 v62, v60
.LBB118_118:                            ;   in Loop: Header=BB118_2 Depth=1
	s_or_b64 exec, exec, s[26:27]
	v_add_u32_e32 v67, 1, v65
	v_add_u32_e32 v66, 1, v64
	v_cndmask_b32_e64 v67, v67, v65, s[24:25]
	v_cndmask_b32_e64 v66, v64, v66, s[24:25]
	v_cmp_ge_i32_e64 s[26:27], v67, v16
	s_waitcnt lgkmcnt(0)
	v_cmp_lt_u16_sdwa s[28:29], v63, v62 src0_sel:BYTE_0 src1_sel:BYTE_0
	v_cmp_lt_i32_e32 vcc, v66, v17
	s_or_b64 s[26:27], s[26:27], s[28:29]
	s_and_b64 s[26:27], vcc, s[26:27]
	s_xor_b64 s[28:29], s[26:27], -1
                                        ; implicit-def: $vgpr64
	s_and_saveexec_b64 s[30:31], s[28:29]
	s_xor_b64 s[28:29], exec, s[30:31]
; %bb.119:                              ;   in Loop: Header=BB118_2 Depth=1
	ds_read_u8 v64, v67 offset:1
; %bb.120:                              ;   in Loop: Header=BB118_2 Depth=1
	s_or_saveexec_b64 s[28:29], s[28:29]
	v_mov_b32_e32 v65, v63
	s_xor_b64 exec, exec, s[28:29]
	s_cbranch_execz .LBB118_122
; %bb.121:                              ;   in Loop: Header=BB118_2 Depth=1
	ds_read_u8 v65, v66 offset:1
	s_waitcnt lgkmcnt(1)
	v_mov_b32_e32 v64, v62
.LBB118_122:                            ;   in Loop: Header=BB118_2 Depth=1
	s_or_b64 exec, exec, s[28:29]
	v_add_u32_e32 v69, 1, v67
	v_add_u32_e32 v68, 1, v66
	v_cndmask_b32_e64 v70, v69, v67, s[26:27]
	v_cndmask_b32_e64 v68, v66, v68, s[26:27]
	v_cmp_ge_i32_e64 s[28:29], v70, v16
	s_waitcnt lgkmcnt(0)
	v_cmp_lt_u16_sdwa s[30:31], v65, v64 src0_sel:BYTE_0 src1_sel:BYTE_0
	v_cmp_lt_i32_e32 vcc, v68, v17
	s_or_b64 s[28:29], s[28:29], s[30:31]
	s_and_b64 vcc, vcc, s[28:29]
	s_xor_b64 s[28:29], vcc, -1
                                        ; implicit-def: $vgpr66
	s_and_saveexec_b64 s[30:31], s[28:29]
	s_xor_b64 s[28:29], exec, s[30:31]
; %bb.123:                              ;   in Loop: Header=BB118_2 Depth=1
	ds_read_u8 v66, v70 offset:1
; %bb.124:                              ;   in Loop: Header=BB118_2 Depth=1
	s_or_saveexec_b64 s[28:29], s[28:29]
	v_mov_b32_e32 v67, v65
	s_xor_b64 exec, exec, s[28:29]
	s_cbranch_execz .LBB118_126
; %bb.125:                              ;   in Loop: Header=BB118_2 Depth=1
	ds_read_u8 v67, v68 offset:1
	s_waitcnt lgkmcnt(1)
	v_mov_b32_e32 v66, v64
.LBB118_126:                            ;   in Loop: Header=BB118_2 Depth=1
	s_or_b64 exec, exec, s[28:29]
	v_add_u32_e32 v71, 1, v70
	v_add_u32_e32 v69, 1, v68
	v_cndmask_b32_e32 v70, v71, v70, vcc
	v_cndmask_b32_e32 v69, v68, v69, vcc
	v_cmp_ge_i32_e64 s[30:31], v70, v16
	s_waitcnt lgkmcnt(0)
	v_cmp_lt_u16_sdwa s[46:47], v67, v66 src0_sel:BYTE_0 src1_sel:BYTE_0
	v_cmp_lt_i32_e64 s[28:29], v69, v17
	s_or_b64 s[30:31], s[30:31], s[46:47]
	s_and_b64 s[28:29], s[28:29], s[30:31]
	s_xor_b64 s[30:31], s[28:29], -1
                                        ; implicit-def: $vgpr68
	s_and_saveexec_b64 s[46:47], s[30:31]
	s_xor_b64 s[30:31], exec, s[46:47]
; %bb.127:                              ;   in Loop: Header=BB118_2 Depth=1
	ds_read_u8 v68, v70 offset:1
; %bb.128:                              ;   in Loop: Header=BB118_2 Depth=1
	s_or_saveexec_b64 s[30:31], s[30:31]
	v_mov_b32_e32 v71, v67
	s_xor_b64 exec, exec, s[30:31]
	s_cbranch_execz .LBB118_130
; %bb.129:                              ;   in Loop: Header=BB118_2 Depth=1
	ds_read_u8 v71, v69 offset:1
	s_waitcnt lgkmcnt(1)
	v_mov_b32_e32 v68, v66
.LBB118_130:                            ;   in Loop: Header=BB118_2 Depth=1
	s_or_b64 exec, exec, s[30:31]
	v_cndmask_b32_e64 v66, v66, v67, s[28:29]
	v_add_u32_e32 v67, 1, v69
	v_add_u32_e32 v72, 1, v70
	v_cndmask_b32_e64 v67, v69, v67, s[28:29]
	v_cndmask_b32_e64 v69, v72, v70, s[28:29]
	v_cndmask_b32_sdwa v64, v64, v65, vcc dst_sel:BYTE_1 dst_unused:UNUSED_PAD src0_sel:DWORD src1_sel:DWORD
	s_mov_b64 vcc, s[24:25]
	v_cndmask_b32_e64 v56, v56, v57, s[20:21]
	v_cndmask_b32_e64 v54, v54, v55, s[18:19]
	v_cmp_ge_i32_e64 s[18:19], v69, v16
	s_waitcnt lgkmcnt(0)
	v_cmp_lt_u16_sdwa s[20:21], v71, v68 src0_sel:BYTE_0 src1_sel:BYTE_0
	v_cndmask_b32_sdwa v60, v60, v61, vcc dst_sel:BYTE_1 dst_unused:UNUSED_PAD src0_sel:DWORD src1_sel:DWORD
	v_cmp_lt_i32_e32 vcc, v67, v17
	s_or_b64 s[18:19], s[18:19], s[20:21]
	s_and_b64 vcc, vcc, s[18:19]
	v_cndmask_b32_e64 v58, v58, v59, s[22:23]
	v_cndmask_b32_e32 v55, v68, v71, vcc
	v_lshlrev_b16_e32 v56, 8, v56
	v_cndmask_b32_e64 v62, v62, v63, s[26:27]
	v_or_b32_sdwa v54, v54, v56 dst_sel:DWORD dst_unused:UNUSED_PAD src0_sel:BYTE_0 src1_sel:DWORD
	v_or_b32_sdwa v56, v58, v60 dst_sel:WORD_1 dst_unused:UNUSED_PAD src0_sel:BYTE_0 src1_sel:DWORD
	v_lshlrev_b16_e32 v55, 8, v55
	v_or_b32_sdwa v54, v54, v56 dst_sel:DWORD dst_unused:UNUSED_PAD src0_sel:WORD_0 src1_sel:DWORD
	v_or_b32_sdwa v56, v62, v64 dst_sel:DWORD dst_unused:UNUSED_PAD src0_sel:BYTE_0 src1_sel:DWORD
	v_or_b32_sdwa v55, v66, v55 dst_sel:WORD_1 dst_unused:UNUSED_PAD src0_sel:BYTE_0 src1_sel:DWORD
	v_or_b32_sdwa v55, v56, v55 dst_sel:DWORD dst_unused:UNUSED_PAD src0_sel:WORD_0 src1_sel:DWORD
	s_barrier
	ds_write_b64 v1, v[54:55]
	v_mov_b32_e32 v54, v38
	s_waitcnt lgkmcnt(0)
	s_barrier
	s_and_saveexec_b64 s[18:19], s[8:9]
	s_cbranch_execz .LBB118_134
; %bb.131:                              ;   in Loop: Header=BB118_2 Depth=1
	s_mov_b64 s[20:21], 0
	v_mov_b32_e32 v54, v38
	v_mov_b32_e32 v55, v39
.LBB118_132:                            ;   Parent Loop BB118_2 Depth=1
                                        ; =>  This Inner Loop Header: Depth=2
	v_sub_u32_e32 v56, v55, v54
	v_lshrrev_b32_e32 v56, 1, v56
	v_add_u32_e32 v56, v56, v54
	v_add_u32_e32 v57, v6, v56
	v_xad_u32 v58, v56, -1, v40
	ds_read_u8 v57, v57
	ds_read_u8 v58, v58
	v_add_u32_e32 v59, 1, v56
	s_waitcnt lgkmcnt(0)
	v_cmp_lt_u16_e32 vcc, v58, v57
	v_cndmask_b32_e32 v55, v55, v56, vcc
	v_cndmask_b32_e32 v54, v59, v54, vcc
	v_cmp_ge_i32_e32 vcc, v54, v55
	s_or_b64 s[20:21], vcc, s[20:21]
	s_andn2_b64 exec, exec, s[20:21]
	s_cbranch_execnz .LBB118_132
; %bb.133:                              ;   in Loop: Header=BB118_2 Depth=1
	s_or_b64 exec, exec, s[20:21]
.LBB118_134:                            ;   in Loop: Header=BB118_2 Depth=1
	s_or_b64 exec, exec, s[18:19]
	v_add_u32_e32 v58, v54, v6
	v_sub_u32_e32 v59, v40, v54
	ds_read_u8 v54, v58
	ds_read_u8 v55, v59
	v_cmp_le_i32_e64 s[18:19], v18, v58
	v_cmp_gt_i32_e32 vcc, v19, v59
                                        ; implicit-def: $vgpr56
	s_waitcnt lgkmcnt(0)
	v_cmp_lt_u16_sdwa s[20:21], v55, v54 src0_sel:BYTE_0 src1_sel:BYTE_0
	s_or_b64 s[18:19], s[18:19], s[20:21]
	s_and_b64 s[18:19], vcc, s[18:19]
	s_xor_b64 s[20:21], s[18:19], -1
	s_and_saveexec_b64 s[22:23], s[20:21]
	s_xor_b64 s[20:21], exec, s[22:23]
; %bb.135:                              ;   in Loop: Header=BB118_2 Depth=1
	ds_read_u8 v56, v58 offset:1
; %bb.136:                              ;   in Loop: Header=BB118_2 Depth=1
	s_or_saveexec_b64 s[20:21], s[20:21]
	v_mov_b32_e32 v57, v55
	s_xor_b64 exec, exec, s[20:21]
	s_cbranch_execz .LBB118_138
; %bb.137:                              ;   in Loop: Header=BB118_2 Depth=1
	ds_read_u8 v57, v59 offset:1
	s_waitcnt lgkmcnt(1)
	v_mov_b32_e32 v56, v54
.LBB118_138:                            ;   in Loop: Header=BB118_2 Depth=1
	s_or_b64 exec, exec, s[20:21]
	v_add_u32_e32 v61, 1, v58
	v_add_u32_e32 v60, 1, v59
	v_cndmask_b32_e64 v61, v61, v58, s[18:19]
	v_cndmask_b32_e64 v60, v59, v60, s[18:19]
	v_cmp_ge_i32_e64 s[20:21], v61, v18
	s_waitcnt lgkmcnt(0)
	v_cmp_lt_u16_sdwa s[22:23], v57, v56 src0_sel:BYTE_0 src1_sel:BYTE_0
	v_cmp_lt_i32_e32 vcc, v60, v19
	s_or_b64 s[20:21], s[20:21], s[22:23]
	s_and_b64 s[20:21], vcc, s[20:21]
	s_xor_b64 s[22:23], s[20:21], -1
                                        ; implicit-def: $vgpr58
	s_and_saveexec_b64 s[24:25], s[22:23]
	s_xor_b64 s[22:23], exec, s[24:25]
; %bb.139:                              ;   in Loop: Header=BB118_2 Depth=1
	ds_read_u8 v58, v61 offset:1
; %bb.140:                              ;   in Loop: Header=BB118_2 Depth=1
	s_or_saveexec_b64 s[22:23], s[22:23]
	v_mov_b32_e32 v59, v57
	s_xor_b64 exec, exec, s[22:23]
	s_cbranch_execz .LBB118_142
; %bb.141:                              ;   in Loop: Header=BB118_2 Depth=1
	ds_read_u8 v59, v60 offset:1
	s_waitcnt lgkmcnt(1)
	v_mov_b32_e32 v58, v56
.LBB118_142:                            ;   in Loop: Header=BB118_2 Depth=1
	s_or_b64 exec, exec, s[22:23]
	v_add_u32_e32 v63, 1, v61
	v_add_u32_e32 v62, 1, v60
	v_cndmask_b32_e64 v63, v63, v61, s[20:21]
	v_cndmask_b32_e64 v62, v60, v62, s[20:21]
	v_cmp_ge_i32_e64 s[22:23], v63, v18
	s_waitcnt lgkmcnt(0)
	v_cmp_lt_u16_sdwa s[24:25], v59, v58 src0_sel:BYTE_0 src1_sel:BYTE_0
	v_cmp_lt_i32_e32 vcc, v62, v19
	s_or_b64 s[22:23], s[22:23], s[24:25]
	s_and_b64 s[22:23], vcc, s[22:23]
	s_xor_b64 s[24:25], s[22:23], -1
                                        ; implicit-def: $vgpr60
	s_and_saveexec_b64 s[26:27], s[24:25]
	s_xor_b64 s[24:25], exec, s[26:27]
; %bb.143:                              ;   in Loop: Header=BB118_2 Depth=1
	ds_read_u8 v60, v63 offset:1
; %bb.144:                              ;   in Loop: Header=BB118_2 Depth=1
	s_or_saveexec_b64 s[24:25], s[24:25]
	v_mov_b32_e32 v61, v59
	s_xor_b64 exec, exec, s[24:25]
	s_cbranch_execz .LBB118_146
; %bb.145:                              ;   in Loop: Header=BB118_2 Depth=1
	ds_read_u8 v61, v62 offset:1
	s_waitcnt lgkmcnt(1)
	v_mov_b32_e32 v60, v58
.LBB118_146:                            ;   in Loop: Header=BB118_2 Depth=1
	s_or_b64 exec, exec, s[24:25]
	v_add_u32_e32 v65, 1, v63
	v_add_u32_e32 v64, 1, v62
	v_cndmask_b32_e64 v65, v65, v63, s[22:23]
	v_cndmask_b32_e64 v64, v62, v64, s[22:23]
	v_cmp_ge_i32_e64 s[24:25], v65, v18
	s_waitcnt lgkmcnt(0)
	v_cmp_lt_u16_sdwa s[26:27], v61, v60 src0_sel:BYTE_0 src1_sel:BYTE_0
	v_cmp_lt_i32_e32 vcc, v64, v19
	s_or_b64 s[24:25], s[24:25], s[26:27]
	s_and_b64 s[24:25], vcc, s[24:25]
	s_xor_b64 s[26:27], s[24:25], -1
                                        ; implicit-def: $vgpr62
	s_and_saveexec_b64 s[28:29], s[26:27]
	s_xor_b64 s[26:27], exec, s[28:29]
; %bb.147:                              ;   in Loop: Header=BB118_2 Depth=1
	ds_read_u8 v62, v65 offset:1
; %bb.148:                              ;   in Loop: Header=BB118_2 Depth=1
	s_or_saveexec_b64 s[26:27], s[26:27]
	v_mov_b32_e32 v63, v61
	s_xor_b64 exec, exec, s[26:27]
	s_cbranch_execz .LBB118_150
; %bb.149:                              ;   in Loop: Header=BB118_2 Depth=1
	ds_read_u8 v63, v64 offset:1
	s_waitcnt lgkmcnt(1)
	v_mov_b32_e32 v62, v60
.LBB118_150:                            ;   in Loop: Header=BB118_2 Depth=1
	s_or_b64 exec, exec, s[26:27]
	v_add_u32_e32 v67, 1, v65
	v_add_u32_e32 v66, 1, v64
	v_cndmask_b32_e64 v67, v67, v65, s[24:25]
	v_cndmask_b32_e64 v66, v64, v66, s[24:25]
	v_cmp_ge_i32_e64 s[26:27], v67, v18
	s_waitcnt lgkmcnt(0)
	v_cmp_lt_u16_sdwa s[28:29], v63, v62 src0_sel:BYTE_0 src1_sel:BYTE_0
	v_cmp_lt_i32_e32 vcc, v66, v19
	s_or_b64 s[26:27], s[26:27], s[28:29]
	s_and_b64 s[26:27], vcc, s[26:27]
	s_xor_b64 s[28:29], s[26:27], -1
                                        ; implicit-def: $vgpr64
	s_and_saveexec_b64 s[30:31], s[28:29]
	s_xor_b64 s[28:29], exec, s[30:31]
; %bb.151:                              ;   in Loop: Header=BB118_2 Depth=1
	ds_read_u8 v64, v67 offset:1
; %bb.152:                              ;   in Loop: Header=BB118_2 Depth=1
	s_or_saveexec_b64 s[28:29], s[28:29]
	v_mov_b32_e32 v65, v63
	s_xor_b64 exec, exec, s[28:29]
	s_cbranch_execz .LBB118_154
; %bb.153:                              ;   in Loop: Header=BB118_2 Depth=1
	ds_read_u8 v65, v66 offset:1
	s_waitcnt lgkmcnt(1)
	v_mov_b32_e32 v64, v62
.LBB118_154:                            ;   in Loop: Header=BB118_2 Depth=1
	s_or_b64 exec, exec, s[28:29]
	v_add_u32_e32 v69, 1, v67
	v_add_u32_e32 v68, 1, v66
	v_cndmask_b32_e64 v70, v69, v67, s[26:27]
	v_cndmask_b32_e64 v68, v66, v68, s[26:27]
	v_cmp_ge_i32_e64 s[28:29], v70, v18
	s_waitcnt lgkmcnt(0)
	v_cmp_lt_u16_sdwa s[30:31], v65, v64 src0_sel:BYTE_0 src1_sel:BYTE_0
	v_cmp_lt_i32_e32 vcc, v68, v19
	s_or_b64 s[28:29], s[28:29], s[30:31]
	s_and_b64 vcc, vcc, s[28:29]
	s_xor_b64 s[28:29], vcc, -1
                                        ; implicit-def: $vgpr66
	s_and_saveexec_b64 s[30:31], s[28:29]
	s_xor_b64 s[28:29], exec, s[30:31]
; %bb.155:                              ;   in Loop: Header=BB118_2 Depth=1
	ds_read_u8 v66, v70 offset:1
; %bb.156:                              ;   in Loop: Header=BB118_2 Depth=1
	s_or_saveexec_b64 s[28:29], s[28:29]
	v_mov_b32_e32 v67, v65
	s_xor_b64 exec, exec, s[28:29]
	s_cbranch_execz .LBB118_158
; %bb.157:                              ;   in Loop: Header=BB118_2 Depth=1
	ds_read_u8 v67, v68 offset:1
	s_waitcnt lgkmcnt(1)
	v_mov_b32_e32 v66, v64
.LBB118_158:                            ;   in Loop: Header=BB118_2 Depth=1
	s_or_b64 exec, exec, s[28:29]
	v_add_u32_e32 v71, 1, v70
	v_add_u32_e32 v69, 1, v68
	v_cndmask_b32_e32 v70, v71, v70, vcc
	v_cndmask_b32_e32 v69, v68, v69, vcc
	v_cmp_ge_i32_e64 s[30:31], v70, v18
	s_waitcnt lgkmcnt(0)
	v_cmp_lt_u16_sdwa s[46:47], v67, v66 src0_sel:BYTE_0 src1_sel:BYTE_0
	v_cmp_lt_i32_e64 s[28:29], v69, v19
	s_or_b64 s[30:31], s[30:31], s[46:47]
	s_and_b64 s[28:29], s[28:29], s[30:31]
	s_xor_b64 s[30:31], s[28:29], -1
                                        ; implicit-def: $vgpr68
	s_and_saveexec_b64 s[46:47], s[30:31]
	s_xor_b64 s[30:31], exec, s[46:47]
; %bb.159:                              ;   in Loop: Header=BB118_2 Depth=1
	ds_read_u8 v68, v70 offset:1
; %bb.160:                              ;   in Loop: Header=BB118_2 Depth=1
	s_or_saveexec_b64 s[30:31], s[30:31]
	v_mov_b32_e32 v71, v67
	s_xor_b64 exec, exec, s[30:31]
	s_cbranch_execz .LBB118_162
; %bb.161:                              ;   in Loop: Header=BB118_2 Depth=1
	ds_read_u8 v71, v69 offset:1
	s_waitcnt lgkmcnt(1)
	v_mov_b32_e32 v68, v66
.LBB118_162:                            ;   in Loop: Header=BB118_2 Depth=1
	s_or_b64 exec, exec, s[30:31]
	v_cndmask_b32_e64 v66, v66, v67, s[28:29]
	v_add_u32_e32 v67, 1, v69
	v_add_u32_e32 v72, 1, v70
	v_cndmask_b32_e64 v67, v69, v67, s[28:29]
	v_cndmask_b32_e64 v69, v72, v70, s[28:29]
	v_cndmask_b32_sdwa v64, v64, v65, vcc dst_sel:BYTE_1 dst_unused:UNUSED_PAD src0_sel:DWORD src1_sel:DWORD
	s_mov_b64 vcc, s[24:25]
	v_cndmask_b32_e64 v56, v56, v57, s[20:21]
	v_cndmask_b32_e64 v54, v54, v55, s[18:19]
	v_cmp_ge_i32_e64 s[18:19], v69, v18
	s_waitcnt lgkmcnt(0)
	v_cmp_lt_u16_sdwa s[20:21], v71, v68 src0_sel:BYTE_0 src1_sel:BYTE_0
	v_cndmask_b32_sdwa v60, v60, v61, vcc dst_sel:BYTE_1 dst_unused:UNUSED_PAD src0_sel:DWORD src1_sel:DWORD
	v_cmp_lt_i32_e32 vcc, v67, v19
	s_or_b64 s[18:19], s[18:19], s[20:21]
	s_and_b64 vcc, vcc, s[18:19]
	v_cndmask_b32_e64 v58, v58, v59, s[22:23]
	v_cndmask_b32_e32 v55, v68, v71, vcc
	v_lshlrev_b16_e32 v56, 8, v56
	v_cndmask_b32_e64 v62, v62, v63, s[26:27]
	v_or_b32_sdwa v54, v54, v56 dst_sel:DWORD dst_unused:UNUSED_PAD src0_sel:BYTE_0 src1_sel:DWORD
	v_or_b32_sdwa v56, v58, v60 dst_sel:WORD_1 dst_unused:UNUSED_PAD src0_sel:BYTE_0 src1_sel:DWORD
	v_lshlrev_b16_e32 v55, 8, v55
	v_or_b32_sdwa v54, v54, v56 dst_sel:DWORD dst_unused:UNUSED_PAD src0_sel:WORD_0 src1_sel:DWORD
	v_or_b32_sdwa v56, v62, v64 dst_sel:DWORD dst_unused:UNUSED_PAD src0_sel:BYTE_0 src1_sel:DWORD
	v_or_b32_sdwa v55, v66, v55 dst_sel:WORD_1 dst_unused:UNUSED_PAD src0_sel:BYTE_0 src1_sel:DWORD
	v_or_b32_sdwa v55, v56, v55 dst_sel:DWORD dst_unused:UNUSED_PAD src0_sel:WORD_0 src1_sel:DWORD
	s_barrier
	ds_write_b64 v1, v[54:55]
	v_mov_b32_e32 v54, v41
	s_waitcnt lgkmcnt(0)
	s_barrier
	s_and_saveexec_b64 s[18:19], s[10:11]
	s_cbranch_execz .LBB118_166
; %bb.163:                              ;   in Loop: Header=BB118_2 Depth=1
	s_mov_b64 s[20:21], 0
	v_mov_b32_e32 v54, v41
	v_mov_b32_e32 v55, v42
.LBB118_164:                            ;   Parent Loop BB118_2 Depth=1
                                        ; =>  This Inner Loop Header: Depth=2
	v_sub_u32_e32 v56, v55, v54
	v_lshrrev_b32_e32 v56, 1, v56
	v_add_u32_e32 v56, v56, v54
	v_add_u32_e32 v57, v7, v56
	v_xad_u32 v58, v56, -1, v43
	ds_read_u8 v57, v57
	ds_read_u8 v58, v58
	v_add_u32_e32 v59, 1, v56
	s_waitcnt lgkmcnt(0)
	v_cmp_lt_u16_e32 vcc, v58, v57
	v_cndmask_b32_e32 v55, v55, v56, vcc
	v_cndmask_b32_e32 v54, v59, v54, vcc
	v_cmp_ge_i32_e32 vcc, v54, v55
	s_or_b64 s[20:21], vcc, s[20:21]
	s_andn2_b64 exec, exec, s[20:21]
	s_cbranch_execnz .LBB118_164
; %bb.165:                              ;   in Loop: Header=BB118_2 Depth=1
	s_or_b64 exec, exec, s[20:21]
.LBB118_166:                            ;   in Loop: Header=BB118_2 Depth=1
	s_or_b64 exec, exec, s[18:19]
	v_add_u32_e32 v58, v54, v7
	v_sub_u32_e32 v59, v43, v54
	ds_read_u8 v54, v58
	ds_read_u8 v55, v59
	v_cmp_le_i32_e64 s[18:19], v20, v58
	v_cmp_gt_i32_e32 vcc, v21, v59
                                        ; implicit-def: $vgpr56
	s_waitcnt lgkmcnt(0)
	v_cmp_lt_u16_sdwa s[20:21], v55, v54 src0_sel:BYTE_0 src1_sel:BYTE_0
	s_or_b64 s[18:19], s[18:19], s[20:21]
	s_and_b64 s[18:19], vcc, s[18:19]
	s_xor_b64 s[20:21], s[18:19], -1
	s_and_saveexec_b64 s[22:23], s[20:21]
	s_xor_b64 s[20:21], exec, s[22:23]
; %bb.167:                              ;   in Loop: Header=BB118_2 Depth=1
	ds_read_u8 v56, v58 offset:1
; %bb.168:                              ;   in Loop: Header=BB118_2 Depth=1
	s_or_saveexec_b64 s[20:21], s[20:21]
	v_mov_b32_e32 v57, v55
	s_xor_b64 exec, exec, s[20:21]
	s_cbranch_execz .LBB118_170
; %bb.169:                              ;   in Loop: Header=BB118_2 Depth=1
	ds_read_u8 v57, v59 offset:1
	s_waitcnt lgkmcnt(1)
	v_mov_b32_e32 v56, v54
.LBB118_170:                            ;   in Loop: Header=BB118_2 Depth=1
	s_or_b64 exec, exec, s[20:21]
	v_add_u32_e32 v61, 1, v58
	v_add_u32_e32 v60, 1, v59
	v_cndmask_b32_e64 v61, v61, v58, s[18:19]
	v_cndmask_b32_e64 v60, v59, v60, s[18:19]
	v_cmp_ge_i32_e64 s[20:21], v61, v20
	s_waitcnt lgkmcnt(0)
	v_cmp_lt_u16_sdwa s[22:23], v57, v56 src0_sel:BYTE_0 src1_sel:BYTE_0
	v_cmp_lt_i32_e32 vcc, v60, v21
	s_or_b64 s[20:21], s[20:21], s[22:23]
	s_and_b64 s[20:21], vcc, s[20:21]
	s_xor_b64 s[22:23], s[20:21], -1
                                        ; implicit-def: $vgpr58
	s_and_saveexec_b64 s[24:25], s[22:23]
	s_xor_b64 s[22:23], exec, s[24:25]
; %bb.171:                              ;   in Loop: Header=BB118_2 Depth=1
	ds_read_u8 v58, v61 offset:1
; %bb.172:                              ;   in Loop: Header=BB118_2 Depth=1
	s_or_saveexec_b64 s[22:23], s[22:23]
	v_mov_b32_e32 v59, v57
	s_xor_b64 exec, exec, s[22:23]
	s_cbranch_execz .LBB118_174
; %bb.173:                              ;   in Loop: Header=BB118_2 Depth=1
	ds_read_u8 v59, v60 offset:1
	s_waitcnt lgkmcnt(1)
	v_mov_b32_e32 v58, v56
.LBB118_174:                            ;   in Loop: Header=BB118_2 Depth=1
	s_or_b64 exec, exec, s[22:23]
	v_add_u32_e32 v63, 1, v61
	v_add_u32_e32 v62, 1, v60
	v_cndmask_b32_e64 v63, v63, v61, s[20:21]
	v_cndmask_b32_e64 v62, v60, v62, s[20:21]
	v_cmp_ge_i32_e64 s[22:23], v63, v20
	s_waitcnt lgkmcnt(0)
	v_cmp_lt_u16_sdwa s[24:25], v59, v58 src0_sel:BYTE_0 src1_sel:BYTE_0
	v_cmp_lt_i32_e32 vcc, v62, v21
	s_or_b64 s[22:23], s[22:23], s[24:25]
	s_and_b64 s[22:23], vcc, s[22:23]
	s_xor_b64 s[24:25], s[22:23], -1
                                        ; implicit-def: $vgpr60
	s_and_saveexec_b64 s[26:27], s[24:25]
	s_xor_b64 s[24:25], exec, s[26:27]
; %bb.175:                              ;   in Loop: Header=BB118_2 Depth=1
	ds_read_u8 v60, v63 offset:1
; %bb.176:                              ;   in Loop: Header=BB118_2 Depth=1
	s_or_saveexec_b64 s[24:25], s[24:25]
	v_mov_b32_e32 v61, v59
	s_xor_b64 exec, exec, s[24:25]
	s_cbranch_execz .LBB118_178
; %bb.177:                              ;   in Loop: Header=BB118_2 Depth=1
	ds_read_u8 v61, v62 offset:1
	s_waitcnt lgkmcnt(1)
	v_mov_b32_e32 v60, v58
.LBB118_178:                            ;   in Loop: Header=BB118_2 Depth=1
	s_or_b64 exec, exec, s[24:25]
	v_add_u32_e32 v65, 1, v63
	v_add_u32_e32 v64, 1, v62
	v_cndmask_b32_e64 v65, v65, v63, s[22:23]
	v_cndmask_b32_e64 v64, v62, v64, s[22:23]
	v_cmp_ge_i32_e64 s[24:25], v65, v20
	s_waitcnt lgkmcnt(0)
	v_cmp_lt_u16_sdwa s[26:27], v61, v60 src0_sel:BYTE_0 src1_sel:BYTE_0
	v_cmp_lt_i32_e32 vcc, v64, v21
	s_or_b64 s[24:25], s[24:25], s[26:27]
	s_and_b64 s[24:25], vcc, s[24:25]
	s_xor_b64 s[26:27], s[24:25], -1
                                        ; implicit-def: $vgpr62
	s_and_saveexec_b64 s[28:29], s[26:27]
	s_xor_b64 s[26:27], exec, s[28:29]
; %bb.179:                              ;   in Loop: Header=BB118_2 Depth=1
	ds_read_u8 v62, v65 offset:1
; %bb.180:                              ;   in Loop: Header=BB118_2 Depth=1
	s_or_saveexec_b64 s[26:27], s[26:27]
	v_mov_b32_e32 v63, v61
	s_xor_b64 exec, exec, s[26:27]
	s_cbranch_execz .LBB118_182
; %bb.181:                              ;   in Loop: Header=BB118_2 Depth=1
	ds_read_u8 v63, v64 offset:1
	s_waitcnt lgkmcnt(1)
	v_mov_b32_e32 v62, v60
.LBB118_182:                            ;   in Loop: Header=BB118_2 Depth=1
	s_or_b64 exec, exec, s[26:27]
	v_add_u32_e32 v67, 1, v65
	v_add_u32_e32 v66, 1, v64
	v_cndmask_b32_e64 v67, v67, v65, s[24:25]
	v_cndmask_b32_e64 v66, v64, v66, s[24:25]
	v_cmp_ge_i32_e64 s[26:27], v67, v20
	s_waitcnt lgkmcnt(0)
	v_cmp_lt_u16_sdwa s[28:29], v63, v62 src0_sel:BYTE_0 src1_sel:BYTE_0
	v_cmp_lt_i32_e32 vcc, v66, v21
	s_or_b64 s[26:27], s[26:27], s[28:29]
	s_and_b64 s[26:27], vcc, s[26:27]
	s_xor_b64 s[28:29], s[26:27], -1
                                        ; implicit-def: $vgpr64
	s_and_saveexec_b64 s[30:31], s[28:29]
	s_xor_b64 s[28:29], exec, s[30:31]
; %bb.183:                              ;   in Loop: Header=BB118_2 Depth=1
	ds_read_u8 v64, v67 offset:1
; %bb.184:                              ;   in Loop: Header=BB118_2 Depth=1
	s_or_saveexec_b64 s[28:29], s[28:29]
	v_mov_b32_e32 v65, v63
	s_xor_b64 exec, exec, s[28:29]
	s_cbranch_execz .LBB118_186
; %bb.185:                              ;   in Loop: Header=BB118_2 Depth=1
	ds_read_u8 v65, v66 offset:1
	s_waitcnt lgkmcnt(1)
	v_mov_b32_e32 v64, v62
.LBB118_186:                            ;   in Loop: Header=BB118_2 Depth=1
	s_or_b64 exec, exec, s[28:29]
	v_add_u32_e32 v69, 1, v67
	v_add_u32_e32 v68, 1, v66
	v_cndmask_b32_e64 v70, v69, v67, s[26:27]
	v_cndmask_b32_e64 v68, v66, v68, s[26:27]
	v_cmp_ge_i32_e64 s[28:29], v70, v20
	s_waitcnt lgkmcnt(0)
	v_cmp_lt_u16_sdwa s[30:31], v65, v64 src0_sel:BYTE_0 src1_sel:BYTE_0
	v_cmp_lt_i32_e32 vcc, v68, v21
	s_or_b64 s[28:29], s[28:29], s[30:31]
	s_and_b64 vcc, vcc, s[28:29]
	s_xor_b64 s[28:29], vcc, -1
                                        ; implicit-def: $vgpr66
	s_and_saveexec_b64 s[30:31], s[28:29]
	s_xor_b64 s[28:29], exec, s[30:31]
; %bb.187:                              ;   in Loop: Header=BB118_2 Depth=1
	ds_read_u8 v66, v70 offset:1
; %bb.188:                              ;   in Loop: Header=BB118_2 Depth=1
	s_or_saveexec_b64 s[28:29], s[28:29]
	v_mov_b32_e32 v67, v65
	s_xor_b64 exec, exec, s[28:29]
	s_cbranch_execz .LBB118_190
; %bb.189:                              ;   in Loop: Header=BB118_2 Depth=1
	ds_read_u8 v67, v68 offset:1
	s_waitcnt lgkmcnt(1)
	v_mov_b32_e32 v66, v64
.LBB118_190:                            ;   in Loop: Header=BB118_2 Depth=1
	s_or_b64 exec, exec, s[28:29]
	v_add_u32_e32 v71, 1, v70
	v_add_u32_e32 v69, 1, v68
	v_cndmask_b32_e32 v70, v71, v70, vcc
	v_cndmask_b32_e32 v69, v68, v69, vcc
	v_cmp_ge_i32_e64 s[30:31], v70, v20
	s_waitcnt lgkmcnt(0)
	v_cmp_lt_u16_sdwa s[46:47], v67, v66 src0_sel:BYTE_0 src1_sel:BYTE_0
	v_cmp_lt_i32_e64 s[28:29], v69, v21
	s_or_b64 s[30:31], s[30:31], s[46:47]
	s_and_b64 s[28:29], s[28:29], s[30:31]
	s_xor_b64 s[30:31], s[28:29], -1
                                        ; implicit-def: $vgpr68
	s_and_saveexec_b64 s[46:47], s[30:31]
	s_xor_b64 s[30:31], exec, s[46:47]
; %bb.191:                              ;   in Loop: Header=BB118_2 Depth=1
	ds_read_u8 v68, v70 offset:1
; %bb.192:                              ;   in Loop: Header=BB118_2 Depth=1
	s_or_saveexec_b64 s[30:31], s[30:31]
	v_mov_b32_e32 v71, v67
	s_xor_b64 exec, exec, s[30:31]
	s_cbranch_execz .LBB118_194
; %bb.193:                              ;   in Loop: Header=BB118_2 Depth=1
	ds_read_u8 v71, v69 offset:1
	s_waitcnt lgkmcnt(1)
	v_mov_b32_e32 v68, v66
.LBB118_194:                            ;   in Loop: Header=BB118_2 Depth=1
	s_or_b64 exec, exec, s[30:31]
	v_cndmask_b32_e64 v66, v66, v67, s[28:29]
	v_add_u32_e32 v67, 1, v69
	v_add_u32_e32 v72, 1, v70
	v_cndmask_b32_e64 v67, v69, v67, s[28:29]
	v_cndmask_b32_e64 v69, v72, v70, s[28:29]
	v_cndmask_b32_sdwa v64, v64, v65, vcc dst_sel:BYTE_1 dst_unused:UNUSED_PAD src0_sel:DWORD src1_sel:DWORD
	s_mov_b64 vcc, s[24:25]
	v_cndmask_b32_e64 v56, v56, v57, s[20:21]
	v_cndmask_b32_e64 v54, v54, v55, s[18:19]
	v_cmp_ge_i32_e64 s[18:19], v69, v20
	s_waitcnt lgkmcnt(0)
	v_cmp_lt_u16_sdwa s[20:21], v71, v68 src0_sel:BYTE_0 src1_sel:BYTE_0
	v_cndmask_b32_sdwa v60, v60, v61, vcc dst_sel:BYTE_1 dst_unused:UNUSED_PAD src0_sel:DWORD src1_sel:DWORD
	v_cmp_lt_i32_e32 vcc, v67, v21
	s_or_b64 s[18:19], s[18:19], s[20:21]
	s_and_b64 vcc, vcc, s[18:19]
	v_cndmask_b32_e64 v58, v58, v59, s[22:23]
	v_cndmask_b32_e32 v55, v68, v71, vcc
	v_lshlrev_b16_e32 v56, 8, v56
	v_cndmask_b32_e64 v62, v62, v63, s[26:27]
	v_or_b32_sdwa v54, v54, v56 dst_sel:DWORD dst_unused:UNUSED_PAD src0_sel:BYTE_0 src1_sel:DWORD
	v_or_b32_sdwa v56, v58, v60 dst_sel:WORD_1 dst_unused:UNUSED_PAD src0_sel:BYTE_0 src1_sel:DWORD
	v_lshlrev_b16_e32 v55, 8, v55
	v_or_b32_sdwa v54, v54, v56 dst_sel:DWORD dst_unused:UNUSED_PAD src0_sel:WORD_0 src1_sel:DWORD
	v_or_b32_sdwa v56, v62, v64 dst_sel:DWORD dst_unused:UNUSED_PAD src0_sel:BYTE_0 src1_sel:DWORD
	v_or_b32_sdwa v55, v66, v55 dst_sel:WORD_1 dst_unused:UNUSED_PAD src0_sel:BYTE_0 src1_sel:DWORD
	v_or_b32_sdwa v55, v56, v55 dst_sel:DWORD dst_unused:UNUSED_PAD src0_sel:WORD_0 src1_sel:DWORD
	s_barrier
	ds_write_b64 v1, v[54:55]
	v_mov_b32_e32 v54, v44
	s_waitcnt lgkmcnt(0)
	s_barrier
	s_and_saveexec_b64 s[18:19], s[12:13]
	s_cbranch_execz .LBB118_198
; %bb.195:                              ;   in Loop: Header=BB118_2 Depth=1
	s_mov_b64 s[20:21], 0
	v_mov_b32_e32 v54, v44
	v_mov_b32_e32 v55, v45
.LBB118_196:                            ;   Parent Loop BB118_2 Depth=1
                                        ; =>  This Inner Loop Header: Depth=2
	v_sub_u32_e32 v56, v55, v54
	v_lshrrev_b32_e32 v56, 1, v56
	v_add_u32_e32 v56, v56, v54
	v_add_u32_e32 v57, v8, v56
	v_xad_u32 v58, v56, -1, v46
	ds_read_u8 v57, v57
	ds_read_u8 v58, v58
	v_add_u32_e32 v59, 1, v56
	s_waitcnt lgkmcnt(0)
	v_cmp_lt_u16_e32 vcc, v58, v57
	v_cndmask_b32_e32 v55, v55, v56, vcc
	v_cndmask_b32_e32 v54, v59, v54, vcc
	v_cmp_ge_i32_e32 vcc, v54, v55
	s_or_b64 s[20:21], vcc, s[20:21]
	s_andn2_b64 exec, exec, s[20:21]
	s_cbranch_execnz .LBB118_196
; %bb.197:                              ;   in Loop: Header=BB118_2 Depth=1
	s_or_b64 exec, exec, s[20:21]
.LBB118_198:                            ;   in Loop: Header=BB118_2 Depth=1
	s_or_b64 exec, exec, s[18:19]
	v_add_u32_e32 v58, v54, v8
	v_sub_u32_e32 v59, v46, v54
	ds_read_u8 v54, v58
	ds_read_u8 v55, v59
	v_cmp_le_i32_e64 s[18:19], v22, v58
	v_cmp_gt_i32_e32 vcc, v23, v59
                                        ; implicit-def: $vgpr56
	s_waitcnt lgkmcnt(0)
	v_cmp_lt_u16_sdwa s[20:21], v55, v54 src0_sel:BYTE_0 src1_sel:BYTE_0
	s_or_b64 s[18:19], s[18:19], s[20:21]
	s_and_b64 s[18:19], vcc, s[18:19]
	s_xor_b64 s[20:21], s[18:19], -1
	s_and_saveexec_b64 s[22:23], s[20:21]
	s_xor_b64 s[20:21], exec, s[22:23]
; %bb.199:                              ;   in Loop: Header=BB118_2 Depth=1
	ds_read_u8 v56, v58 offset:1
; %bb.200:                              ;   in Loop: Header=BB118_2 Depth=1
	s_or_saveexec_b64 s[20:21], s[20:21]
	v_mov_b32_e32 v57, v55
	s_xor_b64 exec, exec, s[20:21]
	s_cbranch_execz .LBB118_202
; %bb.201:                              ;   in Loop: Header=BB118_2 Depth=1
	ds_read_u8 v57, v59 offset:1
	s_waitcnt lgkmcnt(1)
	v_mov_b32_e32 v56, v54
.LBB118_202:                            ;   in Loop: Header=BB118_2 Depth=1
	s_or_b64 exec, exec, s[20:21]
	v_add_u32_e32 v61, 1, v58
	v_add_u32_e32 v60, 1, v59
	v_cndmask_b32_e64 v61, v61, v58, s[18:19]
	v_cndmask_b32_e64 v60, v59, v60, s[18:19]
	v_cmp_ge_i32_e64 s[20:21], v61, v22
	s_waitcnt lgkmcnt(0)
	v_cmp_lt_u16_sdwa s[22:23], v57, v56 src0_sel:BYTE_0 src1_sel:BYTE_0
	v_cmp_lt_i32_e32 vcc, v60, v23
	s_or_b64 s[20:21], s[20:21], s[22:23]
	s_and_b64 s[20:21], vcc, s[20:21]
	s_xor_b64 s[22:23], s[20:21], -1
                                        ; implicit-def: $vgpr58
	s_and_saveexec_b64 s[24:25], s[22:23]
	s_xor_b64 s[22:23], exec, s[24:25]
; %bb.203:                              ;   in Loop: Header=BB118_2 Depth=1
	ds_read_u8 v58, v61 offset:1
; %bb.204:                              ;   in Loop: Header=BB118_2 Depth=1
	s_or_saveexec_b64 s[22:23], s[22:23]
	v_mov_b32_e32 v59, v57
	s_xor_b64 exec, exec, s[22:23]
	s_cbranch_execz .LBB118_206
; %bb.205:                              ;   in Loop: Header=BB118_2 Depth=1
	ds_read_u8 v59, v60 offset:1
	s_waitcnt lgkmcnt(1)
	v_mov_b32_e32 v58, v56
.LBB118_206:                            ;   in Loop: Header=BB118_2 Depth=1
	s_or_b64 exec, exec, s[22:23]
	v_add_u32_e32 v63, 1, v61
	v_add_u32_e32 v62, 1, v60
	v_cndmask_b32_e64 v63, v63, v61, s[20:21]
	v_cndmask_b32_e64 v62, v60, v62, s[20:21]
	v_cmp_ge_i32_e64 s[22:23], v63, v22
	s_waitcnt lgkmcnt(0)
	v_cmp_lt_u16_sdwa s[24:25], v59, v58 src0_sel:BYTE_0 src1_sel:BYTE_0
	v_cmp_lt_i32_e32 vcc, v62, v23
	s_or_b64 s[22:23], s[22:23], s[24:25]
	s_and_b64 s[22:23], vcc, s[22:23]
	s_xor_b64 s[24:25], s[22:23], -1
                                        ; implicit-def: $vgpr60
	s_and_saveexec_b64 s[26:27], s[24:25]
	s_xor_b64 s[24:25], exec, s[26:27]
; %bb.207:                              ;   in Loop: Header=BB118_2 Depth=1
	ds_read_u8 v60, v63 offset:1
; %bb.208:                              ;   in Loop: Header=BB118_2 Depth=1
	s_or_saveexec_b64 s[24:25], s[24:25]
	v_mov_b32_e32 v61, v59
	s_xor_b64 exec, exec, s[24:25]
	s_cbranch_execz .LBB118_210
; %bb.209:                              ;   in Loop: Header=BB118_2 Depth=1
	ds_read_u8 v61, v62 offset:1
	s_waitcnt lgkmcnt(1)
	v_mov_b32_e32 v60, v58
.LBB118_210:                            ;   in Loop: Header=BB118_2 Depth=1
	s_or_b64 exec, exec, s[24:25]
	v_add_u32_e32 v65, 1, v63
	v_add_u32_e32 v64, 1, v62
	v_cndmask_b32_e64 v65, v65, v63, s[22:23]
	v_cndmask_b32_e64 v64, v62, v64, s[22:23]
	v_cmp_ge_i32_e64 s[24:25], v65, v22
	s_waitcnt lgkmcnt(0)
	v_cmp_lt_u16_sdwa s[26:27], v61, v60 src0_sel:BYTE_0 src1_sel:BYTE_0
	v_cmp_lt_i32_e32 vcc, v64, v23
	s_or_b64 s[24:25], s[24:25], s[26:27]
	s_and_b64 s[24:25], vcc, s[24:25]
	s_xor_b64 s[26:27], s[24:25], -1
                                        ; implicit-def: $vgpr62
	s_and_saveexec_b64 s[28:29], s[26:27]
	s_xor_b64 s[26:27], exec, s[28:29]
; %bb.211:                              ;   in Loop: Header=BB118_2 Depth=1
	ds_read_u8 v62, v65 offset:1
; %bb.212:                              ;   in Loop: Header=BB118_2 Depth=1
	s_or_saveexec_b64 s[26:27], s[26:27]
	v_mov_b32_e32 v63, v61
	s_xor_b64 exec, exec, s[26:27]
	s_cbranch_execz .LBB118_214
; %bb.213:                              ;   in Loop: Header=BB118_2 Depth=1
	ds_read_u8 v63, v64 offset:1
	s_waitcnt lgkmcnt(1)
	v_mov_b32_e32 v62, v60
.LBB118_214:                            ;   in Loop: Header=BB118_2 Depth=1
	s_or_b64 exec, exec, s[26:27]
	v_add_u32_e32 v67, 1, v65
	v_add_u32_e32 v66, 1, v64
	v_cndmask_b32_e64 v67, v67, v65, s[24:25]
	v_cndmask_b32_e64 v66, v64, v66, s[24:25]
	v_cmp_ge_i32_e64 s[26:27], v67, v22
	s_waitcnt lgkmcnt(0)
	v_cmp_lt_u16_sdwa s[28:29], v63, v62 src0_sel:BYTE_0 src1_sel:BYTE_0
	v_cmp_lt_i32_e32 vcc, v66, v23
	s_or_b64 s[26:27], s[26:27], s[28:29]
	s_and_b64 s[26:27], vcc, s[26:27]
	s_xor_b64 s[28:29], s[26:27], -1
                                        ; implicit-def: $vgpr64
	s_and_saveexec_b64 s[30:31], s[28:29]
	s_xor_b64 s[28:29], exec, s[30:31]
; %bb.215:                              ;   in Loop: Header=BB118_2 Depth=1
	ds_read_u8 v64, v67 offset:1
; %bb.216:                              ;   in Loop: Header=BB118_2 Depth=1
	s_or_saveexec_b64 s[28:29], s[28:29]
	v_mov_b32_e32 v65, v63
	s_xor_b64 exec, exec, s[28:29]
	s_cbranch_execz .LBB118_218
; %bb.217:                              ;   in Loop: Header=BB118_2 Depth=1
	ds_read_u8 v65, v66 offset:1
	s_waitcnt lgkmcnt(1)
	v_mov_b32_e32 v64, v62
.LBB118_218:                            ;   in Loop: Header=BB118_2 Depth=1
	s_or_b64 exec, exec, s[28:29]
	v_add_u32_e32 v69, 1, v67
	v_add_u32_e32 v68, 1, v66
	v_cndmask_b32_e64 v70, v69, v67, s[26:27]
	v_cndmask_b32_e64 v68, v66, v68, s[26:27]
	v_cmp_ge_i32_e64 s[28:29], v70, v22
	s_waitcnt lgkmcnt(0)
	v_cmp_lt_u16_sdwa s[30:31], v65, v64 src0_sel:BYTE_0 src1_sel:BYTE_0
	v_cmp_lt_i32_e32 vcc, v68, v23
	s_or_b64 s[28:29], s[28:29], s[30:31]
	s_and_b64 vcc, vcc, s[28:29]
	s_xor_b64 s[28:29], vcc, -1
                                        ; implicit-def: $vgpr66
	s_and_saveexec_b64 s[30:31], s[28:29]
	s_xor_b64 s[28:29], exec, s[30:31]
; %bb.219:                              ;   in Loop: Header=BB118_2 Depth=1
	ds_read_u8 v66, v70 offset:1
; %bb.220:                              ;   in Loop: Header=BB118_2 Depth=1
	s_or_saveexec_b64 s[28:29], s[28:29]
	v_mov_b32_e32 v67, v65
	s_xor_b64 exec, exec, s[28:29]
	s_cbranch_execz .LBB118_222
; %bb.221:                              ;   in Loop: Header=BB118_2 Depth=1
	ds_read_u8 v67, v68 offset:1
	s_waitcnt lgkmcnt(1)
	v_mov_b32_e32 v66, v64
.LBB118_222:                            ;   in Loop: Header=BB118_2 Depth=1
	s_or_b64 exec, exec, s[28:29]
	v_add_u32_e32 v71, 1, v70
	v_add_u32_e32 v69, 1, v68
	v_cndmask_b32_e32 v70, v71, v70, vcc
	v_cndmask_b32_e32 v69, v68, v69, vcc
	v_cmp_ge_i32_e64 s[30:31], v70, v22
	s_waitcnt lgkmcnt(0)
	v_cmp_lt_u16_sdwa s[46:47], v67, v66 src0_sel:BYTE_0 src1_sel:BYTE_0
	v_cmp_lt_i32_e64 s[28:29], v69, v23
	s_or_b64 s[30:31], s[30:31], s[46:47]
	s_and_b64 s[28:29], s[28:29], s[30:31]
	s_xor_b64 s[30:31], s[28:29], -1
                                        ; implicit-def: $vgpr68
	s_and_saveexec_b64 s[46:47], s[30:31]
	s_xor_b64 s[30:31], exec, s[46:47]
; %bb.223:                              ;   in Loop: Header=BB118_2 Depth=1
	ds_read_u8 v68, v70 offset:1
; %bb.224:                              ;   in Loop: Header=BB118_2 Depth=1
	s_or_saveexec_b64 s[30:31], s[30:31]
	v_mov_b32_e32 v71, v67
	s_xor_b64 exec, exec, s[30:31]
	s_cbranch_execz .LBB118_226
; %bb.225:                              ;   in Loop: Header=BB118_2 Depth=1
	ds_read_u8 v71, v69 offset:1
	s_waitcnt lgkmcnt(1)
	v_mov_b32_e32 v68, v66
.LBB118_226:                            ;   in Loop: Header=BB118_2 Depth=1
	s_or_b64 exec, exec, s[30:31]
	v_cndmask_b32_e64 v66, v66, v67, s[28:29]
	v_add_u32_e32 v67, 1, v69
	v_add_u32_e32 v72, 1, v70
	v_cndmask_b32_e64 v67, v69, v67, s[28:29]
	v_cndmask_b32_e64 v69, v72, v70, s[28:29]
	v_cndmask_b32_sdwa v64, v64, v65, vcc dst_sel:BYTE_1 dst_unused:UNUSED_PAD src0_sel:DWORD src1_sel:DWORD
	s_mov_b64 vcc, s[24:25]
	v_cndmask_b32_e64 v56, v56, v57, s[20:21]
	v_cndmask_b32_e64 v54, v54, v55, s[18:19]
	v_cmp_ge_i32_e64 s[18:19], v69, v22
	s_waitcnt lgkmcnt(0)
	v_cmp_lt_u16_sdwa s[20:21], v71, v68 src0_sel:BYTE_0 src1_sel:BYTE_0
	v_cndmask_b32_sdwa v60, v60, v61, vcc dst_sel:BYTE_1 dst_unused:UNUSED_PAD src0_sel:DWORD src1_sel:DWORD
	v_cmp_lt_i32_e32 vcc, v67, v23
	s_or_b64 s[18:19], s[18:19], s[20:21]
	s_and_b64 vcc, vcc, s[18:19]
	v_cndmask_b32_e64 v58, v58, v59, s[22:23]
	v_cndmask_b32_e32 v55, v68, v71, vcc
	v_lshlrev_b16_e32 v56, 8, v56
	v_cndmask_b32_e64 v62, v62, v63, s[26:27]
	v_or_b32_sdwa v54, v54, v56 dst_sel:DWORD dst_unused:UNUSED_PAD src0_sel:BYTE_0 src1_sel:DWORD
	v_or_b32_sdwa v56, v58, v60 dst_sel:WORD_1 dst_unused:UNUSED_PAD src0_sel:BYTE_0 src1_sel:DWORD
	v_lshlrev_b16_e32 v55, 8, v55
	v_or_b32_sdwa v54, v54, v56 dst_sel:DWORD dst_unused:UNUSED_PAD src0_sel:WORD_0 src1_sel:DWORD
	v_or_b32_sdwa v56, v62, v64 dst_sel:DWORD dst_unused:UNUSED_PAD src0_sel:BYTE_0 src1_sel:DWORD
	v_or_b32_sdwa v55, v66, v55 dst_sel:WORD_1 dst_unused:UNUSED_PAD src0_sel:BYTE_0 src1_sel:DWORD
	v_or_b32_sdwa v55, v56, v55 dst_sel:DWORD dst_unused:UNUSED_PAD src0_sel:WORD_0 src1_sel:DWORD
	s_barrier
	ds_write_b64 v1, v[54:55]
	v_mov_b32_e32 v54, v47
	s_waitcnt lgkmcnt(0)
	s_barrier
	s_and_saveexec_b64 s[18:19], s[14:15]
	s_cbranch_execz .LBB118_230
; %bb.227:                              ;   in Loop: Header=BB118_2 Depth=1
	s_mov_b64 s[20:21], 0
	v_mov_b32_e32 v54, v47
	v_mov_b32_e32 v55, v48
.LBB118_228:                            ;   Parent Loop BB118_2 Depth=1
                                        ; =>  This Inner Loop Header: Depth=2
	v_sub_u32_e32 v56, v55, v54
	v_lshrrev_b32_e32 v56, 1, v56
	v_add_u32_e32 v56, v56, v54
	v_add_u32_e32 v57, v9, v56
	v_xad_u32 v58, v56, -1, v49
	ds_read_u8 v57, v57
	ds_read_u8 v58, v58
	v_add_u32_e32 v59, 1, v56
	s_waitcnt lgkmcnt(0)
	v_cmp_lt_u16_e32 vcc, v58, v57
	v_cndmask_b32_e32 v55, v55, v56, vcc
	v_cndmask_b32_e32 v54, v59, v54, vcc
	v_cmp_ge_i32_e32 vcc, v54, v55
	s_or_b64 s[20:21], vcc, s[20:21]
	s_andn2_b64 exec, exec, s[20:21]
	s_cbranch_execnz .LBB118_228
; %bb.229:                              ;   in Loop: Header=BB118_2 Depth=1
	s_or_b64 exec, exec, s[20:21]
.LBB118_230:                            ;   in Loop: Header=BB118_2 Depth=1
	s_or_b64 exec, exec, s[18:19]
	v_add_u32_e32 v58, v54, v9
	v_sub_u32_e32 v59, v49, v54
	ds_read_u8 v54, v58
	ds_read_u8 v55, v59
	v_cmp_le_i32_e64 s[18:19], v24, v58
	v_cmp_gt_i32_e32 vcc, v25, v59
                                        ; implicit-def: $vgpr56
	s_waitcnt lgkmcnt(0)
	v_cmp_lt_u16_sdwa s[20:21], v55, v54 src0_sel:BYTE_0 src1_sel:BYTE_0
	s_or_b64 s[18:19], s[18:19], s[20:21]
	s_and_b64 s[18:19], vcc, s[18:19]
	s_xor_b64 s[20:21], s[18:19], -1
	s_and_saveexec_b64 s[22:23], s[20:21]
	s_xor_b64 s[20:21], exec, s[22:23]
; %bb.231:                              ;   in Loop: Header=BB118_2 Depth=1
	ds_read_u8 v56, v58 offset:1
; %bb.232:                              ;   in Loop: Header=BB118_2 Depth=1
	s_or_saveexec_b64 s[20:21], s[20:21]
	v_mov_b32_e32 v57, v55
	s_xor_b64 exec, exec, s[20:21]
	s_cbranch_execz .LBB118_234
; %bb.233:                              ;   in Loop: Header=BB118_2 Depth=1
	ds_read_u8 v57, v59 offset:1
	s_waitcnt lgkmcnt(1)
	v_mov_b32_e32 v56, v54
.LBB118_234:                            ;   in Loop: Header=BB118_2 Depth=1
	s_or_b64 exec, exec, s[20:21]
	v_add_u32_e32 v61, 1, v58
	v_add_u32_e32 v60, 1, v59
	v_cndmask_b32_e64 v61, v61, v58, s[18:19]
	v_cndmask_b32_e64 v60, v59, v60, s[18:19]
	v_cmp_ge_i32_e64 s[20:21], v61, v24
	s_waitcnt lgkmcnt(0)
	v_cmp_lt_u16_sdwa s[22:23], v57, v56 src0_sel:BYTE_0 src1_sel:BYTE_0
	v_cmp_lt_i32_e32 vcc, v60, v25
	s_or_b64 s[20:21], s[20:21], s[22:23]
	s_and_b64 s[20:21], vcc, s[20:21]
	s_xor_b64 s[22:23], s[20:21], -1
                                        ; implicit-def: $vgpr58
	s_and_saveexec_b64 s[24:25], s[22:23]
	s_xor_b64 s[22:23], exec, s[24:25]
; %bb.235:                              ;   in Loop: Header=BB118_2 Depth=1
	ds_read_u8 v58, v61 offset:1
; %bb.236:                              ;   in Loop: Header=BB118_2 Depth=1
	s_or_saveexec_b64 s[22:23], s[22:23]
	v_mov_b32_e32 v59, v57
	s_xor_b64 exec, exec, s[22:23]
	s_cbranch_execz .LBB118_238
; %bb.237:                              ;   in Loop: Header=BB118_2 Depth=1
	ds_read_u8 v59, v60 offset:1
	s_waitcnt lgkmcnt(1)
	v_mov_b32_e32 v58, v56
.LBB118_238:                            ;   in Loop: Header=BB118_2 Depth=1
	s_or_b64 exec, exec, s[22:23]
	v_add_u32_e32 v63, 1, v61
	v_add_u32_e32 v62, 1, v60
	v_cndmask_b32_e64 v63, v63, v61, s[20:21]
	v_cndmask_b32_e64 v62, v60, v62, s[20:21]
	v_cmp_ge_i32_e64 s[22:23], v63, v24
	s_waitcnt lgkmcnt(0)
	v_cmp_lt_u16_sdwa s[24:25], v59, v58 src0_sel:BYTE_0 src1_sel:BYTE_0
	v_cmp_lt_i32_e32 vcc, v62, v25
	s_or_b64 s[22:23], s[22:23], s[24:25]
	s_and_b64 s[22:23], vcc, s[22:23]
	s_xor_b64 s[24:25], s[22:23], -1
                                        ; implicit-def: $vgpr60
	s_and_saveexec_b64 s[26:27], s[24:25]
	s_xor_b64 s[24:25], exec, s[26:27]
; %bb.239:                              ;   in Loop: Header=BB118_2 Depth=1
	ds_read_u8 v60, v63 offset:1
; %bb.240:                              ;   in Loop: Header=BB118_2 Depth=1
	s_or_saveexec_b64 s[24:25], s[24:25]
	v_mov_b32_e32 v61, v59
	s_xor_b64 exec, exec, s[24:25]
	s_cbranch_execz .LBB118_242
; %bb.241:                              ;   in Loop: Header=BB118_2 Depth=1
	ds_read_u8 v61, v62 offset:1
	s_waitcnt lgkmcnt(1)
	v_mov_b32_e32 v60, v58
.LBB118_242:                            ;   in Loop: Header=BB118_2 Depth=1
	s_or_b64 exec, exec, s[24:25]
	v_add_u32_e32 v65, 1, v63
	v_add_u32_e32 v64, 1, v62
	v_cndmask_b32_e64 v65, v65, v63, s[22:23]
	v_cndmask_b32_e64 v64, v62, v64, s[22:23]
	v_cmp_ge_i32_e64 s[24:25], v65, v24
	s_waitcnt lgkmcnt(0)
	v_cmp_lt_u16_sdwa s[26:27], v61, v60 src0_sel:BYTE_0 src1_sel:BYTE_0
	v_cmp_lt_i32_e32 vcc, v64, v25
	s_or_b64 s[24:25], s[24:25], s[26:27]
	s_and_b64 s[24:25], vcc, s[24:25]
	s_xor_b64 s[26:27], s[24:25], -1
                                        ; implicit-def: $vgpr62
	s_and_saveexec_b64 s[28:29], s[26:27]
	s_xor_b64 s[26:27], exec, s[28:29]
; %bb.243:                              ;   in Loop: Header=BB118_2 Depth=1
	ds_read_u8 v62, v65 offset:1
; %bb.244:                              ;   in Loop: Header=BB118_2 Depth=1
	s_or_saveexec_b64 s[26:27], s[26:27]
	v_mov_b32_e32 v63, v61
	s_xor_b64 exec, exec, s[26:27]
	s_cbranch_execz .LBB118_246
; %bb.245:                              ;   in Loop: Header=BB118_2 Depth=1
	ds_read_u8 v63, v64 offset:1
	s_waitcnt lgkmcnt(1)
	v_mov_b32_e32 v62, v60
.LBB118_246:                            ;   in Loop: Header=BB118_2 Depth=1
	s_or_b64 exec, exec, s[26:27]
	v_add_u32_e32 v67, 1, v65
	v_add_u32_e32 v66, 1, v64
	v_cndmask_b32_e64 v67, v67, v65, s[24:25]
	v_cndmask_b32_e64 v66, v64, v66, s[24:25]
	v_cmp_ge_i32_e64 s[26:27], v67, v24
	s_waitcnt lgkmcnt(0)
	v_cmp_lt_u16_sdwa s[28:29], v63, v62 src0_sel:BYTE_0 src1_sel:BYTE_0
	v_cmp_lt_i32_e32 vcc, v66, v25
	s_or_b64 s[26:27], s[26:27], s[28:29]
	s_and_b64 s[26:27], vcc, s[26:27]
	s_xor_b64 s[28:29], s[26:27], -1
                                        ; implicit-def: $vgpr64
	s_and_saveexec_b64 s[30:31], s[28:29]
	s_xor_b64 s[28:29], exec, s[30:31]
; %bb.247:                              ;   in Loop: Header=BB118_2 Depth=1
	ds_read_u8 v64, v67 offset:1
; %bb.248:                              ;   in Loop: Header=BB118_2 Depth=1
	s_or_saveexec_b64 s[28:29], s[28:29]
	v_mov_b32_e32 v65, v63
	s_xor_b64 exec, exec, s[28:29]
	s_cbranch_execz .LBB118_250
; %bb.249:                              ;   in Loop: Header=BB118_2 Depth=1
	ds_read_u8 v65, v66 offset:1
	s_waitcnt lgkmcnt(1)
	v_mov_b32_e32 v64, v62
.LBB118_250:                            ;   in Loop: Header=BB118_2 Depth=1
	s_or_b64 exec, exec, s[28:29]
	v_add_u32_e32 v69, 1, v67
	v_add_u32_e32 v68, 1, v66
	v_cndmask_b32_e64 v70, v69, v67, s[26:27]
	v_cndmask_b32_e64 v68, v66, v68, s[26:27]
	v_cmp_ge_i32_e64 s[28:29], v70, v24
	s_waitcnt lgkmcnt(0)
	v_cmp_lt_u16_sdwa s[30:31], v65, v64 src0_sel:BYTE_0 src1_sel:BYTE_0
	v_cmp_lt_i32_e32 vcc, v68, v25
	s_or_b64 s[28:29], s[28:29], s[30:31]
	s_and_b64 vcc, vcc, s[28:29]
	s_xor_b64 s[28:29], vcc, -1
                                        ; implicit-def: $vgpr66
	s_and_saveexec_b64 s[30:31], s[28:29]
	s_xor_b64 s[28:29], exec, s[30:31]
; %bb.251:                              ;   in Loop: Header=BB118_2 Depth=1
	ds_read_u8 v66, v70 offset:1
; %bb.252:                              ;   in Loop: Header=BB118_2 Depth=1
	s_or_saveexec_b64 s[28:29], s[28:29]
	v_mov_b32_e32 v67, v65
	s_xor_b64 exec, exec, s[28:29]
	s_cbranch_execz .LBB118_254
; %bb.253:                              ;   in Loop: Header=BB118_2 Depth=1
	ds_read_u8 v67, v68 offset:1
	s_waitcnt lgkmcnt(1)
	v_mov_b32_e32 v66, v64
.LBB118_254:                            ;   in Loop: Header=BB118_2 Depth=1
	s_or_b64 exec, exec, s[28:29]
	v_add_u32_e32 v71, 1, v70
	v_add_u32_e32 v69, 1, v68
	v_cndmask_b32_e32 v70, v71, v70, vcc
	v_cndmask_b32_e32 v69, v68, v69, vcc
	v_cmp_ge_i32_e64 s[30:31], v70, v24
	s_waitcnt lgkmcnt(0)
	v_cmp_lt_u16_sdwa s[46:47], v67, v66 src0_sel:BYTE_0 src1_sel:BYTE_0
	v_cmp_lt_i32_e64 s[28:29], v69, v25
	s_or_b64 s[30:31], s[30:31], s[46:47]
	s_and_b64 s[28:29], s[28:29], s[30:31]
	s_xor_b64 s[30:31], s[28:29], -1
                                        ; implicit-def: $vgpr68
	s_and_saveexec_b64 s[46:47], s[30:31]
	s_xor_b64 s[30:31], exec, s[46:47]
; %bb.255:                              ;   in Loop: Header=BB118_2 Depth=1
	ds_read_u8 v68, v70 offset:1
; %bb.256:                              ;   in Loop: Header=BB118_2 Depth=1
	s_or_saveexec_b64 s[30:31], s[30:31]
	v_mov_b32_e32 v71, v67
	s_xor_b64 exec, exec, s[30:31]
	s_cbranch_execz .LBB118_258
; %bb.257:                              ;   in Loop: Header=BB118_2 Depth=1
	ds_read_u8 v71, v69 offset:1
	s_waitcnt lgkmcnt(1)
	v_mov_b32_e32 v68, v66
.LBB118_258:                            ;   in Loop: Header=BB118_2 Depth=1
	s_or_b64 exec, exec, s[30:31]
	v_cndmask_b32_e64 v66, v66, v67, s[28:29]
	v_add_u32_e32 v67, 1, v69
	v_add_u32_e32 v72, 1, v70
	v_cndmask_b32_e64 v67, v69, v67, s[28:29]
	v_cndmask_b32_e64 v69, v72, v70, s[28:29]
	v_cndmask_b32_sdwa v64, v64, v65, vcc dst_sel:BYTE_1 dst_unused:UNUSED_PAD src0_sel:DWORD src1_sel:DWORD
	s_mov_b64 vcc, s[24:25]
	v_cndmask_b32_e64 v56, v56, v57, s[20:21]
	v_cndmask_b32_e64 v54, v54, v55, s[18:19]
	v_cmp_ge_i32_e64 s[18:19], v69, v24
	s_waitcnt lgkmcnt(0)
	v_cmp_lt_u16_sdwa s[20:21], v71, v68 src0_sel:BYTE_0 src1_sel:BYTE_0
	v_cndmask_b32_sdwa v60, v60, v61, vcc dst_sel:BYTE_1 dst_unused:UNUSED_PAD src0_sel:DWORD src1_sel:DWORD
	v_cmp_lt_i32_e32 vcc, v67, v25
	s_or_b64 s[18:19], s[18:19], s[20:21]
	s_and_b64 vcc, vcc, s[18:19]
	v_cndmask_b32_e64 v58, v58, v59, s[22:23]
	v_cndmask_b32_e32 v55, v68, v71, vcc
	v_lshlrev_b16_e32 v56, 8, v56
	v_cndmask_b32_e64 v62, v62, v63, s[26:27]
	v_or_b32_sdwa v54, v54, v56 dst_sel:DWORD dst_unused:UNUSED_PAD src0_sel:BYTE_0 src1_sel:DWORD
	v_or_b32_sdwa v56, v58, v60 dst_sel:WORD_1 dst_unused:UNUSED_PAD src0_sel:BYTE_0 src1_sel:DWORD
	v_lshlrev_b16_e32 v55, 8, v55
	v_or_b32_sdwa v54, v54, v56 dst_sel:DWORD dst_unused:UNUSED_PAD src0_sel:WORD_0 src1_sel:DWORD
	v_or_b32_sdwa v56, v62, v64 dst_sel:DWORD dst_unused:UNUSED_PAD src0_sel:BYTE_0 src1_sel:DWORD
	v_or_b32_sdwa v55, v66, v55 dst_sel:WORD_1 dst_unused:UNUSED_PAD src0_sel:BYTE_0 src1_sel:DWORD
	v_or_b32_sdwa v55, v56, v55 dst_sel:DWORD dst_unused:UNUSED_PAD src0_sel:WORD_0 src1_sel:DWORD
	v_mov_b32_e32 v58, v51
	s_barrier
	ds_write_b64 v1, v[54:55]
	s_waitcnt lgkmcnt(0)
	s_barrier
	s_and_saveexec_b64 s[18:19], s[16:17]
	s_cbranch_execz .LBB118_262
; %bb.259:                              ;   in Loop: Header=BB118_2 Depth=1
	s_mov_b64 s[20:21], 0
	v_mov_b32_e32 v58, v51
	v_mov_b32_e32 v54, v52
.LBB118_260:                            ;   Parent Loop BB118_2 Depth=1
                                        ; =>  This Inner Loop Header: Depth=2
	v_sub_u32_e32 v55, v54, v58
	v_lshrrev_b32_e32 v55, 1, v55
	v_add_u32_e32 v55, v55, v58
	v_xad_u32 v56, v55, -1, v53
	ds_read_u8 v57, v55
	ds_read_u8 v56, v56
	v_add_u32_e32 v59, 1, v55
	s_waitcnt lgkmcnt(0)
	v_cmp_lt_u16_e32 vcc, v56, v57
	v_cndmask_b32_e32 v54, v54, v55, vcc
	v_cndmask_b32_e32 v58, v59, v58, vcc
	v_cmp_ge_i32_e32 vcc, v58, v54
	s_or_b64 s[20:21], vcc, s[20:21]
	s_andn2_b64 exec, exec, s[20:21]
	s_cbranch_execnz .LBB118_260
; %bb.261:                              ;   in Loop: Header=BB118_2 Depth=1
	s_or_b64 exec, exec, s[20:21]
.LBB118_262:                            ;   in Loop: Header=BB118_2 Depth=1
	s_or_b64 exec, exec, s[18:19]
	v_sub_u32_e32 v59, v53, v58
	ds_read_u8 v54, v58
	ds_read_u8 v55, v59
	v_cmp_le_i32_e64 s[18:19], v50, v58
	v_cmp_gt_i32_e32 vcc, s44, v59
                                        ; implicit-def: $vgpr56
	s_waitcnt lgkmcnt(0)
	v_cmp_lt_u16_sdwa s[20:21], v55, v54 src0_sel:BYTE_0 src1_sel:BYTE_0
	s_or_b64 s[18:19], s[18:19], s[20:21]
	s_and_b64 vcc, vcc, s[18:19]
	s_xor_b64 s[18:19], vcc, -1
	s_and_saveexec_b64 s[20:21], s[18:19]
	s_xor_b64 s[18:19], exec, s[20:21]
; %bb.263:                              ;   in Loop: Header=BB118_2 Depth=1
	ds_read_u8 v56, v58 offset:1
; %bb.264:                              ;   in Loop: Header=BB118_2 Depth=1
	s_or_saveexec_b64 s[18:19], s[18:19]
	v_mov_b32_e32 v57, v55
	s_xor_b64 exec, exec, s[18:19]
	s_cbranch_execz .LBB118_266
; %bb.265:                              ;   in Loop: Header=BB118_2 Depth=1
	ds_read_u8 v57, v59 offset:1
	s_waitcnt lgkmcnt(1)
	v_mov_b32_e32 v56, v54
.LBB118_266:                            ;   in Loop: Header=BB118_2 Depth=1
	s_or_b64 exec, exec, s[18:19]
	v_add_u32_e32 v61, 1, v58
	v_add_u32_e32 v60, 1, v59
	v_cndmask_b32_e32 v61, v61, v58, vcc
	v_cndmask_b32_e32 v60, v59, v60, vcc
	v_cmp_ge_i32_e64 s[20:21], v61, v50
	s_waitcnt lgkmcnt(0)
	v_cmp_lt_u16_sdwa s[22:23], v57, v56 src0_sel:BYTE_0 src1_sel:BYTE_0
	v_cmp_gt_i32_e64 s[18:19], s44, v60
	s_or_b64 s[20:21], s[20:21], s[22:23]
	s_and_b64 s[18:19], s[18:19], s[20:21]
	s_xor_b64 s[20:21], s[18:19], -1
                                        ; implicit-def: $vgpr58
	s_and_saveexec_b64 s[22:23], s[20:21]
	s_xor_b64 s[20:21], exec, s[22:23]
; %bb.267:                              ;   in Loop: Header=BB118_2 Depth=1
	ds_read_u8 v58, v61 offset:1
; %bb.268:                              ;   in Loop: Header=BB118_2 Depth=1
	s_or_saveexec_b64 s[20:21], s[20:21]
	v_mov_b32_e32 v59, v57
	s_xor_b64 exec, exec, s[20:21]
	s_cbranch_execz .LBB118_270
; %bb.269:                              ;   in Loop: Header=BB118_2 Depth=1
	ds_read_u8 v59, v60 offset:1
	s_waitcnt lgkmcnt(1)
	v_mov_b32_e32 v58, v56
.LBB118_270:                            ;   in Loop: Header=BB118_2 Depth=1
	s_or_b64 exec, exec, s[20:21]
	v_add_u32_e32 v63, 1, v61
	v_add_u32_e32 v62, 1, v60
	v_cndmask_b32_e64 v63, v63, v61, s[18:19]
	v_cndmask_b32_e64 v62, v60, v62, s[18:19]
	v_cmp_ge_i32_e64 s[22:23], v63, v50
	s_waitcnt lgkmcnt(0)
	v_cmp_lt_u16_sdwa s[24:25], v59, v58 src0_sel:BYTE_0 src1_sel:BYTE_0
	v_cmp_gt_i32_e64 s[20:21], s44, v62
	s_or_b64 s[22:23], s[22:23], s[24:25]
	s_and_b64 s[20:21], s[20:21], s[22:23]
	s_xor_b64 s[22:23], s[20:21], -1
                                        ; implicit-def: $vgpr60
	s_and_saveexec_b64 s[24:25], s[22:23]
	s_xor_b64 s[22:23], exec, s[24:25]
; %bb.271:                              ;   in Loop: Header=BB118_2 Depth=1
	ds_read_u8 v60, v63 offset:1
; %bb.272:                              ;   in Loop: Header=BB118_2 Depth=1
	s_or_saveexec_b64 s[22:23], s[22:23]
	v_mov_b32_e32 v61, v59
	s_xor_b64 exec, exec, s[22:23]
	s_cbranch_execz .LBB118_274
; %bb.273:                              ;   in Loop: Header=BB118_2 Depth=1
	ds_read_u8 v61, v62 offset:1
	s_waitcnt lgkmcnt(1)
	v_mov_b32_e32 v60, v58
.LBB118_274:                            ;   in Loop: Header=BB118_2 Depth=1
	s_or_b64 exec, exec, s[22:23]
	v_add_u32_e32 v65, 1, v63
	v_add_u32_e32 v64, 1, v62
	v_cndmask_b32_e64 v65, v65, v63, s[20:21]
	v_cndmask_b32_e64 v64, v62, v64, s[20:21]
	v_cmp_ge_i32_e64 s[24:25], v65, v50
	s_waitcnt lgkmcnt(0)
	v_cmp_lt_u16_sdwa s[26:27], v61, v60 src0_sel:BYTE_0 src1_sel:BYTE_0
	v_cmp_gt_i32_e64 s[22:23], s44, v64
	s_or_b64 s[24:25], s[24:25], s[26:27]
	s_and_b64 s[22:23], s[22:23], s[24:25]
	s_xor_b64 s[24:25], s[22:23], -1
                                        ; implicit-def: $vgpr62
	s_and_saveexec_b64 s[26:27], s[24:25]
	s_xor_b64 s[24:25], exec, s[26:27]
; %bb.275:                              ;   in Loop: Header=BB118_2 Depth=1
	ds_read_u8 v62, v65 offset:1
; %bb.276:                              ;   in Loop: Header=BB118_2 Depth=1
	s_or_saveexec_b64 s[24:25], s[24:25]
	v_mov_b32_e32 v63, v61
	s_xor_b64 exec, exec, s[24:25]
	s_cbranch_execz .LBB118_278
; %bb.277:                              ;   in Loop: Header=BB118_2 Depth=1
	ds_read_u8 v63, v64 offset:1
	s_waitcnt lgkmcnt(1)
	v_mov_b32_e32 v62, v60
.LBB118_278:                            ;   in Loop: Header=BB118_2 Depth=1
	s_or_b64 exec, exec, s[24:25]
	v_add_u32_e32 v67, 1, v65
	v_add_u32_e32 v66, 1, v64
	v_cndmask_b32_e64 v67, v67, v65, s[22:23]
	v_cndmask_b32_e64 v66, v64, v66, s[22:23]
	v_cmp_ge_i32_e64 s[26:27], v67, v50
	s_waitcnt lgkmcnt(0)
	v_cmp_lt_u16_sdwa s[28:29], v63, v62 src0_sel:BYTE_0 src1_sel:BYTE_0
	v_cmp_gt_i32_e64 s[24:25], s44, v66
	s_or_b64 s[26:27], s[26:27], s[28:29]
	s_and_b64 s[24:25], s[24:25], s[26:27]
	s_xor_b64 s[26:27], s[24:25], -1
                                        ; implicit-def: $vgpr64
	s_and_saveexec_b64 s[28:29], s[26:27]
	s_xor_b64 s[26:27], exec, s[28:29]
; %bb.279:                              ;   in Loop: Header=BB118_2 Depth=1
	ds_read_u8 v64, v67 offset:1
; %bb.280:                              ;   in Loop: Header=BB118_2 Depth=1
	s_or_saveexec_b64 s[26:27], s[26:27]
	v_mov_b32_e32 v65, v63
	s_xor_b64 exec, exec, s[26:27]
	s_cbranch_execz .LBB118_282
; %bb.281:                              ;   in Loop: Header=BB118_2 Depth=1
	ds_read_u8 v65, v66 offset:1
	s_waitcnt lgkmcnt(1)
	v_mov_b32_e32 v64, v62
.LBB118_282:                            ;   in Loop: Header=BB118_2 Depth=1
	s_or_b64 exec, exec, s[26:27]
	v_add_u32_e32 v69, 1, v67
	v_add_u32_e32 v68, 1, v66
	v_cndmask_b32_e64 v69, v69, v67, s[24:25]
	v_cndmask_b32_e64 v68, v66, v68, s[24:25]
	v_cmp_ge_i32_e64 s[28:29], v69, v50
	s_waitcnt lgkmcnt(0)
	v_cmp_lt_u16_sdwa s[30:31], v65, v64 src0_sel:BYTE_0 src1_sel:BYTE_0
	v_cmp_gt_i32_e64 s[26:27], s44, v68
	s_or_b64 s[28:29], s[28:29], s[30:31]
	s_and_b64 s[26:27], s[26:27], s[28:29]
	s_xor_b64 s[28:29], s[26:27], -1
                                        ; implicit-def: $vgpr66
	s_and_saveexec_b64 s[30:31], s[28:29]
	s_xor_b64 s[28:29], exec, s[30:31]
; %bb.283:                              ;   in Loop: Header=BB118_2 Depth=1
	ds_read_u8 v66, v69 offset:1
; %bb.284:                              ;   in Loop: Header=BB118_2 Depth=1
	s_or_saveexec_b64 s[28:29], s[28:29]
	v_mov_b32_e32 v67, v65
	s_xor_b64 exec, exec, s[28:29]
	s_cbranch_execz .LBB118_286
; %bb.285:                              ;   in Loop: Header=BB118_2 Depth=1
	ds_read_u8 v67, v68 offset:1
	s_waitcnt lgkmcnt(1)
	v_mov_b32_e32 v66, v64
.LBB118_286:                            ;   in Loop: Header=BB118_2 Depth=1
	s_or_b64 exec, exec, s[28:29]
	v_add_u32_e32 v71, 1, v69
	v_add_u32_e32 v70, 1, v68
	v_cndmask_b32_e64 v71, v71, v69, s[26:27]
	v_cndmask_b32_e64 v68, v68, v70, s[26:27]
	v_cmp_ge_i32_e64 s[30:31], v71, v50
	s_waitcnt lgkmcnt(0)
	v_cmp_lt_u16_sdwa s[46:47], v67, v66 src0_sel:BYTE_0 src1_sel:BYTE_0
	v_cmp_gt_i32_e64 s[28:29], s44, v68
	s_or_b64 s[30:31], s[30:31], s[46:47]
	s_and_b64 s[28:29], s[28:29], s[30:31]
	s_xor_b64 s[30:31], s[28:29], -1
                                        ; implicit-def: $vgpr69
                                        ; implicit-def: $vgpr70
	s_and_saveexec_b64 s[46:47], s[30:31]
	s_xor_b64 s[30:31], exec, s[46:47]
; %bb.287:                              ;   in Loop: Header=BB118_2 Depth=1
	ds_read_u8 v69, v71 offset:1
	v_add_u32_e32 v70, 1, v71
                                        ; implicit-def: $vgpr71
; %bb.288:                              ;   in Loop: Header=BB118_2 Depth=1
	s_or_saveexec_b64 s[30:31], s[30:31]
	v_mov_b32_e32 v72, v67
	s_xor_b64 exec, exec, s[30:31]
	s_cbranch_execz .LBB118_1
; %bb.289:                              ;   in Loop: Header=BB118_2 Depth=1
	ds_read_u8 v72, v68 offset:1
	v_add_u32_e32 v68, 1, v68
	v_mov_b32_e32 v70, v71
	s_waitcnt lgkmcnt(1)
	v_mov_b32_e32 v69, v66
	s_branch .LBB118_1
.LBB118_290:
	s_add_u32 s0, s38, s33
	s_addc_u32 s1, s39, 0
	v_mov_b32_e32 v1, s1
	v_add_co_u32_e32 v0, vcc, s0, v0
	v_addc_co_u32_e32 v1, vcc, 0, v1, vcc
	global_store_byte v[0:1], v71, off
	global_store_byte v[0:1], v56, off offset:512
	global_store_byte v[0:1], v57, off offset:1024
	;; [unrolled: 1-line block ×7, first 2 shown]
	s_endpgm
	.section	.rodata,"a",@progbits
	.p2align	6, 0x0
	.amdhsa_kernel _Z16sort_keys_kernelIhLj512ELj8EN10test_utils4lessELj10EEvPKT_PS2_T2_
		.amdhsa_group_segment_fixed_size 4097
		.amdhsa_private_segment_fixed_size 0
		.amdhsa_kernarg_size 20
		.amdhsa_user_sgpr_count 6
		.amdhsa_user_sgpr_private_segment_buffer 1
		.amdhsa_user_sgpr_dispatch_ptr 0
		.amdhsa_user_sgpr_queue_ptr 0
		.amdhsa_user_sgpr_kernarg_segment_ptr 1
		.amdhsa_user_sgpr_dispatch_id 0
		.amdhsa_user_sgpr_flat_scratch_init 0
		.amdhsa_user_sgpr_private_segment_size 0
		.amdhsa_uses_dynamic_stack 0
		.amdhsa_system_sgpr_private_segment_wavefront_offset 0
		.amdhsa_system_sgpr_workgroup_id_x 1
		.amdhsa_system_sgpr_workgroup_id_y 0
		.amdhsa_system_sgpr_workgroup_id_z 0
		.amdhsa_system_sgpr_workgroup_info 0
		.amdhsa_system_vgpr_workitem_id 0
		.amdhsa_next_free_vgpr 73
		.amdhsa_next_free_sgpr 48
		.amdhsa_reserve_vcc 1
		.amdhsa_reserve_flat_scratch 0
		.amdhsa_float_round_mode_32 0
		.amdhsa_float_round_mode_16_64 0
		.amdhsa_float_denorm_mode_32 3
		.amdhsa_float_denorm_mode_16_64 3
		.amdhsa_dx10_clamp 1
		.amdhsa_ieee_mode 1
		.amdhsa_fp16_overflow 0
		.amdhsa_exception_fp_ieee_invalid_op 0
		.amdhsa_exception_fp_denorm_src 0
		.amdhsa_exception_fp_ieee_div_zero 0
		.amdhsa_exception_fp_ieee_overflow 0
		.amdhsa_exception_fp_ieee_underflow 0
		.amdhsa_exception_fp_ieee_inexact 0
		.amdhsa_exception_int_div_zero 0
	.end_amdhsa_kernel
	.section	.text._Z16sort_keys_kernelIhLj512ELj8EN10test_utils4lessELj10EEvPKT_PS2_T2_,"axG",@progbits,_Z16sort_keys_kernelIhLj512ELj8EN10test_utils4lessELj10EEvPKT_PS2_T2_,comdat
.Lfunc_end118:
	.size	_Z16sort_keys_kernelIhLj512ELj8EN10test_utils4lessELj10EEvPKT_PS2_T2_, .Lfunc_end118-_Z16sort_keys_kernelIhLj512ELj8EN10test_utils4lessELj10EEvPKT_PS2_T2_
                                        ; -- End function
	.set _Z16sort_keys_kernelIhLj512ELj8EN10test_utils4lessELj10EEvPKT_PS2_T2_.num_vgpr, 73
	.set _Z16sort_keys_kernelIhLj512ELj8EN10test_utils4lessELj10EEvPKT_PS2_T2_.num_agpr, 0
	.set _Z16sort_keys_kernelIhLj512ELj8EN10test_utils4lessELj10EEvPKT_PS2_T2_.numbered_sgpr, 48
	.set _Z16sort_keys_kernelIhLj512ELj8EN10test_utils4lessELj10EEvPKT_PS2_T2_.num_named_barrier, 0
	.set _Z16sort_keys_kernelIhLj512ELj8EN10test_utils4lessELj10EEvPKT_PS2_T2_.private_seg_size, 0
	.set _Z16sort_keys_kernelIhLj512ELj8EN10test_utils4lessELj10EEvPKT_PS2_T2_.uses_vcc, 1
	.set _Z16sort_keys_kernelIhLj512ELj8EN10test_utils4lessELj10EEvPKT_PS2_T2_.uses_flat_scratch, 0
	.set _Z16sort_keys_kernelIhLj512ELj8EN10test_utils4lessELj10EEvPKT_PS2_T2_.has_dyn_sized_stack, 0
	.set _Z16sort_keys_kernelIhLj512ELj8EN10test_utils4lessELj10EEvPKT_PS2_T2_.has_recursion, 0
	.set _Z16sort_keys_kernelIhLj512ELj8EN10test_utils4lessELj10EEvPKT_PS2_T2_.has_indirect_call, 0
	.section	.AMDGPU.csdata,"",@progbits
; Kernel info:
; codeLenInByte = 11948
; TotalNumSgprs: 52
; NumVgprs: 73
; ScratchSize: 0
; MemoryBound: 0
; FloatMode: 240
; IeeeMode: 1
; LDSByteSize: 4097 bytes/workgroup (compile time only)
; SGPRBlocks: 6
; VGPRBlocks: 18
; NumSGPRsForWavesPerEU: 52
; NumVGPRsForWavesPerEU: 73
; Occupancy: 3
; WaveLimiterHint : 1
; COMPUTE_PGM_RSRC2:SCRATCH_EN: 0
; COMPUTE_PGM_RSRC2:USER_SGPR: 6
; COMPUTE_PGM_RSRC2:TRAP_HANDLER: 0
; COMPUTE_PGM_RSRC2:TGID_X_EN: 1
; COMPUTE_PGM_RSRC2:TGID_Y_EN: 0
; COMPUTE_PGM_RSRC2:TGID_Z_EN: 0
; COMPUTE_PGM_RSRC2:TIDIG_COMP_CNT: 0
	.section	.text._Z17sort_pairs_kernelIhLj512ELj8EN10test_utils4lessELj10EEvPKT_PS2_T2_,"axG",@progbits,_Z17sort_pairs_kernelIhLj512ELj8EN10test_utils4lessELj10EEvPKT_PS2_T2_,comdat
	.protected	_Z17sort_pairs_kernelIhLj512ELj8EN10test_utils4lessELj10EEvPKT_PS2_T2_ ; -- Begin function _Z17sort_pairs_kernelIhLj512ELj8EN10test_utils4lessELj10EEvPKT_PS2_T2_
	.globl	_Z17sort_pairs_kernelIhLj512ELj8EN10test_utils4lessELj10EEvPKT_PS2_T2_
	.p2align	8
	.type	_Z17sort_pairs_kernelIhLj512ELj8EN10test_utils4lessELj10EEvPKT_PS2_T2_,@function
_Z17sort_pairs_kernelIhLj512ELj8EN10test_utils4lessELj10EEvPKT_PS2_T2_: ; @_Z17sort_pairs_kernelIhLj512ELj8EN10test_utils4lessELj10EEvPKT_PS2_T2_
; %bb.0:
	s_load_dwordx4 s[0:3], s[4:5], 0x0
	s_lshl_b32 s4, s6, 12
                                        ; implicit-def: $vgpr94 : SGPR spill to VGPR lane
	v_lshlrev_b32_e32 v5, 3, v0
	v_writelane_b32 v94, s4, 0
	v_and_b32_e32 v6, 0xff0, v5
	s_waitcnt lgkmcnt(0)
	s_add_u32 s0, s0, s4
	v_writelane_b32 v94, s0, 1
	v_writelane_b32 v94, s1, 2
	;; [unrolled: 1-line block ×4, first 2 shown]
	s_addc_u32 s1, s1, 0
	s_nop 0
	global_load_ubyte v1, v0, s[0:1]
	global_load_ubyte v2, v0, s[0:1] offset:1024
	global_load_ubyte v3, v0, s[0:1] offset:2048
	;; [unrolled: 1-line block ×7, first 2 shown]
	s_mov_b32 s92, 0xc0c0004
	v_and_b32_e32 v7, 0xfe0, v5
	v_or_b32_e32 v14, 8, v6
	v_add_u32_e32 v15, 16, v6
	s_movk_i32 s0, 0x100
	v_and_b32_e32 v34, 8, v5
	v_and_b32_e32 v8, 0xfc0, v5
	v_or_b32_e32 v16, 16, v7
	v_add_u32_e32 v17, 32, v7
	v_sub_u32_e32 v36, v15, v14
	v_and_b32_e32 v35, 24, v5
	v_and_b32_e32 v9, 0xf80, v5
	v_or_b32_e32 v18, 32, v8
	v_add_u32_e32 v19, 64, v8
	v_sub_u32_e32 v37, v17, v16
	v_sub_u32_e32 v43, v34, v36
	v_cmp_ge_i32_e32 vcc, v34, v36
	v_and_b32_e32 v38, 56, v5
	v_and_b32_e32 v10, 0xf00, v5
	v_or_b32_e32 v20, 64, v9
	v_add_u32_e32 v21, 0x80, v9
	v_sub_u32_e32 v39, v19, v18
	v_sub_u32_e32 v46, v35, v37
	v_and_b32_e32 v41, 0x78, v5
	v_and_b32_e32 v11, 0xe00, v5
	v_or_b32_e32 v22, 0x80, v10
	v_add_u32_e32 v23, 0x100, v10
	v_sub_u32_e32 v40, v21, v20
	v_sub_u32_e32 v49, v38, v39
	;; [unrolled: 6-line block ×4, first 2 shown]
	v_and_b32_e32 v50, 0x3f8, v5
	v_or_b32_e32 v28, 0x400, v13
	v_add_u32_e32 v29, 0x800, v13
	v_sub_u32_e32 v48, v27, v26
	v_sub_u32_e32 v55, v47, v45
	v_and_b32_e32 v53, 0x7f8, v5
	v_sub_u32_e32 v51, v29, v28
	v_sub_u32_e32 v56, v50, v48
	;; [unrolled: 1-line block ×3, first 2 shown]
	s_mov_b32 s93, 0
	s_movk_i32 s94, 0xff
	s_mov_b32 s95, 0x7060405
	s_mov_b32 s33, 0xc0c0001
	;; [unrolled: 1-line block ×5, first 2 shown]
	s_movk_i32 s3, 0x1000
	s_waitcnt vmcnt(7)
	v_add_u16_e32 v58, 1, v1
	s_waitcnt vmcnt(6)
	v_add_u16_e32 v59, 1, v2
	;; [unrolled: 2-line block ×4, first 2 shown]
	s_waitcnt vmcnt(3)
	v_lshlrev_b16_e32 v65, 8, v30
	s_waitcnt vmcnt(2)
	v_lshlrev_b16_e32 v64, 8, v31
	s_waitcnt vmcnt(1)
	v_lshlrev_b16_e32 v63, 8, v32
	s_waitcnt vmcnt(0)
	v_lshlrev_b16_e32 v62, 8, v33
	v_perm_b32 v1, v1, v33, s92
	v_perm_b32 v2, v2, v32, s92
	;; [unrolled: 1-line block ×4, first 2 shown]
	v_or_b32_sdwa v31, v62, v58 dst_sel:DWORD dst_unused:UNUSED_PAD src0_sel:DWORD src1_sel:BYTE_0
	v_or_b32_sdwa v32, v63, v59 dst_sel:DWORD dst_unused:UNUSED_PAD src0_sel:DWORD src1_sel:BYTE_0
	;; [unrolled: 1-line block ×4, first 2 shown]
	v_lshl_or_b32 v4, v2, 16, v1
	v_lshl_or_b32 v3, v30, 16, v3
	v_add_u16_e32 v1, 0x100, v31
	v_add_u16_sdwa v2, v32, s0 dst_sel:WORD_1 dst_unused:UNUSED_PAD src0_sel:DWORD src1_sel:DWORD
	v_add_u16_e32 v30, 0x100, v33
	v_add_u16_sdwa v31, v58, s0 dst_sel:WORD_1 dst_unused:UNUSED_PAD src0_sel:DWORD src1_sel:DWORD
	v_or_b32_e32 v1, v1, v2
	v_or_b32_e32 v2, v30, v31
	v_cndmask_b32_e32 v30, 0, v43, vcc
	v_sub_u32_e32 v31, v14, v6
	v_cmp_ge_i32_e32 vcc, v35, v37
	v_min_i32_e32 v31, v34, v31
	v_cndmask_b32_e32 v33, 0, v46, vcc
	v_cmp_ge_i32_e32 vcc, v38, v39
	v_cmp_lt_i32_e64 s[0:1], v30, v31
	v_add_u32_e32 v32, v14, v34
	v_sub_u32_e32 v34, v16, v7
	v_cndmask_b32_e32 v36, 0, v49, vcc
	v_cmp_ge_i32_e32 vcc, v41, v40
	v_writelane_b32 v94, s0, 5
	v_min_i32_e32 v34, v35, v34
	v_cndmask_b32_e32 v39, 0, v52, vcc
	v_cmp_ge_i32_e32 vcc, v44, v42
	v_writelane_b32 v94, s1, 6
	v_cmp_lt_i32_e64 s[0:1], v33, v34
	v_sub_u32_e32 v37, v18, v8
	v_cndmask_b32_e32 v42, 0, v54, vcc
	v_cmp_ge_i32_e32 vcc, v47, v45
	v_writelane_b32 v94, s0, 7
	v_min_i32_e32 v37, v38, v37
	v_cndmask_b32_e32 v45, 0, v55, vcc
	v_cmp_ge_i32_e32 vcc, v50, v48
	v_writelane_b32 v94, s1, 8
	v_cmp_lt_i32_e64 s[0:1], v36, v37
	v_sub_u32_e32 v40, v20, v9
	v_sub_u32_e32 v43, v22, v10
	v_sub_u32_e32 v46, v24, v11
	v_cndmask_b32_e32 v48, 0, v56, vcc
	v_sub_u32_e32 v49, v26, v12
	v_cmp_ge_i32_e32 vcc, v53, v51
	v_sub_u32_e32 v52, v28, v13
	v_mov_b32_e32 v54, 0x800
	v_writelane_b32 v94, s0, 9
	v_min_i32_e32 v40, v41, v40
	v_min_i32_e32 v43, v44, v43
	;; [unrolled: 1-line block ×4, first 2 shown]
	v_cndmask_b32_e32 v51, 0, v57, vcc
	v_min_i32_e32 v52, v53, v52
	v_sub_u32_e64 v55, v5, v54 clamp
	v_min_i32_e32 v56, 0x800, v5
	v_add_u32_e32 v35, v16, v35
	v_writelane_b32 v94, s1, 10
	v_add_u32_e32 v38, v18, v38
	v_cmp_lt_i32_e64 s[6:7], v39, v40
	v_add_u32_e32 v41, v20, v41
	v_cmp_lt_i32_e64 s[8:9], v42, v43
	;; [unrolled: 2-line block ×6, first 2 shown]
	s_mov_b32 s0, 0x7050604
	s_mov_b32 s1, 0x3020107
	v_add_u32_e32 v57, 0x800, v5
	s_branch .LBB119_2
.LBB119_1:                              ;   in Loop: Header=BB119_2 Depth=1
	s_or_b64 exec, exec, s[30:31]
	v_cndmask_b32_e32 v64, v64, v65, vcc
	v_cndmask_b32_e64 v65, v66, v67, s[18:19]
	v_cndmask_b32_e64 v68, v69, v68, s[18:19]
	v_cmp_ge_i32_e64 s[18:19], v90, v54
	s_waitcnt lgkmcnt(0)
	v_cmp_lt_u16_sdwa s[4:5], v93, v91 src0_sel:BYTE_0 src1_sel:BYTE_0
	v_cndmask_b32_e32 v63, v62, v63, vcc
	v_cmp_gt_i32_e32 vcc, s3, v88
	s_or_b64 s[4:5], s[18:19], s[4:5]
	s_and_b64 vcc, vcc, s[4:5]
	v_perm_b32 v59, v59, v60, s92
	v_perm_b32 v58, v61, v58, s92
	;; [unrolled: 1-line block ×4, first 2 shown]
	v_cndmask_b32_e64 v67, v74, v75, s[22:23]
	v_cndmask_b32_e64 v72, v73, v72, s[20:21]
	v_cndmask_b32_e32 v69, v90, v88, vcc
	v_lshl_or_b32 v59, v58, 16, v59
	v_lshl_or_b32 v58, v2, 16, v1
	v_cndmask_b32_e64 v66, v70, v71, s[20:21]
	v_cndmask_b32_e64 v70, v78, v79, s[24:25]
	;; [unrolled: 1-line block ×5, first 2 shown]
	s_barrier
	ds_write_b64 v5, v[58:59]
	s_waitcnt lgkmcnt(0)
	s_barrier
	ds_read_u8 v58, v63
	ds_read_u8 v59, v89
	;; [unrolled: 1-line block ×8, first 2 shown]
	v_lshlrev_b16_e32 v1, 8, v65
	v_lshlrev_b16_e32 v2, 8, v67
	v_cndmask_b32_e64 v71, v82, v83, s[26:27]
	v_cndmask_b32_e32 v62, v91, v93, vcc
	v_or_b32_sdwa v1, v64, v1 dst_sel:DWORD dst_unused:UNUSED_PAD src0_sel:BYTE_0 src1_sel:DWORD
	v_or_b32_sdwa v2, v66, v2 dst_sel:WORD_1 dst_unused:UNUSED_PAD src0_sel:BYTE_0 src1_sel:DWORD
	v_cndmask_b32_e64 v74, v86, v87, s[28:29]
	v_or_b32_sdwa v4, v1, v2 dst_sel:DWORD dst_unused:UNUSED_PAD src0_sel:WORD_0 src1_sel:DWORD
	v_lshlrev_b16_e32 v1, 8, v71
	v_lshlrev_b16_e32 v2, 8, v62
	v_or_b32_sdwa v1, v70, v1 dst_sel:DWORD dst_unused:UNUSED_PAD src0_sel:BYTE_0 src1_sel:DWORD
	v_or_b32_sdwa v2, v74, v2 dst_sel:WORD_1 dst_unused:UNUSED_PAD src0_sel:BYTE_0 src1_sel:DWORD
	v_or_b32_sdwa v3, v1, v2 dst_sel:DWORD dst_unused:UNUSED_PAD src0_sel:WORD_0 src1_sel:DWORD
	s_waitcnt lgkmcnt(4)
	v_perm_b32 v1, v58, v61, s92
	s_waitcnt lgkmcnt(2)
	v_perm_b32 v2, v63, v68, s92
	s_add_i32 s93, s93, 1
	v_lshl_or_b32 v1, v2, 16, v1
	s_waitcnt lgkmcnt(0)
	v_perm_b32 v2, v69, v72, s92
	v_perm_b32 v73, v59, v60, s92
	s_cmp_eq_u32 s93, 10
	v_lshl_or_b32 v2, v73, 16, v2
	s_cbranch_scc1 .LBB119_290
.LBB119_2:                              ; =>This Loop Header: Depth=1
                                        ;     Child Loop BB119_4 Depth 2
                                        ;     Child Loop BB119_36 Depth 2
	;; [unrolled: 1-line block ×9, first 2 shown]
	v_lshrrev_b32_e32 v59, 8, v4
	v_perm_b32 v58, v4, v4, s95
	v_cmp_lt_u16_sdwa s[18:19], v59, v4 src0_sel:BYTE_0 src1_sel:BYTE_0
	v_cndmask_b32_e64 v4, v4, v58, s[18:19]
	v_lshrrev_b32_e32 v58, 16, v4
	v_perm_b32 v59, 0, v58, s33
	v_lshlrev_b32_e32 v59, 16, v59
	v_and_or_b32 v59, v4, s90, v59
	v_cmp_lt_u16_sdwa s[20:21], v4, v58 src0_sel:BYTE_3 src1_sel:BYTE_0
	v_cndmask_b32_e64 v4, v4, v59, s[20:21]
	v_lshrrev_b32_e32 v59, 8, v3
	v_perm_b32 v58, v3, v3, s95
	v_cmp_lt_u16_sdwa s[22:23], v59, v3 src0_sel:BYTE_0 src1_sel:BYTE_0
	v_cndmask_b32_e64 v3, v3, v58, s[22:23]
	v_and_b32_sdwa v58, v3, s94 dst_sel:DWORD dst_unused:UNUSED_PAD src0_sel:WORD_1 src1_sel:DWORD
	v_perm_b32 v59, v3, v3, s91
	v_cmp_lt_u16_sdwa s[24:25], v3, v58 src0_sel:BYTE_3 src1_sel:DWORD
	v_cndmask_b32_e64 v3, v3, v59, s[24:25]
	v_and_b32_sdwa v58, v4, s94 dst_sel:DWORD dst_unused:UNUSED_PAD src0_sel:WORD_1 src1_sel:DWORD
	v_lshrrev_b32_e32 v59, 8, v4
	v_perm_b32 v60, v4, v4, s0
	v_cmp_lt_u16_sdwa s[26:27], v58, v59 src0_sel:DWORD src1_sel:BYTE_0
	v_cndmask_b32_e64 v4, v4, v60, s[26:27]
	v_and_b32_sdwa v59, v4, s94 dst_sel:DWORD dst_unused:UNUSED_PAD src0_sel:WORD_1 src1_sel:DWORD
	v_lshlrev_b16_e32 v60, 8, v3
	v_perm_b32 v58, v4, v3, s1
	v_or_b32_sdwa v59, v59, v60 dst_sel:WORD_1 dst_unused:UNUSED_PAD src0_sel:DWORD src1_sel:DWORD
	v_cmp_lt_u16_sdwa s[28:29], v3, v4 src0_sel:BYTE_0 src1_sel:BYTE_3
	v_and_or_b32 v59, v4, s90, v59
	v_cndmask_b32_e64 v3, v3, v58, s[28:29]
	v_cndmask_b32_e64 v4, v4, v59, s[28:29]
	v_and_b32_sdwa v58, v3, s94 dst_sel:DWORD dst_unused:UNUSED_PAD src0_sel:WORD_1 src1_sel:DWORD
	v_lshrrev_b32_e32 v59, 8, v3
	v_cmp_lt_u16_sdwa s[30:31], v58, v59 src0_sel:DWORD src1_sel:BYTE_0
	v_perm_b32 v58, 0, v4, s33
	v_lshrrev_b32_e32 v59, 8, v4
	v_and_or_b32 v58, v4, s2, v58
	v_cmp_lt_u16_sdwa s[34:35], v59, v4 src0_sel:BYTE_0 src1_sel:BYTE_0
	v_cndmask_b32_e64 v4, v4, v58, s[34:35]
	v_lshrrev_b32_e32 v58, 16, v4
	v_perm_b32 v59, 0, v58, s33
	v_perm_b32 v60, v3, v3, s0
	v_lshlrev_b32_e32 v59, 16, v59
	v_cndmask_b32_e64 v3, v3, v60, s[30:31]
	v_and_or_b32 v59, v4, s90, v59
	v_cmp_lt_u16_sdwa s[36:37], v4, v58 src0_sel:BYTE_3 src1_sel:BYTE_0
	v_cndmask_b32_e64 v4, v4, v59, s[36:37]
	v_lshrrev_b32_e32 v59, 8, v3
	v_perm_b32 v58, v3, v3, s95
	v_cmp_lt_u16_sdwa s[38:39], v59, v3 src0_sel:BYTE_0 src1_sel:BYTE_0
	v_cndmask_b32_e64 v3, v3, v58, s[38:39]
	v_and_b32_sdwa v58, v3, s94 dst_sel:DWORD dst_unused:UNUSED_PAD src0_sel:WORD_1 src1_sel:DWORD
	v_perm_b32 v59, v3, v3, s91
	v_cmp_lt_u16_sdwa s[40:41], v3, v58 src0_sel:BYTE_3 src1_sel:DWORD
	v_cndmask_b32_e64 v3, v3, v59, s[40:41]
	v_and_b32_sdwa v58, v4, s94 dst_sel:DWORD dst_unused:UNUSED_PAD src0_sel:WORD_1 src1_sel:DWORD
	v_lshrrev_b32_e32 v59, 8, v4
	v_perm_b32 v60, v4, v4, s0
	v_cmp_lt_u16_sdwa s[42:43], v58, v59 src0_sel:DWORD src1_sel:BYTE_0
	v_cndmask_b32_e64 v4, v4, v60, s[42:43]
	v_and_b32_sdwa v59, v4, s94 dst_sel:DWORD dst_unused:UNUSED_PAD src0_sel:WORD_1 src1_sel:DWORD
	v_lshlrev_b16_e32 v60, 8, v3
	v_perm_b32 v58, v4, v3, s1
	v_or_b32_sdwa v59, v59, v60 dst_sel:WORD_1 dst_unused:UNUSED_PAD src0_sel:DWORD src1_sel:DWORD
	v_cmp_lt_u16_sdwa s[44:45], v3, v4 src0_sel:BYTE_0 src1_sel:BYTE_3
	v_and_or_b32 v59, v4, s90, v59
	v_cndmask_b32_e64 v3, v3, v58, s[44:45]
	v_cndmask_b32_e64 v4, v4, v59, s[44:45]
	v_and_b32_sdwa v58, v3, s94 dst_sel:DWORD dst_unused:UNUSED_PAD src0_sel:WORD_1 src1_sel:DWORD
	v_lshrrev_b32_e32 v59, 8, v3
	v_cmp_lt_u16_sdwa s[46:47], v58, v59 src0_sel:DWORD src1_sel:BYTE_0
	v_perm_b32 v58, 0, v4, s33
	v_lshrrev_b32_e32 v59, 8, v4
	v_and_or_b32 v58, v4, s2, v58
	v_cmp_lt_u16_sdwa s[48:49], v59, v4 src0_sel:BYTE_0 src1_sel:BYTE_0
	v_cndmask_b32_e64 v4, v4, v58, s[48:49]
	v_lshrrev_b32_e32 v58, 16, v4
	v_perm_b32 v59, 0, v58, s33
	v_perm_b32 v60, v3, v3, s0
	v_lshlrev_b32_e32 v59, 16, v59
	v_cndmask_b32_e64 v3, v3, v60, s[46:47]
	;; [unrolled: 37-line block ×3, first 2 shown]
	v_and_or_b32 v59, v4, s90, v59
	v_cmp_lt_u16_sdwa s[64:65], v4, v58 src0_sel:BYTE_3 src1_sel:BYTE_0
	v_cndmask_b32_e64 v4, v4, v59, s[64:65]
	v_lshrrev_b32_e32 v59, 8, v3
	v_perm_b32 v58, v3, v3, s95
	v_cmp_lt_u16_sdwa s[66:67], v59, v3 src0_sel:BYTE_0 src1_sel:BYTE_0
	v_cndmask_b32_e64 v3, v3, v58, s[66:67]
	v_and_b32_sdwa v58, v3, s94 dst_sel:DWORD dst_unused:UNUSED_PAD src0_sel:WORD_1 src1_sel:DWORD
	v_perm_b32 v59, v3, v3, s91
	v_cmp_lt_u16_sdwa s[68:69], v3, v58 src0_sel:BYTE_3 src1_sel:DWORD
	v_cndmask_b32_e64 v58, v3, v59, s[68:69]
	v_and_b32_sdwa v3, v4, s94 dst_sel:DWORD dst_unused:UNUSED_PAD src0_sel:WORD_1 src1_sel:DWORD
	v_lshrrev_b32_e32 v59, 8, v4
	v_perm_b32 v60, v4, v4, s0
	v_cmp_lt_u16_sdwa s[70:71], v3, v59 src0_sel:DWORD src1_sel:BYTE_0
	v_cndmask_b32_e64 v3, v4, v60, s[70:71]
	v_and_b32_sdwa v59, v3, s94 dst_sel:DWORD dst_unused:UNUSED_PAD src0_sel:WORD_1 src1_sel:DWORD
	v_lshlrev_b16_e32 v60, 8, v58
	v_perm_b32 v4, v3, v58, s1
	v_or_b32_sdwa v59, v59, v60 dst_sel:WORD_1 dst_unused:UNUSED_PAD src0_sel:DWORD src1_sel:DWORD
	v_cmp_lt_u16_sdwa s[72:73], v58, v3 src0_sel:BYTE_0 src1_sel:BYTE_3
	v_and_or_b32 v59, v3, s90, v59
	v_cndmask_b32_e64 v4, v58, v4, s[72:73]
	v_cndmask_b32_e64 v3, v3, v59, s[72:73]
	v_and_b32_sdwa v58, v4, s94 dst_sel:DWORD dst_unused:UNUSED_PAD src0_sel:WORD_1 src1_sel:DWORD
	v_lshrrev_b32_e32 v59, 8, v4
	v_perm_b32 v60, v4, v4, s0
	v_cmp_lt_u16_sdwa s[74:75], v58, v59 src0_sel:DWORD src1_sel:BYTE_0
	v_readlane_b32 s4, v94, 5
	v_cndmask_b32_e64 v4, v4, v60, s[74:75]
	v_mov_b32_e32 v63, v30
	v_readlane_b32 s5, v94, 6
	s_barrier
	ds_write_b64 v5, v[3:4]
	s_waitcnt lgkmcnt(0)
	s_barrier
	s_and_saveexec_b64 s[76:77], s[4:5]
	s_cbranch_execz .LBB119_6
; %bb.3:                                ;   in Loop: Header=BB119_2 Depth=1
	s_mov_b64 s[78:79], 0
	v_mov_b32_e32 v63, v30
	v_mov_b32_e32 v3, v31
.LBB119_4:                              ;   Parent Loop BB119_2 Depth=1
                                        ; =>  This Inner Loop Header: Depth=2
	v_sub_u32_e32 v4, v3, v63
	v_lshrrev_b32_e32 v4, 1, v4
	v_add_u32_e32 v4, v4, v63
	v_add_u32_e32 v58, v6, v4
	v_xad_u32 v59, v4, -1, v32
	ds_read_u8 v58, v58
	ds_read_u8 v59, v59
	v_add_u32_e32 v60, 1, v4
	s_waitcnt lgkmcnt(0)
	v_cmp_lt_u16_e32 vcc, v59, v58
	v_cndmask_b32_e32 v3, v3, v4, vcc
	v_cndmask_b32_e32 v63, v60, v63, vcc
	v_cmp_ge_i32_e32 vcc, v63, v3
	s_or_b64 s[78:79], vcc, s[78:79]
	s_andn2_b64 exec, exec, s[78:79]
	s_cbranch_execnz .LBB119_4
; %bb.5:                                ;   in Loop: Header=BB119_2 Depth=1
	s_or_b64 exec, exec, s[78:79]
.LBB119_6:                              ;   in Loop: Header=BB119_2 Depth=1
	s_or_b64 exec, exec, s[76:77]
	v_add_u32_e32 v62, v63, v6
	v_sub_u32_e32 v63, v32, v63
	ds_read_u8 v64, v62
	ds_read_u8 v65, v63
	v_cmp_le_i32_e64 s[76:77], v14, v62
	v_cmp_gt_i32_e32 vcc, v15, v63
	v_lshrrev_b64 v[3:4], 24, v[1:2]
	v_lshrrev_b32_e32 v58, 8, v2
	s_waitcnt lgkmcnt(0)
	v_cmp_lt_u16_sdwa s[78:79], v65, v64 src0_sel:BYTE_0 src1_sel:BYTE_0
	s_or_b64 s[76:77], s[76:77], s[78:79]
	s_and_b64 s[76:77], vcc, s[76:77]
	v_lshrrev_b32_e32 v59, 16, v2
	v_lshrrev_b32_e32 v61, 24, v2
	;; [unrolled: 1-line block ×4, first 2 shown]
	s_xor_b64 s[78:79], s[76:77], -1
                                        ; implicit-def: $vgpr66
	s_and_saveexec_b64 s[80:81], s[78:79]
	s_xor_b64 s[78:79], exec, s[80:81]
; %bb.7:                                ;   in Loop: Header=BB119_2 Depth=1
	ds_read_u8 v66, v62 offset:1
; %bb.8:                                ;   in Loop: Header=BB119_2 Depth=1
	s_or_saveexec_b64 s[78:79], s[78:79]
	v_mov_b32_e32 v67, v65
	s_xor_b64 exec, exec, s[78:79]
	s_cbranch_execz .LBB119_10
; %bb.9:                                ;   in Loop: Header=BB119_2 Depth=1
	ds_read_u8 v67, v63 offset:1
	s_waitcnt lgkmcnt(1)
	v_mov_b32_e32 v66, v64
.LBB119_10:                             ;   in Loop: Header=BB119_2 Depth=1
	s_or_b64 exec, exec, s[78:79]
	v_add_u32_e32 v69, 1, v62
	v_add_u32_e32 v68, 1, v63
	v_cndmask_b32_e64 v69, v69, v62, s[76:77]
	v_cndmask_b32_e64 v68, v63, v68, s[76:77]
	v_cmp_ge_i32_e64 s[78:79], v69, v14
	s_waitcnt lgkmcnt(0)
	v_cmp_lt_u16_sdwa s[80:81], v67, v66 src0_sel:BYTE_0 src1_sel:BYTE_0
	v_cmp_lt_i32_e32 vcc, v68, v15
	s_or_b64 s[78:79], s[78:79], s[80:81]
	s_and_b64 s[78:79], vcc, s[78:79]
	s_xor_b64 s[80:81], s[78:79], -1
                                        ; implicit-def: $vgpr70
	s_and_saveexec_b64 s[82:83], s[80:81]
	s_xor_b64 s[80:81], exec, s[82:83]
; %bb.11:                               ;   in Loop: Header=BB119_2 Depth=1
	ds_read_u8 v70, v69 offset:1
; %bb.12:                               ;   in Loop: Header=BB119_2 Depth=1
	s_or_saveexec_b64 s[80:81], s[80:81]
	v_mov_b32_e32 v71, v67
	s_xor_b64 exec, exec, s[80:81]
	s_cbranch_execz .LBB119_14
; %bb.13:                               ;   in Loop: Header=BB119_2 Depth=1
	ds_read_u8 v71, v68 offset:1
	s_waitcnt lgkmcnt(1)
	v_mov_b32_e32 v70, v66
.LBB119_14:                             ;   in Loop: Header=BB119_2 Depth=1
	s_or_b64 exec, exec, s[80:81]
	v_add_u32_e32 v73, 1, v69
	v_add_u32_e32 v72, 1, v68
	v_cndmask_b32_e64 v73, v73, v69, s[78:79]
	v_cndmask_b32_e64 v72, v68, v72, s[78:79]
	v_cmp_ge_i32_e64 s[80:81], v73, v14
	s_waitcnt lgkmcnt(0)
	v_cmp_lt_u16_sdwa s[82:83], v71, v70 src0_sel:BYTE_0 src1_sel:BYTE_0
	v_cmp_lt_i32_e32 vcc, v72, v15
	s_or_b64 s[80:81], s[80:81], s[82:83]
	s_and_b64 s[80:81], vcc, s[80:81]
	s_xor_b64 s[82:83], s[80:81], -1
                                        ; implicit-def: $vgpr74
	s_and_saveexec_b64 s[84:85], s[82:83]
	s_xor_b64 s[82:83], exec, s[84:85]
; %bb.15:                               ;   in Loop: Header=BB119_2 Depth=1
	ds_read_u8 v74, v73 offset:1
; %bb.16:                               ;   in Loop: Header=BB119_2 Depth=1
	s_or_saveexec_b64 s[82:83], s[82:83]
	v_mov_b32_e32 v75, v71
	s_xor_b64 exec, exec, s[82:83]
	s_cbranch_execz .LBB119_18
; %bb.17:                               ;   in Loop: Header=BB119_2 Depth=1
	ds_read_u8 v75, v72 offset:1
	s_waitcnt lgkmcnt(1)
	v_mov_b32_e32 v74, v70
.LBB119_18:                             ;   in Loop: Header=BB119_2 Depth=1
	s_or_b64 exec, exec, s[82:83]
	v_add_u32_e32 v77, 1, v73
	v_add_u32_e32 v76, 1, v72
	v_cndmask_b32_e64 v77, v77, v73, s[80:81]
	v_cndmask_b32_e64 v76, v72, v76, s[80:81]
	v_cmp_ge_i32_e64 s[82:83], v77, v14
	s_waitcnt lgkmcnt(0)
	v_cmp_lt_u16_sdwa s[84:85], v75, v74 src0_sel:BYTE_0 src1_sel:BYTE_0
	v_cmp_lt_i32_e32 vcc, v76, v15
	s_or_b64 s[82:83], s[82:83], s[84:85]
	s_and_b64 s[82:83], vcc, s[82:83]
	s_xor_b64 s[84:85], s[82:83], -1
                                        ; implicit-def: $vgpr78
	s_and_saveexec_b64 s[86:87], s[84:85]
	s_xor_b64 s[84:85], exec, s[86:87]
; %bb.19:                               ;   in Loop: Header=BB119_2 Depth=1
	ds_read_u8 v78, v77 offset:1
; %bb.20:                               ;   in Loop: Header=BB119_2 Depth=1
	s_or_saveexec_b64 s[84:85], s[84:85]
	v_mov_b32_e32 v80, v75
	s_xor_b64 exec, exec, s[84:85]
	s_cbranch_execz .LBB119_22
; %bb.21:                               ;   in Loop: Header=BB119_2 Depth=1
	ds_read_u8 v80, v76 offset:1
	s_waitcnt lgkmcnt(1)
	v_mov_b32_e32 v78, v74
.LBB119_22:                             ;   in Loop: Header=BB119_2 Depth=1
	s_or_b64 exec, exec, s[84:85]
	v_add_u32_e32 v81, 1, v77
	v_add_u32_e32 v79, 1, v76
	v_cndmask_b32_e64 v83, v81, v77, s[82:83]
	v_cndmask_b32_e64 v82, v76, v79, s[82:83]
	v_cmp_ge_i32_e64 s[84:85], v83, v14
	s_waitcnt lgkmcnt(0)
	v_cmp_lt_u16_sdwa s[86:87], v80, v78 src0_sel:BYTE_0 src1_sel:BYTE_0
	v_cmp_lt_i32_e32 vcc, v82, v15
	s_or_b64 s[84:85], s[84:85], s[86:87]
	s_and_b64 s[84:85], vcc, s[84:85]
	s_xor_b64 s[86:87], s[84:85], -1
                                        ; implicit-def: $vgpr84
	s_and_saveexec_b64 s[88:89], s[86:87]
	s_xor_b64 s[86:87], exec, s[88:89]
; %bb.23:                               ;   in Loop: Header=BB119_2 Depth=1
	ds_read_u8 v84, v83 offset:1
; %bb.24:                               ;   in Loop: Header=BB119_2 Depth=1
	s_or_saveexec_b64 s[86:87], s[86:87]
	v_mov_b32_e32 v85, v80
	s_xor_b64 exec, exec, s[86:87]
	s_cbranch_execz .LBB119_26
; %bb.25:                               ;   in Loop: Header=BB119_2 Depth=1
	ds_read_u8 v85, v82 offset:1
	s_waitcnt lgkmcnt(1)
	v_mov_b32_e32 v84, v78
.LBB119_26:                             ;   in Loop: Header=BB119_2 Depth=1
	s_or_b64 exec, exec, s[86:87]
	v_add_u32_e32 v81, 1, v83
	v_add_u32_e32 v79, 1, v82
	v_cndmask_b32_e64 v87, v81, v83, s[84:85]
	v_cndmask_b32_e64 v86, v82, v79, s[84:85]
	v_cmp_ge_i32_e64 s[86:87], v87, v14
	s_waitcnt lgkmcnt(0)
	v_cmp_lt_u16_sdwa s[88:89], v85, v84 src0_sel:BYTE_0 src1_sel:BYTE_0
	v_cmp_lt_i32_e32 vcc, v86, v15
	s_or_b64 s[86:87], s[86:87], s[88:89]
	s_and_b64 vcc, vcc, s[86:87]
	s_xor_b64 s[86:87], vcc, -1
                                        ; implicit-def: $vgpr88
	s_and_saveexec_b64 s[88:89], s[86:87]
	s_xor_b64 s[86:87], exec, s[88:89]
; %bb.27:                               ;   in Loop: Header=BB119_2 Depth=1
	ds_read_u8 v88, v87 offset:1
; %bb.28:                               ;   in Loop: Header=BB119_2 Depth=1
	s_or_saveexec_b64 s[86:87], s[86:87]
	v_mov_b32_e32 v89, v85
	s_xor_b64 exec, exec, s[86:87]
	s_cbranch_execz .LBB119_30
; %bb.29:                               ;   in Loop: Header=BB119_2 Depth=1
	ds_read_u8 v89, v86 offset:1
	s_waitcnt lgkmcnt(1)
	v_mov_b32_e32 v88, v84
.LBB119_30:                             ;   in Loop: Header=BB119_2 Depth=1
	s_or_b64 exec, exec, s[86:87]
	v_add_u32_e32 v81, 1, v87
	v_add_u32_e32 v79, 1, v86
	v_cndmask_b32_e32 v91, v81, v87, vcc
	v_cndmask_b32_e32 v90, v86, v79, vcc
	v_cmp_ge_i32_e64 s[88:89], v91, v14
	s_waitcnt lgkmcnt(0)
	v_cmp_lt_u16_sdwa s[4:5], v89, v88 src0_sel:BYTE_0 src1_sel:BYTE_0
	v_cmp_lt_i32_e64 s[86:87], v90, v15
	s_or_b64 s[4:5], s[88:89], s[4:5]
	s_and_b64 s[86:87], s[86:87], s[4:5]
	s_xor_b64 s[4:5], s[86:87], -1
                                        ; implicit-def: $vgpr79
	s_and_saveexec_b64 s[88:89], s[4:5]
	s_xor_b64 s[88:89], exec, s[88:89]
; %bb.31:                               ;   in Loop: Header=BB119_2 Depth=1
	ds_read_u8 v79, v91 offset:1
; %bb.32:                               ;   in Loop: Header=BB119_2 Depth=1
	s_or_saveexec_b64 s[88:89], s[88:89]
	v_mov_b32_e32 v81, v89
	s_xor_b64 exec, exec, s[88:89]
	s_cbranch_execz .LBB119_34
; %bb.33:                               ;   in Loop: Header=BB119_2 Depth=1
	ds_read_u8 v81, v90 offset:1
	s_waitcnt lgkmcnt(1)
	v_mov_b32_e32 v79, v88
.LBB119_34:                             ;   in Loop: Header=BB119_2 Depth=1
	s_or_b64 exec, exec, s[88:89]
	v_perm_b32 v2, v2, v58, s92
	v_perm_b32 v58, v59, v61, s92
	v_lshl_or_b32 v2, v58, 16, v2
	v_perm_b32 v58, v4, v1, s92
	v_perm_b32 v1, v1, v4, s92
	;; [unrolled: 1-line block ×3, first 2 shown]
	v_cndmask_b32_e64 v1, v1, v58, s[18:19]
	v_lshl_or_b32 v1, v3, 16, v1
	v_perm_b32 v3, 0, v3, s33
	v_lshlrev_b32_e32 v3, 16, v3
	v_and_or_b32 v3, v1, s90, v3
	v_cndmask_b32_e64 v1, v1, v3, s[20:21]
	v_perm_b32 v3, v2, v2, s95
	v_cndmask_b32_e64 v2, v2, v3, s[22:23]
	v_perm_b32 v3, v2, v2, s91
	v_cndmask_b32_e64 v2, v2, v3, s[24:25]
	v_perm_b32 v3, v1, v1, s0
	v_cndmask_b32_e64 v1, v1, v3, s[26:27]
	v_and_b32_sdwa v4, v1, s94 dst_sel:DWORD dst_unused:UNUSED_PAD src0_sel:WORD_1 src1_sel:DWORD
	v_lshlrev_b16_e32 v58, 8, v2
	v_or_b32_sdwa v4, v4, v58 dst_sel:WORD_1 dst_unused:UNUSED_PAD src0_sel:DWORD src1_sel:DWORD
	v_and_or_b32 v4, v1, s90, v4
	v_perm_b32 v3, v1, v2, s1
	v_cndmask_b32_e64 v1, v1, v4, s[28:29]
	v_perm_b32 v4, 0, v1, s33
	v_cndmask_b32_e64 v2, v2, v3, s[28:29]
	v_and_or_b32 v4, v1, s2, v4
	v_perm_b32 v3, v2, v2, s0
	v_cndmask_b32_e64 v1, v1, v4, s[34:35]
	v_cndmask_b32_e64 v2, v2, v3, s[30:31]
	v_lshrrev_b32_e32 v3, 16, v1
	v_perm_b32 v3, 0, v3, s33
	v_lshlrev_b32_e32 v3, 16, v3
	v_and_or_b32 v3, v1, s90, v3
	v_cndmask_b32_e64 v1, v1, v3, s[36:37]
	v_perm_b32 v3, v2, v2, s95
	v_cndmask_b32_e64 v2, v2, v3, s[38:39]
	v_perm_b32 v3, v2, v2, s91
	v_cndmask_b32_e64 v2, v2, v3, s[40:41]
	v_perm_b32 v3, v1, v1, s0
	v_cndmask_b32_e64 v1, v1, v3, s[42:43]
	v_and_b32_sdwa v4, v1, s94 dst_sel:DWORD dst_unused:UNUSED_PAD src0_sel:WORD_1 src1_sel:DWORD
	v_lshlrev_b16_e32 v58, 8, v2
	v_or_b32_sdwa v4, v4, v58 dst_sel:WORD_1 dst_unused:UNUSED_PAD src0_sel:DWORD src1_sel:DWORD
	v_and_or_b32 v4, v1, s90, v4
	v_perm_b32 v3, v1, v2, s1
	v_cndmask_b32_e64 v1, v1, v4, s[44:45]
	v_perm_b32 v4, 0, v1, s33
	v_cndmask_b32_e64 v2, v2, v3, s[44:45]
	v_and_or_b32 v4, v1, s2, v4
	v_perm_b32 v3, v2, v2, s0
	v_cndmask_b32_e64 v1, v1, v4, s[48:49]
	v_cndmask_b32_e64 v2, v2, v3, s[46:47]
	v_lshrrev_b32_e32 v3, 16, v1
	;; [unrolled: 23-line block ×3, first 2 shown]
	v_perm_b32 v3, 0, v3, s33
	v_lshlrev_b32_e32 v3, 16, v3
	v_and_or_b32 v3, v1, s90, v3
	v_cndmask_b32_e64 v1, v1, v3, s[64:65]
	v_perm_b32 v3, v2, v2, s95
	v_cndmask_b32_e64 v2, v2, v3, s[66:67]
	v_perm_b32 v3, v2, v2, s91
	v_add_u32_e32 v92, 1, v91
	v_cndmask_b32_e64 v2, v2, v3, s[68:69]
	v_perm_b32 v3, v1, v1, s0
	v_cndmask_b32_e64 v88, v88, v89, s[86:87]
	v_add_u32_e32 v89, 1, v90
	v_cndmask_b32_e64 v92, v92, v91, s[86:87]
	v_cndmask_b32_e64 v1, v1, v3, s[70:71]
	;; [unrolled: 1-line block ×3, first 2 shown]
	v_perm_b32 v3, v1, v2, s1
	v_and_b32_sdwa v4, v1, s94 dst_sel:DWORD dst_unused:UNUSED_PAD src0_sel:WORD_1 src1_sel:DWORD
	v_lshlrev_b16_e32 v58, 8, v2
	v_cmp_ge_i32_e64 s[18:19], v92, v14
	s_waitcnt lgkmcnt(0)
	v_cmp_lt_u16_sdwa s[4:5], v81, v79 src0_sel:BYTE_0 src1_sel:BYTE_0
	v_cndmask_b32_sdwa v84, v84, v85, vcc dst_sel:BYTE_1 dst_unused:UNUSED_PAD src0_sel:DWORD src1_sel:DWORD
	v_cndmask_b32_e32 v85, v87, v86, vcc
	v_or_b32_sdwa v4, v4, v58 dst_sel:WORD_1 dst_unused:UNUSED_PAD src0_sel:DWORD src1_sel:DWORD
	v_cndmask_b32_e64 v2, v2, v3, s[72:73]
	v_cmp_lt_i32_e32 vcc, v89, v15
	s_or_b64 s[4:5], s[18:19], s[4:5]
	v_and_or_b32 v4, v1, s90, v4
	v_perm_b32 v3, v2, v2, s0
	s_and_b64 vcc, vcc, s[4:5]
	v_cndmask_b32_e64 v62, v62, v63, s[76:77]
	v_cndmask_b32_e64 v1, v1, v4, s[72:73]
	;; [unrolled: 1-line block ×3, first 2 shown]
	v_cndmask_b32_e32 v3, v92, v89, vcc
	v_cndmask_b32_e64 v90, v91, v90, s[86:87]
	v_cndmask_b32_e64 v78, v78, v80, s[84:85]
	;; [unrolled: 1-line block ×9, first 2 shown]
	s_barrier
	ds_write_b64 v5, v[1:2]
	s_waitcnt lgkmcnt(0)
	s_barrier
	ds_read_u8 v1, v62
	ds_read_u8 v58, v3
	;; [unrolled: 1-line block ×8, first 2 shown]
	v_cndmask_b32_e64 v64, v64, v65, s[76:77]
	v_lshlrev_b16_e32 v62, 8, v66
	v_cndmask_b32_e32 v63, v79, v81, vcc
	v_or_b32_sdwa v62, v64, v62 dst_sel:DWORD dst_unused:UNUSED_PAD src0_sel:BYTE_0 src1_sel:DWORD
	v_lshlrev_b16_e32 v64, 8, v74
	v_or_b32_sdwa v64, v70, v64 dst_sel:WORD_1 dst_unused:UNUSED_PAD src0_sel:BYTE_0 src1_sel:DWORD
	v_lshlrev_b16_e32 v63, 8, v63
	v_or_b32_sdwa v62, v62, v64 dst_sel:DWORD dst_unused:UNUSED_PAD src0_sel:WORD_0 src1_sel:DWORD
	v_or_b32_sdwa v64, v78, v84 dst_sel:DWORD dst_unused:UNUSED_PAD src0_sel:BYTE_0 src1_sel:DWORD
	v_or_b32_sdwa v63, v88, v63 dst_sel:WORD_1 dst_unused:UNUSED_PAD src0_sel:BYTE_0 src1_sel:DWORD
	v_or_b32_sdwa v63, v64, v63 dst_sel:DWORD dst_unused:UNUSED_PAD src0_sel:WORD_0 src1_sel:DWORD
	s_waitcnt lgkmcnt(0)
	s_barrier
	ds_write_b64 v5, v[62:63]
	v_mov_b32_e32 v63, v33
	s_waitcnt lgkmcnt(0)
	s_barrier
	s_mov_b64 s[18:19], exec
	v_readlane_b32 s4, v94, 7
	v_readlane_b32 s5, v94, 8
	s_and_b64 s[4:5], s[18:19], s[4:5]
	s_mov_b64 exec, s[4:5]
	s_cbranch_execz .LBB119_38
; %bb.35:                               ;   in Loop: Header=BB119_2 Depth=1
	s_mov_b64 s[20:21], 0
	v_mov_b32_e32 v63, v33
	v_mov_b32_e32 v62, v34
.LBB119_36:                             ;   Parent Loop BB119_2 Depth=1
                                        ; =>  This Inner Loop Header: Depth=2
	v_sub_u32_e32 v64, v62, v63
	v_lshrrev_b32_e32 v64, 1, v64
	v_add_u32_e32 v64, v64, v63
	v_add_u32_e32 v65, v7, v64
	v_xad_u32 v66, v64, -1, v35
	ds_read_u8 v65, v65
	ds_read_u8 v66, v66
	v_add_u32_e32 v67, 1, v64
	s_waitcnt lgkmcnt(0)
	v_cmp_lt_u16_e32 vcc, v66, v65
	v_cndmask_b32_e32 v62, v62, v64, vcc
	v_cndmask_b32_e32 v63, v67, v63, vcc
	v_cmp_ge_i32_e32 vcc, v63, v62
	s_or_b64 s[20:21], vcc, s[20:21]
	s_andn2_b64 exec, exec, s[20:21]
	s_cbranch_execnz .LBB119_36
; %bb.37:                               ;   in Loop: Header=BB119_2 Depth=1
	s_or_b64 exec, exec, s[20:21]
.LBB119_38:                             ;   in Loop: Header=BB119_2 Depth=1
	s_or_b64 exec, exec, s[18:19]
	v_add_u32_e32 v62, v63, v7
	v_sub_u32_e32 v63, v35, v63
	ds_read_u8 v64, v62
	ds_read_u8 v65, v63
	v_cmp_le_i32_e64 s[18:19], v16, v62
	v_cmp_gt_i32_e32 vcc, v17, v63
                                        ; implicit-def: $vgpr66
	s_waitcnt lgkmcnt(0)
	v_cmp_lt_u16_sdwa s[4:5], v65, v64 src0_sel:BYTE_0 src1_sel:BYTE_0
	s_or_b64 s[4:5], s[18:19], s[4:5]
	s_and_b64 s[18:19], vcc, s[4:5]
	s_xor_b64 s[4:5], s[18:19], -1
	s_and_saveexec_b64 s[20:21], s[4:5]
	s_xor_b64 s[20:21], exec, s[20:21]
; %bb.39:                               ;   in Loop: Header=BB119_2 Depth=1
	ds_read_u8 v66, v62 offset:1
; %bb.40:                               ;   in Loop: Header=BB119_2 Depth=1
	s_or_saveexec_b64 s[20:21], s[20:21]
	v_mov_b32_e32 v67, v65
	s_xor_b64 exec, exec, s[20:21]
	s_cbranch_execz .LBB119_42
; %bb.41:                               ;   in Loop: Header=BB119_2 Depth=1
	ds_read_u8 v67, v63 offset:1
	s_waitcnt lgkmcnt(1)
	v_mov_b32_e32 v66, v64
.LBB119_42:                             ;   in Loop: Header=BB119_2 Depth=1
	s_or_b64 exec, exec, s[20:21]
	v_add_u32_e32 v69, 1, v62
	v_add_u32_e32 v68, 1, v63
	v_cndmask_b32_e64 v69, v69, v62, s[18:19]
	v_cndmask_b32_e64 v68, v63, v68, s[18:19]
	v_cmp_ge_i32_e64 s[20:21], v69, v16
	s_waitcnt lgkmcnt(0)
	v_cmp_lt_u16_sdwa s[4:5], v67, v66 src0_sel:BYTE_0 src1_sel:BYTE_0
	v_cmp_lt_i32_e32 vcc, v68, v17
	s_or_b64 s[4:5], s[20:21], s[4:5]
	s_and_b64 s[20:21], vcc, s[4:5]
	s_xor_b64 s[4:5], s[20:21], -1
                                        ; implicit-def: $vgpr70
	s_and_saveexec_b64 s[22:23], s[4:5]
	s_xor_b64 s[22:23], exec, s[22:23]
; %bb.43:                               ;   in Loop: Header=BB119_2 Depth=1
	ds_read_u8 v70, v69 offset:1
; %bb.44:                               ;   in Loop: Header=BB119_2 Depth=1
	s_or_saveexec_b64 s[22:23], s[22:23]
	v_mov_b32_e32 v71, v67
	s_xor_b64 exec, exec, s[22:23]
	s_cbranch_execz .LBB119_46
; %bb.45:                               ;   in Loop: Header=BB119_2 Depth=1
	ds_read_u8 v71, v68 offset:1
	s_waitcnt lgkmcnt(1)
	v_mov_b32_e32 v70, v66
.LBB119_46:                             ;   in Loop: Header=BB119_2 Depth=1
	s_or_b64 exec, exec, s[22:23]
	v_add_u32_e32 v73, 1, v69
	v_add_u32_e32 v72, 1, v68
	v_cndmask_b32_e64 v73, v73, v69, s[20:21]
	v_cndmask_b32_e64 v72, v68, v72, s[20:21]
	v_cmp_ge_i32_e64 s[22:23], v73, v16
	s_waitcnt lgkmcnt(0)
	v_cmp_lt_u16_sdwa s[4:5], v71, v70 src0_sel:BYTE_0 src1_sel:BYTE_0
	v_cmp_lt_i32_e32 vcc, v72, v17
	s_or_b64 s[4:5], s[22:23], s[4:5]
	s_and_b64 s[22:23], vcc, s[4:5]
	s_xor_b64 s[4:5], s[22:23], -1
                                        ; implicit-def: $vgpr74
	s_and_saveexec_b64 s[24:25], s[4:5]
	s_xor_b64 s[24:25], exec, s[24:25]
; %bb.47:                               ;   in Loop: Header=BB119_2 Depth=1
	ds_read_u8 v74, v73 offset:1
; %bb.48:                               ;   in Loop: Header=BB119_2 Depth=1
	s_or_saveexec_b64 s[24:25], s[24:25]
	v_mov_b32_e32 v75, v71
	s_xor_b64 exec, exec, s[24:25]
	s_cbranch_execz .LBB119_50
; %bb.49:                               ;   in Loop: Header=BB119_2 Depth=1
	ds_read_u8 v75, v72 offset:1
	s_waitcnt lgkmcnt(1)
	v_mov_b32_e32 v74, v70
.LBB119_50:                             ;   in Loop: Header=BB119_2 Depth=1
	s_or_b64 exec, exec, s[24:25]
	v_add_u32_e32 v77, 1, v73
	v_add_u32_e32 v76, 1, v72
	v_cndmask_b32_e64 v77, v77, v73, s[22:23]
	v_cndmask_b32_e64 v76, v72, v76, s[22:23]
	v_cmp_ge_i32_e64 s[24:25], v77, v16
	s_waitcnt lgkmcnt(0)
	v_cmp_lt_u16_sdwa s[4:5], v75, v74 src0_sel:BYTE_0 src1_sel:BYTE_0
	v_cmp_lt_i32_e32 vcc, v76, v17
	s_or_b64 s[4:5], s[24:25], s[4:5]
	s_and_b64 s[24:25], vcc, s[4:5]
	s_xor_b64 s[4:5], s[24:25], -1
                                        ; implicit-def: $vgpr78
	s_and_saveexec_b64 s[26:27], s[4:5]
	s_xor_b64 s[26:27], exec, s[26:27]
; %bb.51:                               ;   in Loop: Header=BB119_2 Depth=1
	ds_read_u8 v78, v77 offset:1
; %bb.52:                               ;   in Loop: Header=BB119_2 Depth=1
	s_or_saveexec_b64 s[26:27], s[26:27]
	v_mov_b32_e32 v79, v75
	s_xor_b64 exec, exec, s[26:27]
	s_cbranch_execz .LBB119_54
; %bb.53:                               ;   in Loop: Header=BB119_2 Depth=1
	ds_read_u8 v79, v76 offset:1
	s_waitcnt lgkmcnt(1)
	v_mov_b32_e32 v78, v74
.LBB119_54:                             ;   in Loop: Header=BB119_2 Depth=1
	s_or_b64 exec, exec, s[26:27]
	v_add_u32_e32 v81, 1, v77
	v_add_u32_e32 v80, 1, v76
	v_cndmask_b32_e64 v81, v81, v77, s[24:25]
	v_cndmask_b32_e64 v80, v76, v80, s[24:25]
	v_cmp_ge_i32_e64 s[26:27], v81, v16
	s_waitcnt lgkmcnt(0)
	v_cmp_lt_u16_sdwa s[4:5], v79, v78 src0_sel:BYTE_0 src1_sel:BYTE_0
	v_cmp_lt_i32_e32 vcc, v80, v17
	s_or_b64 s[4:5], s[26:27], s[4:5]
	s_and_b64 s[26:27], vcc, s[4:5]
	s_xor_b64 s[4:5], s[26:27], -1
                                        ; implicit-def: $vgpr82
	s_and_saveexec_b64 s[28:29], s[4:5]
	s_xor_b64 s[28:29], exec, s[28:29]
; %bb.55:                               ;   in Loop: Header=BB119_2 Depth=1
	ds_read_u8 v82, v81 offset:1
; %bb.56:                               ;   in Loop: Header=BB119_2 Depth=1
	s_or_saveexec_b64 s[28:29], s[28:29]
	v_mov_b32_e32 v83, v79
	s_xor_b64 exec, exec, s[28:29]
	s_cbranch_execz .LBB119_58
; %bb.57:                               ;   in Loop: Header=BB119_2 Depth=1
	ds_read_u8 v83, v80 offset:1
	s_waitcnt lgkmcnt(1)
	v_mov_b32_e32 v82, v78
.LBB119_58:                             ;   in Loop: Header=BB119_2 Depth=1
	s_or_b64 exec, exec, s[28:29]
	v_add_u32_e32 v85, 1, v81
	v_add_u32_e32 v84, 1, v80
	v_cndmask_b32_e64 v85, v85, v81, s[26:27]
	v_cndmask_b32_e64 v84, v80, v84, s[26:27]
	v_cmp_ge_i32_e64 s[28:29], v85, v16
	s_waitcnt lgkmcnt(0)
	v_cmp_lt_u16_sdwa s[4:5], v83, v82 src0_sel:BYTE_0 src1_sel:BYTE_0
	v_cmp_lt_i32_e32 vcc, v84, v17
	s_or_b64 s[4:5], s[28:29], s[4:5]
	s_and_b64 vcc, vcc, s[4:5]
	s_xor_b64 s[4:5], vcc, -1
                                        ; implicit-def: $vgpr86
	s_and_saveexec_b64 s[28:29], s[4:5]
	s_xor_b64 s[28:29], exec, s[28:29]
; %bb.59:                               ;   in Loop: Header=BB119_2 Depth=1
	ds_read_u8 v86, v85 offset:1
; %bb.60:                               ;   in Loop: Header=BB119_2 Depth=1
	s_or_saveexec_b64 s[28:29], s[28:29]
	v_mov_b32_e32 v87, v83
	s_xor_b64 exec, exec, s[28:29]
	s_cbranch_execz .LBB119_62
; %bb.61:                               ;   in Loop: Header=BB119_2 Depth=1
	ds_read_u8 v87, v84 offset:1
	s_waitcnt lgkmcnt(1)
	v_mov_b32_e32 v86, v82
.LBB119_62:                             ;   in Loop: Header=BB119_2 Depth=1
	s_or_b64 exec, exec, s[28:29]
	v_add_u32_e32 v90, 1, v85
	v_add_u32_e32 v88, 1, v84
	v_cndmask_b32_e32 v90, v90, v85, vcc
	v_cndmask_b32_e32 v89, v84, v88, vcc
	v_cmp_ge_i32_e64 s[30:31], v90, v16
	s_waitcnt lgkmcnt(0)
	v_cmp_lt_u16_sdwa s[4:5], v87, v86 src0_sel:BYTE_0 src1_sel:BYTE_0
	v_cmp_lt_i32_e64 s[28:29], v89, v17
	s_or_b64 s[4:5], s[30:31], s[4:5]
	s_and_b64 s[28:29], s[28:29], s[4:5]
	s_xor_b64 s[4:5], s[28:29], -1
                                        ; implicit-def: $vgpr88
	s_and_saveexec_b64 s[30:31], s[4:5]
	s_xor_b64 s[30:31], exec, s[30:31]
; %bb.63:                               ;   in Loop: Header=BB119_2 Depth=1
	ds_read_u8 v88, v90 offset:1
; %bb.64:                               ;   in Loop: Header=BB119_2 Depth=1
	s_or_saveexec_b64 s[30:31], s[30:31]
	v_mov_b32_e32 v91, v87
	s_xor_b64 exec, exec, s[30:31]
	s_cbranch_execz .LBB119_66
; %bb.65:                               ;   in Loop: Header=BB119_2 Depth=1
	ds_read_u8 v91, v89 offset:1
	s_waitcnt lgkmcnt(1)
	v_mov_b32_e32 v88, v86
.LBB119_66:                             ;   in Loop: Header=BB119_2 Depth=1
	s_or_b64 exec, exec, s[30:31]
	v_add_u32_e32 v92, 1, v90
	v_cndmask_b32_e64 v86, v86, v87, s[28:29]
	v_add_u32_e32 v87, 1, v89
	v_cndmask_b32_e64 v92, v92, v90, s[28:29]
	v_cndmask_b32_e64 v87, v89, v87, s[28:29]
	v_cndmask_b32_e64 v64, v64, v65, s[18:19]
	v_cndmask_b32_e64 v62, v62, v63, s[18:19]
	v_cmp_ge_i32_e64 s[18:19], v92, v16
	s_waitcnt lgkmcnt(0)
	v_cmp_lt_u16_sdwa s[4:5], v91, v88 src0_sel:BYTE_0 src1_sel:BYTE_0
	v_cndmask_b32_sdwa v82, v82, v83, vcc dst_sel:BYTE_1 dst_unused:UNUSED_PAD src0_sel:DWORD src1_sel:DWORD
	v_cndmask_b32_e32 v83, v85, v84, vcc
	v_cmp_lt_i32_e32 vcc, v87, v17
	s_or_b64 s[4:5], s[18:19], s[4:5]
	v_perm_b32 v59, v59, v60, s92
	v_perm_b32 v58, v61, v58, s92
	;; [unrolled: 1-line block ×4, first 2 shown]
	s_and_b64 vcc, vcc, s[4:5]
	v_lshl_or_b32 v59, v58, 16, v59
	v_lshl_or_b32 v58, v2, 16, v1
	v_cndmask_b32_e64 v89, v90, v89, s[28:29]
	v_cndmask_b32_e64 v78, v78, v79, s[26:27]
	;; [unrolled: 1-line block ×9, first 2 shown]
	v_cndmask_b32_e32 v65, v92, v87, vcc
	s_barrier
	ds_write_b64 v5, v[58:59]
	s_waitcnt lgkmcnt(0)
	s_barrier
	ds_read_u8 v1, v62
	ds_read_u8 v58, v65
	;; [unrolled: 1-line block ×8, first 2 shown]
	v_lshlrev_b16_e32 v62, 8, v66
	v_cndmask_b32_e32 v63, v88, v91, vcc
	v_or_b32_sdwa v62, v64, v62 dst_sel:DWORD dst_unused:UNUSED_PAD src0_sel:BYTE_0 src1_sel:DWORD
	v_lshlrev_b16_e32 v64, 8, v74
	v_or_b32_sdwa v64, v70, v64 dst_sel:WORD_1 dst_unused:UNUSED_PAD src0_sel:BYTE_0 src1_sel:DWORD
	v_lshlrev_b16_e32 v63, 8, v63
	v_or_b32_sdwa v62, v62, v64 dst_sel:DWORD dst_unused:UNUSED_PAD src0_sel:WORD_0 src1_sel:DWORD
	v_or_b32_sdwa v64, v78, v82 dst_sel:DWORD dst_unused:UNUSED_PAD src0_sel:BYTE_0 src1_sel:DWORD
	v_or_b32_sdwa v63, v86, v63 dst_sel:WORD_1 dst_unused:UNUSED_PAD src0_sel:BYTE_0 src1_sel:DWORD
	v_or_b32_sdwa v63, v64, v63 dst_sel:DWORD dst_unused:UNUSED_PAD src0_sel:WORD_0 src1_sel:DWORD
	s_waitcnt lgkmcnt(0)
	s_barrier
	ds_write_b64 v5, v[62:63]
	v_mov_b32_e32 v63, v36
	s_waitcnt lgkmcnt(0)
	s_barrier
	s_mov_b64 s[18:19], exec
	v_readlane_b32 s4, v94, 9
	v_readlane_b32 s5, v94, 10
	s_and_b64 s[4:5], s[18:19], s[4:5]
	s_mov_b64 exec, s[4:5]
	s_cbranch_execz .LBB119_70
; %bb.67:                               ;   in Loop: Header=BB119_2 Depth=1
	s_mov_b64 s[20:21], 0
	v_mov_b32_e32 v63, v36
	v_mov_b32_e32 v62, v37
.LBB119_68:                             ;   Parent Loop BB119_2 Depth=1
                                        ; =>  This Inner Loop Header: Depth=2
	v_sub_u32_e32 v64, v62, v63
	v_lshrrev_b32_e32 v64, 1, v64
	v_add_u32_e32 v64, v64, v63
	v_add_u32_e32 v65, v8, v64
	v_xad_u32 v66, v64, -1, v38
	ds_read_u8 v65, v65
	ds_read_u8 v66, v66
	v_add_u32_e32 v67, 1, v64
	s_waitcnt lgkmcnt(0)
	v_cmp_lt_u16_e32 vcc, v66, v65
	v_cndmask_b32_e32 v62, v62, v64, vcc
	v_cndmask_b32_e32 v63, v67, v63, vcc
	v_cmp_ge_i32_e32 vcc, v63, v62
	s_or_b64 s[20:21], vcc, s[20:21]
	s_andn2_b64 exec, exec, s[20:21]
	s_cbranch_execnz .LBB119_68
; %bb.69:                               ;   in Loop: Header=BB119_2 Depth=1
	s_or_b64 exec, exec, s[20:21]
.LBB119_70:                             ;   in Loop: Header=BB119_2 Depth=1
	s_or_b64 exec, exec, s[18:19]
	v_add_u32_e32 v62, v63, v8
	v_sub_u32_e32 v63, v38, v63
	ds_read_u8 v64, v62
	ds_read_u8 v65, v63
	v_cmp_le_i32_e64 s[18:19], v18, v62
	v_cmp_gt_i32_e32 vcc, v19, v63
                                        ; implicit-def: $vgpr66
	s_waitcnt lgkmcnt(0)
	v_cmp_lt_u16_sdwa s[4:5], v65, v64 src0_sel:BYTE_0 src1_sel:BYTE_0
	s_or_b64 s[4:5], s[18:19], s[4:5]
	s_and_b64 s[18:19], vcc, s[4:5]
	s_xor_b64 s[4:5], s[18:19], -1
	s_and_saveexec_b64 s[20:21], s[4:5]
	s_xor_b64 s[20:21], exec, s[20:21]
; %bb.71:                               ;   in Loop: Header=BB119_2 Depth=1
	ds_read_u8 v66, v62 offset:1
; %bb.72:                               ;   in Loop: Header=BB119_2 Depth=1
	s_or_saveexec_b64 s[20:21], s[20:21]
	v_mov_b32_e32 v67, v65
	s_xor_b64 exec, exec, s[20:21]
	s_cbranch_execz .LBB119_74
; %bb.73:                               ;   in Loop: Header=BB119_2 Depth=1
	ds_read_u8 v67, v63 offset:1
	s_waitcnt lgkmcnt(1)
	v_mov_b32_e32 v66, v64
.LBB119_74:                             ;   in Loop: Header=BB119_2 Depth=1
	s_or_b64 exec, exec, s[20:21]
	v_add_u32_e32 v69, 1, v62
	v_add_u32_e32 v68, 1, v63
	v_cndmask_b32_e64 v69, v69, v62, s[18:19]
	v_cndmask_b32_e64 v68, v63, v68, s[18:19]
	v_cmp_ge_i32_e64 s[20:21], v69, v18
	s_waitcnt lgkmcnt(0)
	v_cmp_lt_u16_sdwa s[4:5], v67, v66 src0_sel:BYTE_0 src1_sel:BYTE_0
	v_cmp_lt_i32_e32 vcc, v68, v19
	s_or_b64 s[4:5], s[20:21], s[4:5]
	s_and_b64 s[20:21], vcc, s[4:5]
	s_xor_b64 s[4:5], s[20:21], -1
                                        ; implicit-def: $vgpr70
	s_and_saveexec_b64 s[22:23], s[4:5]
	s_xor_b64 s[22:23], exec, s[22:23]
; %bb.75:                               ;   in Loop: Header=BB119_2 Depth=1
	ds_read_u8 v70, v69 offset:1
; %bb.76:                               ;   in Loop: Header=BB119_2 Depth=1
	s_or_saveexec_b64 s[22:23], s[22:23]
	v_mov_b32_e32 v71, v67
	s_xor_b64 exec, exec, s[22:23]
	s_cbranch_execz .LBB119_78
; %bb.77:                               ;   in Loop: Header=BB119_2 Depth=1
	ds_read_u8 v71, v68 offset:1
	s_waitcnt lgkmcnt(1)
	v_mov_b32_e32 v70, v66
.LBB119_78:                             ;   in Loop: Header=BB119_2 Depth=1
	s_or_b64 exec, exec, s[22:23]
	v_add_u32_e32 v73, 1, v69
	v_add_u32_e32 v72, 1, v68
	v_cndmask_b32_e64 v73, v73, v69, s[20:21]
	v_cndmask_b32_e64 v72, v68, v72, s[20:21]
	v_cmp_ge_i32_e64 s[22:23], v73, v18
	s_waitcnt lgkmcnt(0)
	v_cmp_lt_u16_sdwa s[4:5], v71, v70 src0_sel:BYTE_0 src1_sel:BYTE_0
	v_cmp_lt_i32_e32 vcc, v72, v19
	s_or_b64 s[4:5], s[22:23], s[4:5]
	s_and_b64 s[22:23], vcc, s[4:5]
	s_xor_b64 s[4:5], s[22:23], -1
                                        ; implicit-def: $vgpr74
	s_and_saveexec_b64 s[24:25], s[4:5]
	s_xor_b64 s[24:25], exec, s[24:25]
; %bb.79:                               ;   in Loop: Header=BB119_2 Depth=1
	ds_read_u8 v74, v73 offset:1
; %bb.80:                               ;   in Loop: Header=BB119_2 Depth=1
	s_or_saveexec_b64 s[24:25], s[24:25]
	v_mov_b32_e32 v75, v71
	s_xor_b64 exec, exec, s[24:25]
	s_cbranch_execz .LBB119_82
; %bb.81:                               ;   in Loop: Header=BB119_2 Depth=1
	ds_read_u8 v75, v72 offset:1
	s_waitcnt lgkmcnt(1)
	v_mov_b32_e32 v74, v70
.LBB119_82:                             ;   in Loop: Header=BB119_2 Depth=1
	s_or_b64 exec, exec, s[24:25]
	v_add_u32_e32 v77, 1, v73
	v_add_u32_e32 v76, 1, v72
	v_cndmask_b32_e64 v77, v77, v73, s[22:23]
	v_cndmask_b32_e64 v76, v72, v76, s[22:23]
	v_cmp_ge_i32_e64 s[24:25], v77, v18
	s_waitcnt lgkmcnt(0)
	v_cmp_lt_u16_sdwa s[4:5], v75, v74 src0_sel:BYTE_0 src1_sel:BYTE_0
	v_cmp_lt_i32_e32 vcc, v76, v19
	s_or_b64 s[4:5], s[24:25], s[4:5]
	s_and_b64 s[24:25], vcc, s[4:5]
	s_xor_b64 s[4:5], s[24:25], -1
                                        ; implicit-def: $vgpr78
	s_and_saveexec_b64 s[26:27], s[4:5]
	s_xor_b64 s[26:27], exec, s[26:27]
; %bb.83:                               ;   in Loop: Header=BB119_2 Depth=1
	ds_read_u8 v78, v77 offset:1
; %bb.84:                               ;   in Loop: Header=BB119_2 Depth=1
	s_or_saveexec_b64 s[26:27], s[26:27]
	v_mov_b32_e32 v79, v75
	s_xor_b64 exec, exec, s[26:27]
	s_cbranch_execz .LBB119_86
; %bb.85:                               ;   in Loop: Header=BB119_2 Depth=1
	ds_read_u8 v79, v76 offset:1
	s_waitcnt lgkmcnt(1)
	v_mov_b32_e32 v78, v74
.LBB119_86:                             ;   in Loop: Header=BB119_2 Depth=1
	s_or_b64 exec, exec, s[26:27]
	v_add_u32_e32 v81, 1, v77
	v_add_u32_e32 v80, 1, v76
	v_cndmask_b32_e64 v81, v81, v77, s[24:25]
	v_cndmask_b32_e64 v80, v76, v80, s[24:25]
	v_cmp_ge_i32_e64 s[26:27], v81, v18
	s_waitcnt lgkmcnt(0)
	v_cmp_lt_u16_sdwa s[4:5], v79, v78 src0_sel:BYTE_0 src1_sel:BYTE_0
	v_cmp_lt_i32_e32 vcc, v80, v19
	s_or_b64 s[4:5], s[26:27], s[4:5]
	s_and_b64 s[26:27], vcc, s[4:5]
	s_xor_b64 s[4:5], s[26:27], -1
                                        ; implicit-def: $vgpr82
	s_and_saveexec_b64 s[28:29], s[4:5]
	s_xor_b64 s[28:29], exec, s[28:29]
; %bb.87:                               ;   in Loop: Header=BB119_2 Depth=1
	ds_read_u8 v82, v81 offset:1
; %bb.88:                               ;   in Loop: Header=BB119_2 Depth=1
	s_or_saveexec_b64 s[28:29], s[28:29]
	v_mov_b32_e32 v83, v79
	s_xor_b64 exec, exec, s[28:29]
	s_cbranch_execz .LBB119_90
; %bb.89:                               ;   in Loop: Header=BB119_2 Depth=1
	ds_read_u8 v83, v80 offset:1
	s_waitcnt lgkmcnt(1)
	v_mov_b32_e32 v82, v78
.LBB119_90:                             ;   in Loop: Header=BB119_2 Depth=1
	s_or_b64 exec, exec, s[28:29]
	v_add_u32_e32 v85, 1, v81
	v_add_u32_e32 v84, 1, v80
	v_cndmask_b32_e64 v85, v85, v81, s[26:27]
	v_cndmask_b32_e64 v84, v80, v84, s[26:27]
	v_cmp_ge_i32_e64 s[28:29], v85, v18
	s_waitcnt lgkmcnt(0)
	v_cmp_lt_u16_sdwa s[4:5], v83, v82 src0_sel:BYTE_0 src1_sel:BYTE_0
	v_cmp_lt_i32_e32 vcc, v84, v19
	s_or_b64 s[4:5], s[28:29], s[4:5]
	s_and_b64 vcc, vcc, s[4:5]
	s_xor_b64 s[4:5], vcc, -1
                                        ; implicit-def: $vgpr86
	s_and_saveexec_b64 s[28:29], s[4:5]
	s_xor_b64 s[28:29], exec, s[28:29]
; %bb.91:                               ;   in Loop: Header=BB119_2 Depth=1
	ds_read_u8 v86, v85 offset:1
; %bb.92:                               ;   in Loop: Header=BB119_2 Depth=1
	s_or_saveexec_b64 s[28:29], s[28:29]
	v_mov_b32_e32 v87, v83
	s_xor_b64 exec, exec, s[28:29]
	s_cbranch_execz .LBB119_94
; %bb.93:                               ;   in Loop: Header=BB119_2 Depth=1
	ds_read_u8 v87, v84 offset:1
	s_waitcnt lgkmcnt(1)
	v_mov_b32_e32 v86, v82
.LBB119_94:                             ;   in Loop: Header=BB119_2 Depth=1
	s_or_b64 exec, exec, s[28:29]
	v_add_u32_e32 v90, 1, v85
	v_add_u32_e32 v88, 1, v84
	v_cndmask_b32_e32 v90, v90, v85, vcc
	v_cndmask_b32_e32 v89, v84, v88, vcc
	v_cmp_ge_i32_e64 s[30:31], v90, v18
	s_waitcnt lgkmcnt(0)
	v_cmp_lt_u16_sdwa s[4:5], v87, v86 src0_sel:BYTE_0 src1_sel:BYTE_0
	v_cmp_lt_i32_e64 s[28:29], v89, v19
	s_or_b64 s[4:5], s[30:31], s[4:5]
	s_and_b64 s[28:29], s[28:29], s[4:5]
	s_xor_b64 s[4:5], s[28:29], -1
                                        ; implicit-def: $vgpr88
	s_and_saveexec_b64 s[30:31], s[4:5]
	s_xor_b64 s[30:31], exec, s[30:31]
; %bb.95:                               ;   in Loop: Header=BB119_2 Depth=1
	ds_read_u8 v88, v90 offset:1
; %bb.96:                               ;   in Loop: Header=BB119_2 Depth=1
	s_or_saveexec_b64 s[30:31], s[30:31]
	v_mov_b32_e32 v91, v87
	s_xor_b64 exec, exec, s[30:31]
	s_cbranch_execz .LBB119_98
; %bb.97:                               ;   in Loop: Header=BB119_2 Depth=1
	ds_read_u8 v91, v89 offset:1
	s_waitcnt lgkmcnt(1)
	v_mov_b32_e32 v88, v86
.LBB119_98:                             ;   in Loop: Header=BB119_2 Depth=1
	s_or_b64 exec, exec, s[30:31]
	v_add_u32_e32 v92, 1, v90
	v_cndmask_b32_e64 v86, v86, v87, s[28:29]
	v_add_u32_e32 v87, 1, v89
	v_cndmask_b32_e64 v92, v92, v90, s[28:29]
	v_cndmask_b32_e64 v87, v89, v87, s[28:29]
	;; [unrolled: 1-line block ×4, first 2 shown]
	v_cmp_ge_i32_e64 s[18:19], v92, v18
	s_waitcnt lgkmcnt(0)
	v_cmp_lt_u16_sdwa s[4:5], v91, v88 src0_sel:BYTE_0 src1_sel:BYTE_0
	v_cndmask_b32_sdwa v82, v82, v83, vcc dst_sel:BYTE_1 dst_unused:UNUSED_PAD src0_sel:DWORD src1_sel:DWORD
	v_cndmask_b32_e32 v83, v85, v84, vcc
	v_cmp_lt_i32_e32 vcc, v87, v19
	s_or_b64 s[4:5], s[18:19], s[4:5]
	v_perm_b32 v59, v59, v60, s92
	v_perm_b32 v58, v61, v58, s92
	;; [unrolled: 1-line block ×4, first 2 shown]
	s_and_b64 vcc, vcc, s[4:5]
	v_lshl_or_b32 v59, v58, 16, v59
	v_lshl_or_b32 v58, v2, 16, v1
	v_cndmask_b32_e64 v89, v90, v89, s[28:29]
	v_cndmask_b32_e64 v78, v78, v79, s[26:27]
	;; [unrolled: 1-line block ×9, first 2 shown]
	v_cndmask_b32_e32 v65, v92, v87, vcc
	s_barrier
	ds_write_b64 v5, v[58:59]
	s_waitcnt lgkmcnt(0)
	s_barrier
	ds_read_u8 v1, v62
	ds_read_u8 v58, v65
	;; [unrolled: 1-line block ×8, first 2 shown]
	v_lshlrev_b16_e32 v62, 8, v66
	v_cndmask_b32_e32 v63, v88, v91, vcc
	v_or_b32_sdwa v62, v64, v62 dst_sel:DWORD dst_unused:UNUSED_PAD src0_sel:BYTE_0 src1_sel:DWORD
	v_lshlrev_b16_e32 v64, 8, v74
	v_or_b32_sdwa v64, v70, v64 dst_sel:WORD_1 dst_unused:UNUSED_PAD src0_sel:BYTE_0 src1_sel:DWORD
	v_lshlrev_b16_e32 v63, 8, v63
	v_or_b32_sdwa v62, v62, v64 dst_sel:DWORD dst_unused:UNUSED_PAD src0_sel:WORD_0 src1_sel:DWORD
	v_or_b32_sdwa v64, v78, v82 dst_sel:DWORD dst_unused:UNUSED_PAD src0_sel:BYTE_0 src1_sel:DWORD
	v_or_b32_sdwa v63, v86, v63 dst_sel:WORD_1 dst_unused:UNUSED_PAD src0_sel:BYTE_0 src1_sel:DWORD
	v_or_b32_sdwa v63, v64, v63 dst_sel:DWORD dst_unused:UNUSED_PAD src0_sel:WORD_0 src1_sel:DWORD
	s_waitcnt lgkmcnt(0)
	s_barrier
	ds_write_b64 v5, v[62:63]
	v_mov_b32_e32 v63, v39
	s_waitcnt lgkmcnt(0)
	s_barrier
	s_and_saveexec_b64 s[18:19], s[6:7]
	s_cbranch_execz .LBB119_102
; %bb.99:                               ;   in Loop: Header=BB119_2 Depth=1
	s_mov_b64 s[20:21], 0
	v_mov_b32_e32 v63, v39
	v_mov_b32_e32 v62, v40
.LBB119_100:                            ;   Parent Loop BB119_2 Depth=1
                                        ; =>  This Inner Loop Header: Depth=2
	v_sub_u32_e32 v64, v62, v63
	v_lshrrev_b32_e32 v64, 1, v64
	v_add_u32_e32 v64, v64, v63
	v_add_u32_e32 v65, v9, v64
	v_xad_u32 v66, v64, -1, v41
	ds_read_u8 v65, v65
	ds_read_u8 v66, v66
	v_add_u32_e32 v67, 1, v64
	s_waitcnt lgkmcnt(0)
	v_cmp_lt_u16_e32 vcc, v66, v65
	v_cndmask_b32_e32 v62, v62, v64, vcc
	v_cndmask_b32_e32 v63, v67, v63, vcc
	v_cmp_ge_i32_e32 vcc, v63, v62
	s_or_b64 s[20:21], vcc, s[20:21]
	s_andn2_b64 exec, exec, s[20:21]
	s_cbranch_execnz .LBB119_100
; %bb.101:                              ;   in Loop: Header=BB119_2 Depth=1
	s_or_b64 exec, exec, s[20:21]
.LBB119_102:                            ;   in Loop: Header=BB119_2 Depth=1
	s_or_b64 exec, exec, s[18:19]
	v_add_u32_e32 v62, v63, v9
	v_sub_u32_e32 v63, v41, v63
	ds_read_u8 v64, v62
	ds_read_u8 v65, v63
	v_cmp_le_i32_e64 s[18:19], v20, v62
	v_cmp_gt_i32_e32 vcc, v21, v63
                                        ; implicit-def: $vgpr66
	s_waitcnt lgkmcnt(0)
	v_cmp_lt_u16_sdwa s[4:5], v65, v64 src0_sel:BYTE_0 src1_sel:BYTE_0
	s_or_b64 s[4:5], s[18:19], s[4:5]
	s_and_b64 s[18:19], vcc, s[4:5]
	s_xor_b64 s[4:5], s[18:19], -1
	s_and_saveexec_b64 s[20:21], s[4:5]
	s_xor_b64 s[20:21], exec, s[20:21]
; %bb.103:                              ;   in Loop: Header=BB119_2 Depth=1
	ds_read_u8 v66, v62 offset:1
; %bb.104:                              ;   in Loop: Header=BB119_2 Depth=1
	s_or_saveexec_b64 s[20:21], s[20:21]
	v_mov_b32_e32 v67, v65
	s_xor_b64 exec, exec, s[20:21]
	s_cbranch_execz .LBB119_106
; %bb.105:                              ;   in Loop: Header=BB119_2 Depth=1
	ds_read_u8 v67, v63 offset:1
	s_waitcnt lgkmcnt(1)
	v_mov_b32_e32 v66, v64
.LBB119_106:                            ;   in Loop: Header=BB119_2 Depth=1
	s_or_b64 exec, exec, s[20:21]
	v_add_u32_e32 v69, 1, v62
	v_add_u32_e32 v68, 1, v63
	v_cndmask_b32_e64 v69, v69, v62, s[18:19]
	v_cndmask_b32_e64 v68, v63, v68, s[18:19]
	v_cmp_ge_i32_e64 s[20:21], v69, v20
	s_waitcnt lgkmcnt(0)
	v_cmp_lt_u16_sdwa s[4:5], v67, v66 src0_sel:BYTE_0 src1_sel:BYTE_0
	v_cmp_lt_i32_e32 vcc, v68, v21
	s_or_b64 s[4:5], s[20:21], s[4:5]
	s_and_b64 s[20:21], vcc, s[4:5]
	s_xor_b64 s[4:5], s[20:21], -1
                                        ; implicit-def: $vgpr70
	s_and_saveexec_b64 s[22:23], s[4:5]
	s_xor_b64 s[22:23], exec, s[22:23]
; %bb.107:                              ;   in Loop: Header=BB119_2 Depth=1
	ds_read_u8 v70, v69 offset:1
; %bb.108:                              ;   in Loop: Header=BB119_2 Depth=1
	s_or_saveexec_b64 s[22:23], s[22:23]
	v_mov_b32_e32 v71, v67
	s_xor_b64 exec, exec, s[22:23]
	s_cbranch_execz .LBB119_110
; %bb.109:                              ;   in Loop: Header=BB119_2 Depth=1
	ds_read_u8 v71, v68 offset:1
	s_waitcnt lgkmcnt(1)
	v_mov_b32_e32 v70, v66
.LBB119_110:                            ;   in Loop: Header=BB119_2 Depth=1
	s_or_b64 exec, exec, s[22:23]
	v_add_u32_e32 v73, 1, v69
	v_add_u32_e32 v72, 1, v68
	v_cndmask_b32_e64 v73, v73, v69, s[20:21]
	v_cndmask_b32_e64 v72, v68, v72, s[20:21]
	v_cmp_ge_i32_e64 s[22:23], v73, v20
	s_waitcnt lgkmcnt(0)
	v_cmp_lt_u16_sdwa s[4:5], v71, v70 src0_sel:BYTE_0 src1_sel:BYTE_0
	v_cmp_lt_i32_e32 vcc, v72, v21
	s_or_b64 s[4:5], s[22:23], s[4:5]
	s_and_b64 s[22:23], vcc, s[4:5]
	s_xor_b64 s[4:5], s[22:23], -1
                                        ; implicit-def: $vgpr74
	s_and_saveexec_b64 s[24:25], s[4:5]
	s_xor_b64 s[24:25], exec, s[24:25]
; %bb.111:                              ;   in Loop: Header=BB119_2 Depth=1
	ds_read_u8 v74, v73 offset:1
; %bb.112:                              ;   in Loop: Header=BB119_2 Depth=1
	s_or_saveexec_b64 s[24:25], s[24:25]
	v_mov_b32_e32 v75, v71
	s_xor_b64 exec, exec, s[24:25]
	s_cbranch_execz .LBB119_114
; %bb.113:                              ;   in Loop: Header=BB119_2 Depth=1
	ds_read_u8 v75, v72 offset:1
	s_waitcnt lgkmcnt(1)
	v_mov_b32_e32 v74, v70
.LBB119_114:                            ;   in Loop: Header=BB119_2 Depth=1
	s_or_b64 exec, exec, s[24:25]
	v_add_u32_e32 v77, 1, v73
	v_add_u32_e32 v76, 1, v72
	v_cndmask_b32_e64 v77, v77, v73, s[22:23]
	v_cndmask_b32_e64 v76, v72, v76, s[22:23]
	v_cmp_ge_i32_e64 s[24:25], v77, v20
	s_waitcnt lgkmcnt(0)
	v_cmp_lt_u16_sdwa s[4:5], v75, v74 src0_sel:BYTE_0 src1_sel:BYTE_0
	v_cmp_lt_i32_e32 vcc, v76, v21
	s_or_b64 s[4:5], s[24:25], s[4:5]
	s_and_b64 s[24:25], vcc, s[4:5]
	s_xor_b64 s[4:5], s[24:25], -1
                                        ; implicit-def: $vgpr78
	s_and_saveexec_b64 s[26:27], s[4:5]
	s_xor_b64 s[26:27], exec, s[26:27]
; %bb.115:                              ;   in Loop: Header=BB119_2 Depth=1
	ds_read_u8 v78, v77 offset:1
; %bb.116:                              ;   in Loop: Header=BB119_2 Depth=1
	s_or_saveexec_b64 s[26:27], s[26:27]
	v_mov_b32_e32 v79, v75
	s_xor_b64 exec, exec, s[26:27]
	s_cbranch_execz .LBB119_118
; %bb.117:                              ;   in Loop: Header=BB119_2 Depth=1
	ds_read_u8 v79, v76 offset:1
	s_waitcnt lgkmcnt(1)
	v_mov_b32_e32 v78, v74
.LBB119_118:                            ;   in Loop: Header=BB119_2 Depth=1
	s_or_b64 exec, exec, s[26:27]
	v_add_u32_e32 v81, 1, v77
	v_add_u32_e32 v80, 1, v76
	v_cndmask_b32_e64 v81, v81, v77, s[24:25]
	v_cndmask_b32_e64 v80, v76, v80, s[24:25]
	v_cmp_ge_i32_e64 s[26:27], v81, v20
	s_waitcnt lgkmcnt(0)
	v_cmp_lt_u16_sdwa s[4:5], v79, v78 src0_sel:BYTE_0 src1_sel:BYTE_0
	v_cmp_lt_i32_e32 vcc, v80, v21
	s_or_b64 s[4:5], s[26:27], s[4:5]
	s_and_b64 s[26:27], vcc, s[4:5]
	s_xor_b64 s[4:5], s[26:27], -1
                                        ; implicit-def: $vgpr82
	s_and_saveexec_b64 s[28:29], s[4:5]
	s_xor_b64 s[28:29], exec, s[28:29]
; %bb.119:                              ;   in Loop: Header=BB119_2 Depth=1
	ds_read_u8 v82, v81 offset:1
; %bb.120:                              ;   in Loop: Header=BB119_2 Depth=1
	s_or_saveexec_b64 s[28:29], s[28:29]
	v_mov_b32_e32 v83, v79
	s_xor_b64 exec, exec, s[28:29]
	s_cbranch_execz .LBB119_122
; %bb.121:                              ;   in Loop: Header=BB119_2 Depth=1
	ds_read_u8 v83, v80 offset:1
	s_waitcnt lgkmcnt(1)
	v_mov_b32_e32 v82, v78
.LBB119_122:                            ;   in Loop: Header=BB119_2 Depth=1
	s_or_b64 exec, exec, s[28:29]
	v_add_u32_e32 v85, 1, v81
	v_add_u32_e32 v84, 1, v80
	v_cndmask_b32_e64 v85, v85, v81, s[26:27]
	v_cndmask_b32_e64 v84, v80, v84, s[26:27]
	v_cmp_ge_i32_e64 s[28:29], v85, v20
	s_waitcnt lgkmcnt(0)
	v_cmp_lt_u16_sdwa s[4:5], v83, v82 src0_sel:BYTE_0 src1_sel:BYTE_0
	v_cmp_lt_i32_e32 vcc, v84, v21
	s_or_b64 s[4:5], s[28:29], s[4:5]
	s_and_b64 vcc, vcc, s[4:5]
	s_xor_b64 s[4:5], vcc, -1
                                        ; implicit-def: $vgpr86
	s_and_saveexec_b64 s[28:29], s[4:5]
	s_xor_b64 s[28:29], exec, s[28:29]
; %bb.123:                              ;   in Loop: Header=BB119_2 Depth=1
	ds_read_u8 v86, v85 offset:1
; %bb.124:                              ;   in Loop: Header=BB119_2 Depth=1
	s_or_saveexec_b64 s[28:29], s[28:29]
	v_mov_b32_e32 v87, v83
	s_xor_b64 exec, exec, s[28:29]
	s_cbranch_execz .LBB119_126
; %bb.125:                              ;   in Loop: Header=BB119_2 Depth=1
	ds_read_u8 v87, v84 offset:1
	s_waitcnt lgkmcnt(1)
	v_mov_b32_e32 v86, v82
.LBB119_126:                            ;   in Loop: Header=BB119_2 Depth=1
	s_or_b64 exec, exec, s[28:29]
	v_add_u32_e32 v90, 1, v85
	v_add_u32_e32 v88, 1, v84
	v_cndmask_b32_e32 v90, v90, v85, vcc
	v_cndmask_b32_e32 v89, v84, v88, vcc
	v_cmp_ge_i32_e64 s[30:31], v90, v20
	s_waitcnt lgkmcnt(0)
	v_cmp_lt_u16_sdwa s[4:5], v87, v86 src0_sel:BYTE_0 src1_sel:BYTE_0
	v_cmp_lt_i32_e64 s[28:29], v89, v21
	s_or_b64 s[4:5], s[30:31], s[4:5]
	s_and_b64 s[28:29], s[28:29], s[4:5]
	s_xor_b64 s[4:5], s[28:29], -1
                                        ; implicit-def: $vgpr88
	s_and_saveexec_b64 s[30:31], s[4:5]
	s_xor_b64 s[30:31], exec, s[30:31]
; %bb.127:                              ;   in Loop: Header=BB119_2 Depth=1
	ds_read_u8 v88, v90 offset:1
; %bb.128:                              ;   in Loop: Header=BB119_2 Depth=1
	s_or_saveexec_b64 s[30:31], s[30:31]
	v_mov_b32_e32 v91, v87
	s_xor_b64 exec, exec, s[30:31]
	s_cbranch_execz .LBB119_130
; %bb.129:                              ;   in Loop: Header=BB119_2 Depth=1
	ds_read_u8 v91, v89 offset:1
	s_waitcnt lgkmcnt(1)
	v_mov_b32_e32 v88, v86
.LBB119_130:                            ;   in Loop: Header=BB119_2 Depth=1
	s_or_b64 exec, exec, s[30:31]
	v_add_u32_e32 v92, 1, v90
	v_cndmask_b32_e64 v86, v86, v87, s[28:29]
	v_add_u32_e32 v87, 1, v89
	v_cndmask_b32_e64 v92, v92, v90, s[28:29]
	v_cndmask_b32_e64 v87, v89, v87, s[28:29]
	v_cndmask_b32_e64 v64, v64, v65, s[18:19]
	v_cndmask_b32_e64 v62, v62, v63, s[18:19]
	v_cmp_ge_i32_e64 s[18:19], v92, v20
	s_waitcnt lgkmcnt(0)
	v_cmp_lt_u16_sdwa s[4:5], v91, v88 src0_sel:BYTE_0 src1_sel:BYTE_0
	v_cndmask_b32_sdwa v82, v82, v83, vcc dst_sel:BYTE_1 dst_unused:UNUSED_PAD src0_sel:DWORD src1_sel:DWORD
	v_cndmask_b32_e32 v83, v85, v84, vcc
	v_cmp_lt_i32_e32 vcc, v87, v21
	s_or_b64 s[4:5], s[18:19], s[4:5]
	v_perm_b32 v59, v59, v60, s92
	v_perm_b32 v58, v61, v58, s92
	;; [unrolled: 1-line block ×4, first 2 shown]
	s_and_b64 vcc, vcc, s[4:5]
	v_lshl_or_b32 v59, v58, 16, v59
	v_lshl_or_b32 v58, v2, 16, v1
	v_cndmask_b32_e64 v89, v90, v89, s[28:29]
	v_cndmask_b32_e64 v78, v78, v79, s[26:27]
	v_cndmask_b32_e64 v79, v81, v80, s[26:27]
	v_cndmask_b32_e64 v74, v74, v75, s[24:25]
	v_cndmask_b32_e64 v75, v77, v76, s[24:25]
	v_cndmask_b32_e64 v70, v70, v71, s[22:23]
	v_cndmask_b32_e64 v71, v73, v72, s[22:23]
	v_cndmask_b32_e64 v66, v66, v67, s[20:21]
	v_cndmask_b32_e64 v67, v69, v68, s[20:21]
	v_cndmask_b32_e32 v65, v92, v87, vcc
	s_barrier
	ds_write_b64 v5, v[58:59]
	s_waitcnt lgkmcnt(0)
	s_barrier
	ds_read_u8 v1, v62
	ds_read_u8 v58, v65
	;; [unrolled: 1-line block ×8, first 2 shown]
	v_lshlrev_b16_e32 v62, 8, v66
	v_cndmask_b32_e32 v63, v88, v91, vcc
	v_or_b32_sdwa v62, v64, v62 dst_sel:DWORD dst_unused:UNUSED_PAD src0_sel:BYTE_0 src1_sel:DWORD
	v_lshlrev_b16_e32 v64, 8, v74
	v_or_b32_sdwa v64, v70, v64 dst_sel:WORD_1 dst_unused:UNUSED_PAD src0_sel:BYTE_0 src1_sel:DWORD
	v_lshlrev_b16_e32 v63, 8, v63
	v_or_b32_sdwa v62, v62, v64 dst_sel:DWORD dst_unused:UNUSED_PAD src0_sel:WORD_0 src1_sel:DWORD
	v_or_b32_sdwa v64, v78, v82 dst_sel:DWORD dst_unused:UNUSED_PAD src0_sel:BYTE_0 src1_sel:DWORD
	v_or_b32_sdwa v63, v86, v63 dst_sel:WORD_1 dst_unused:UNUSED_PAD src0_sel:BYTE_0 src1_sel:DWORD
	v_or_b32_sdwa v63, v64, v63 dst_sel:DWORD dst_unused:UNUSED_PAD src0_sel:WORD_0 src1_sel:DWORD
	s_waitcnt lgkmcnt(0)
	s_barrier
	ds_write_b64 v5, v[62:63]
	v_mov_b32_e32 v63, v42
	s_waitcnt lgkmcnt(0)
	s_barrier
	s_and_saveexec_b64 s[18:19], s[8:9]
	s_cbranch_execz .LBB119_134
; %bb.131:                              ;   in Loop: Header=BB119_2 Depth=1
	s_mov_b64 s[20:21], 0
	v_mov_b32_e32 v63, v42
	v_mov_b32_e32 v62, v43
.LBB119_132:                            ;   Parent Loop BB119_2 Depth=1
                                        ; =>  This Inner Loop Header: Depth=2
	v_sub_u32_e32 v64, v62, v63
	v_lshrrev_b32_e32 v64, 1, v64
	v_add_u32_e32 v64, v64, v63
	v_add_u32_e32 v65, v10, v64
	v_xad_u32 v66, v64, -1, v44
	ds_read_u8 v65, v65
	ds_read_u8 v66, v66
	v_add_u32_e32 v67, 1, v64
	s_waitcnt lgkmcnt(0)
	v_cmp_lt_u16_e32 vcc, v66, v65
	v_cndmask_b32_e32 v62, v62, v64, vcc
	v_cndmask_b32_e32 v63, v67, v63, vcc
	v_cmp_ge_i32_e32 vcc, v63, v62
	s_or_b64 s[20:21], vcc, s[20:21]
	s_andn2_b64 exec, exec, s[20:21]
	s_cbranch_execnz .LBB119_132
; %bb.133:                              ;   in Loop: Header=BB119_2 Depth=1
	s_or_b64 exec, exec, s[20:21]
.LBB119_134:                            ;   in Loop: Header=BB119_2 Depth=1
	s_or_b64 exec, exec, s[18:19]
	v_add_u32_e32 v62, v63, v10
	v_sub_u32_e32 v63, v44, v63
	ds_read_u8 v64, v62
	ds_read_u8 v65, v63
	v_cmp_le_i32_e64 s[18:19], v22, v62
	v_cmp_gt_i32_e32 vcc, v23, v63
                                        ; implicit-def: $vgpr66
	s_waitcnt lgkmcnt(0)
	v_cmp_lt_u16_sdwa s[4:5], v65, v64 src0_sel:BYTE_0 src1_sel:BYTE_0
	s_or_b64 s[4:5], s[18:19], s[4:5]
	s_and_b64 s[18:19], vcc, s[4:5]
	s_xor_b64 s[4:5], s[18:19], -1
	s_and_saveexec_b64 s[20:21], s[4:5]
	s_xor_b64 s[20:21], exec, s[20:21]
; %bb.135:                              ;   in Loop: Header=BB119_2 Depth=1
	ds_read_u8 v66, v62 offset:1
; %bb.136:                              ;   in Loop: Header=BB119_2 Depth=1
	s_or_saveexec_b64 s[20:21], s[20:21]
	v_mov_b32_e32 v67, v65
	s_xor_b64 exec, exec, s[20:21]
	s_cbranch_execz .LBB119_138
; %bb.137:                              ;   in Loop: Header=BB119_2 Depth=1
	ds_read_u8 v67, v63 offset:1
	s_waitcnt lgkmcnt(1)
	v_mov_b32_e32 v66, v64
.LBB119_138:                            ;   in Loop: Header=BB119_2 Depth=1
	s_or_b64 exec, exec, s[20:21]
	v_add_u32_e32 v69, 1, v62
	v_add_u32_e32 v68, 1, v63
	v_cndmask_b32_e64 v69, v69, v62, s[18:19]
	v_cndmask_b32_e64 v68, v63, v68, s[18:19]
	v_cmp_ge_i32_e64 s[20:21], v69, v22
	s_waitcnt lgkmcnt(0)
	v_cmp_lt_u16_sdwa s[4:5], v67, v66 src0_sel:BYTE_0 src1_sel:BYTE_0
	v_cmp_lt_i32_e32 vcc, v68, v23
	s_or_b64 s[4:5], s[20:21], s[4:5]
	s_and_b64 s[20:21], vcc, s[4:5]
	s_xor_b64 s[4:5], s[20:21], -1
                                        ; implicit-def: $vgpr70
	s_and_saveexec_b64 s[22:23], s[4:5]
	s_xor_b64 s[22:23], exec, s[22:23]
; %bb.139:                              ;   in Loop: Header=BB119_2 Depth=1
	ds_read_u8 v70, v69 offset:1
; %bb.140:                              ;   in Loop: Header=BB119_2 Depth=1
	s_or_saveexec_b64 s[22:23], s[22:23]
	v_mov_b32_e32 v71, v67
	s_xor_b64 exec, exec, s[22:23]
	s_cbranch_execz .LBB119_142
; %bb.141:                              ;   in Loop: Header=BB119_2 Depth=1
	ds_read_u8 v71, v68 offset:1
	s_waitcnt lgkmcnt(1)
	v_mov_b32_e32 v70, v66
.LBB119_142:                            ;   in Loop: Header=BB119_2 Depth=1
	s_or_b64 exec, exec, s[22:23]
	v_add_u32_e32 v73, 1, v69
	v_add_u32_e32 v72, 1, v68
	v_cndmask_b32_e64 v73, v73, v69, s[20:21]
	v_cndmask_b32_e64 v72, v68, v72, s[20:21]
	v_cmp_ge_i32_e64 s[22:23], v73, v22
	s_waitcnt lgkmcnt(0)
	v_cmp_lt_u16_sdwa s[4:5], v71, v70 src0_sel:BYTE_0 src1_sel:BYTE_0
	v_cmp_lt_i32_e32 vcc, v72, v23
	s_or_b64 s[4:5], s[22:23], s[4:5]
	s_and_b64 s[22:23], vcc, s[4:5]
	s_xor_b64 s[4:5], s[22:23], -1
                                        ; implicit-def: $vgpr74
	s_and_saveexec_b64 s[24:25], s[4:5]
	s_xor_b64 s[24:25], exec, s[24:25]
; %bb.143:                              ;   in Loop: Header=BB119_2 Depth=1
	ds_read_u8 v74, v73 offset:1
; %bb.144:                              ;   in Loop: Header=BB119_2 Depth=1
	s_or_saveexec_b64 s[24:25], s[24:25]
	v_mov_b32_e32 v75, v71
	s_xor_b64 exec, exec, s[24:25]
	s_cbranch_execz .LBB119_146
; %bb.145:                              ;   in Loop: Header=BB119_2 Depth=1
	ds_read_u8 v75, v72 offset:1
	s_waitcnt lgkmcnt(1)
	v_mov_b32_e32 v74, v70
.LBB119_146:                            ;   in Loop: Header=BB119_2 Depth=1
	s_or_b64 exec, exec, s[24:25]
	v_add_u32_e32 v77, 1, v73
	v_add_u32_e32 v76, 1, v72
	v_cndmask_b32_e64 v77, v77, v73, s[22:23]
	v_cndmask_b32_e64 v76, v72, v76, s[22:23]
	v_cmp_ge_i32_e64 s[24:25], v77, v22
	s_waitcnt lgkmcnt(0)
	v_cmp_lt_u16_sdwa s[4:5], v75, v74 src0_sel:BYTE_0 src1_sel:BYTE_0
	v_cmp_lt_i32_e32 vcc, v76, v23
	s_or_b64 s[4:5], s[24:25], s[4:5]
	s_and_b64 s[24:25], vcc, s[4:5]
	s_xor_b64 s[4:5], s[24:25], -1
                                        ; implicit-def: $vgpr78
	s_and_saveexec_b64 s[26:27], s[4:5]
	s_xor_b64 s[26:27], exec, s[26:27]
; %bb.147:                              ;   in Loop: Header=BB119_2 Depth=1
	ds_read_u8 v78, v77 offset:1
; %bb.148:                              ;   in Loop: Header=BB119_2 Depth=1
	s_or_saveexec_b64 s[26:27], s[26:27]
	v_mov_b32_e32 v79, v75
	s_xor_b64 exec, exec, s[26:27]
	s_cbranch_execz .LBB119_150
; %bb.149:                              ;   in Loop: Header=BB119_2 Depth=1
	ds_read_u8 v79, v76 offset:1
	s_waitcnt lgkmcnt(1)
	v_mov_b32_e32 v78, v74
.LBB119_150:                            ;   in Loop: Header=BB119_2 Depth=1
	s_or_b64 exec, exec, s[26:27]
	v_add_u32_e32 v81, 1, v77
	v_add_u32_e32 v80, 1, v76
	v_cndmask_b32_e64 v81, v81, v77, s[24:25]
	v_cndmask_b32_e64 v80, v76, v80, s[24:25]
	v_cmp_ge_i32_e64 s[26:27], v81, v22
	s_waitcnt lgkmcnt(0)
	v_cmp_lt_u16_sdwa s[4:5], v79, v78 src0_sel:BYTE_0 src1_sel:BYTE_0
	v_cmp_lt_i32_e32 vcc, v80, v23
	s_or_b64 s[4:5], s[26:27], s[4:5]
	s_and_b64 s[26:27], vcc, s[4:5]
	s_xor_b64 s[4:5], s[26:27], -1
                                        ; implicit-def: $vgpr82
	s_and_saveexec_b64 s[28:29], s[4:5]
	s_xor_b64 s[28:29], exec, s[28:29]
; %bb.151:                              ;   in Loop: Header=BB119_2 Depth=1
	ds_read_u8 v82, v81 offset:1
; %bb.152:                              ;   in Loop: Header=BB119_2 Depth=1
	s_or_saveexec_b64 s[28:29], s[28:29]
	v_mov_b32_e32 v83, v79
	s_xor_b64 exec, exec, s[28:29]
	s_cbranch_execz .LBB119_154
; %bb.153:                              ;   in Loop: Header=BB119_2 Depth=1
	ds_read_u8 v83, v80 offset:1
	s_waitcnt lgkmcnt(1)
	v_mov_b32_e32 v82, v78
.LBB119_154:                            ;   in Loop: Header=BB119_2 Depth=1
	s_or_b64 exec, exec, s[28:29]
	v_add_u32_e32 v85, 1, v81
	v_add_u32_e32 v84, 1, v80
	v_cndmask_b32_e64 v85, v85, v81, s[26:27]
	v_cndmask_b32_e64 v84, v80, v84, s[26:27]
	v_cmp_ge_i32_e64 s[28:29], v85, v22
	s_waitcnt lgkmcnt(0)
	v_cmp_lt_u16_sdwa s[4:5], v83, v82 src0_sel:BYTE_0 src1_sel:BYTE_0
	v_cmp_lt_i32_e32 vcc, v84, v23
	s_or_b64 s[4:5], s[28:29], s[4:5]
	s_and_b64 vcc, vcc, s[4:5]
	s_xor_b64 s[4:5], vcc, -1
                                        ; implicit-def: $vgpr86
	s_and_saveexec_b64 s[28:29], s[4:5]
	s_xor_b64 s[28:29], exec, s[28:29]
; %bb.155:                              ;   in Loop: Header=BB119_2 Depth=1
	ds_read_u8 v86, v85 offset:1
; %bb.156:                              ;   in Loop: Header=BB119_2 Depth=1
	s_or_saveexec_b64 s[28:29], s[28:29]
	v_mov_b32_e32 v87, v83
	s_xor_b64 exec, exec, s[28:29]
	s_cbranch_execz .LBB119_158
; %bb.157:                              ;   in Loop: Header=BB119_2 Depth=1
	ds_read_u8 v87, v84 offset:1
	s_waitcnt lgkmcnt(1)
	v_mov_b32_e32 v86, v82
.LBB119_158:                            ;   in Loop: Header=BB119_2 Depth=1
	s_or_b64 exec, exec, s[28:29]
	v_add_u32_e32 v90, 1, v85
	v_add_u32_e32 v88, 1, v84
	v_cndmask_b32_e32 v90, v90, v85, vcc
	v_cndmask_b32_e32 v89, v84, v88, vcc
	v_cmp_ge_i32_e64 s[30:31], v90, v22
	s_waitcnt lgkmcnt(0)
	v_cmp_lt_u16_sdwa s[4:5], v87, v86 src0_sel:BYTE_0 src1_sel:BYTE_0
	v_cmp_lt_i32_e64 s[28:29], v89, v23
	s_or_b64 s[4:5], s[30:31], s[4:5]
	s_and_b64 s[28:29], s[28:29], s[4:5]
	s_xor_b64 s[4:5], s[28:29], -1
                                        ; implicit-def: $vgpr88
	s_and_saveexec_b64 s[30:31], s[4:5]
	s_xor_b64 s[30:31], exec, s[30:31]
; %bb.159:                              ;   in Loop: Header=BB119_2 Depth=1
	ds_read_u8 v88, v90 offset:1
; %bb.160:                              ;   in Loop: Header=BB119_2 Depth=1
	s_or_saveexec_b64 s[30:31], s[30:31]
	v_mov_b32_e32 v91, v87
	s_xor_b64 exec, exec, s[30:31]
	s_cbranch_execz .LBB119_162
; %bb.161:                              ;   in Loop: Header=BB119_2 Depth=1
	ds_read_u8 v91, v89 offset:1
	s_waitcnt lgkmcnt(1)
	v_mov_b32_e32 v88, v86
.LBB119_162:                            ;   in Loop: Header=BB119_2 Depth=1
	s_or_b64 exec, exec, s[30:31]
	v_add_u32_e32 v92, 1, v90
	v_cndmask_b32_e64 v86, v86, v87, s[28:29]
	v_add_u32_e32 v87, 1, v89
	v_cndmask_b32_e64 v92, v92, v90, s[28:29]
	v_cndmask_b32_e64 v87, v89, v87, s[28:29]
	;; [unrolled: 1-line block ×4, first 2 shown]
	v_cmp_ge_i32_e64 s[18:19], v92, v22
	s_waitcnt lgkmcnt(0)
	v_cmp_lt_u16_sdwa s[4:5], v91, v88 src0_sel:BYTE_0 src1_sel:BYTE_0
	v_cndmask_b32_sdwa v82, v82, v83, vcc dst_sel:BYTE_1 dst_unused:UNUSED_PAD src0_sel:DWORD src1_sel:DWORD
	v_cndmask_b32_e32 v83, v85, v84, vcc
	v_cmp_lt_i32_e32 vcc, v87, v23
	s_or_b64 s[4:5], s[18:19], s[4:5]
	v_perm_b32 v59, v59, v60, s92
	v_perm_b32 v58, v61, v58, s92
	;; [unrolled: 1-line block ×4, first 2 shown]
	s_and_b64 vcc, vcc, s[4:5]
	v_lshl_or_b32 v59, v58, 16, v59
	v_lshl_or_b32 v58, v2, 16, v1
	v_cndmask_b32_e64 v89, v90, v89, s[28:29]
	v_cndmask_b32_e64 v78, v78, v79, s[26:27]
	;; [unrolled: 1-line block ×9, first 2 shown]
	v_cndmask_b32_e32 v65, v92, v87, vcc
	s_barrier
	ds_write_b64 v5, v[58:59]
	s_waitcnt lgkmcnt(0)
	s_barrier
	ds_read_u8 v1, v62
	ds_read_u8 v58, v65
	;; [unrolled: 1-line block ×8, first 2 shown]
	v_lshlrev_b16_e32 v62, 8, v66
	v_cndmask_b32_e32 v63, v88, v91, vcc
	v_or_b32_sdwa v62, v64, v62 dst_sel:DWORD dst_unused:UNUSED_PAD src0_sel:BYTE_0 src1_sel:DWORD
	v_lshlrev_b16_e32 v64, 8, v74
	v_or_b32_sdwa v64, v70, v64 dst_sel:WORD_1 dst_unused:UNUSED_PAD src0_sel:BYTE_0 src1_sel:DWORD
	v_lshlrev_b16_e32 v63, 8, v63
	v_or_b32_sdwa v62, v62, v64 dst_sel:DWORD dst_unused:UNUSED_PAD src0_sel:WORD_0 src1_sel:DWORD
	v_or_b32_sdwa v64, v78, v82 dst_sel:DWORD dst_unused:UNUSED_PAD src0_sel:BYTE_0 src1_sel:DWORD
	v_or_b32_sdwa v63, v86, v63 dst_sel:WORD_1 dst_unused:UNUSED_PAD src0_sel:BYTE_0 src1_sel:DWORD
	v_or_b32_sdwa v63, v64, v63 dst_sel:DWORD dst_unused:UNUSED_PAD src0_sel:WORD_0 src1_sel:DWORD
	s_waitcnt lgkmcnt(0)
	s_barrier
	ds_write_b64 v5, v[62:63]
	v_mov_b32_e32 v63, v45
	s_waitcnt lgkmcnt(0)
	s_barrier
	s_and_saveexec_b64 s[18:19], s[10:11]
	s_cbranch_execz .LBB119_166
; %bb.163:                              ;   in Loop: Header=BB119_2 Depth=1
	s_mov_b64 s[20:21], 0
	v_mov_b32_e32 v63, v45
	v_mov_b32_e32 v62, v46
.LBB119_164:                            ;   Parent Loop BB119_2 Depth=1
                                        ; =>  This Inner Loop Header: Depth=2
	v_sub_u32_e32 v64, v62, v63
	v_lshrrev_b32_e32 v64, 1, v64
	v_add_u32_e32 v64, v64, v63
	v_add_u32_e32 v65, v11, v64
	v_xad_u32 v66, v64, -1, v47
	ds_read_u8 v65, v65
	ds_read_u8 v66, v66
	v_add_u32_e32 v67, 1, v64
	s_waitcnt lgkmcnt(0)
	v_cmp_lt_u16_e32 vcc, v66, v65
	v_cndmask_b32_e32 v62, v62, v64, vcc
	v_cndmask_b32_e32 v63, v67, v63, vcc
	v_cmp_ge_i32_e32 vcc, v63, v62
	s_or_b64 s[20:21], vcc, s[20:21]
	s_andn2_b64 exec, exec, s[20:21]
	s_cbranch_execnz .LBB119_164
; %bb.165:                              ;   in Loop: Header=BB119_2 Depth=1
	s_or_b64 exec, exec, s[20:21]
.LBB119_166:                            ;   in Loop: Header=BB119_2 Depth=1
	s_or_b64 exec, exec, s[18:19]
	v_add_u32_e32 v62, v63, v11
	v_sub_u32_e32 v63, v47, v63
	ds_read_u8 v64, v62
	ds_read_u8 v65, v63
	v_cmp_le_i32_e64 s[18:19], v24, v62
	v_cmp_gt_i32_e32 vcc, v25, v63
                                        ; implicit-def: $vgpr66
	s_waitcnt lgkmcnt(0)
	v_cmp_lt_u16_sdwa s[4:5], v65, v64 src0_sel:BYTE_0 src1_sel:BYTE_0
	s_or_b64 s[4:5], s[18:19], s[4:5]
	s_and_b64 s[18:19], vcc, s[4:5]
	s_xor_b64 s[4:5], s[18:19], -1
	s_and_saveexec_b64 s[20:21], s[4:5]
	s_xor_b64 s[20:21], exec, s[20:21]
; %bb.167:                              ;   in Loop: Header=BB119_2 Depth=1
	ds_read_u8 v66, v62 offset:1
; %bb.168:                              ;   in Loop: Header=BB119_2 Depth=1
	s_or_saveexec_b64 s[20:21], s[20:21]
	v_mov_b32_e32 v67, v65
	s_xor_b64 exec, exec, s[20:21]
	s_cbranch_execz .LBB119_170
; %bb.169:                              ;   in Loop: Header=BB119_2 Depth=1
	ds_read_u8 v67, v63 offset:1
	s_waitcnt lgkmcnt(1)
	v_mov_b32_e32 v66, v64
.LBB119_170:                            ;   in Loop: Header=BB119_2 Depth=1
	s_or_b64 exec, exec, s[20:21]
	v_add_u32_e32 v69, 1, v62
	v_add_u32_e32 v68, 1, v63
	v_cndmask_b32_e64 v69, v69, v62, s[18:19]
	v_cndmask_b32_e64 v68, v63, v68, s[18:19]
	v_cmp_ge_i32_e64 s[20:21], v69, v24
	s_waitcnt lgkmcnt(0)
	v_cmp_lt_u16_sdwa s[4:5], v67, v66 src0_sel:BYTE_0 src1_sel:BYTE_0
	v_cmp_lt_i32_e32 vcc, v68, v25
	s_or_b64 s[4:5], s[20:21], s[4:5]
	s_and_b64 s[20:21], vcc, s[4:5]
	s_xor_b64 s[4:5], s[20:21], -1
                                        ; implicit-def: $vgpr70
	s_and_saveexec_b64 s[22:23], s[4:5]
	s_xor_b64 s[22:23], exec, s[22:23]
; %bb.171:                              ;   in Loop: Header=BB119_2 Depth=1
	ds_read_u8 v70, v69 offset:1
; %bb.172:                              ;   in Loop: Header=BB119_2 Depth=1
	s_or_saveexec_b64 s[22:23], s[22:23]
	v_mov_b32_e32 v71, v67
	s_xor_b64 exec, exec, s[22:23]
	s_cbranch_execz .LBB119_174
; %bb.173:                              ;   in Loop: Header=BB119_2 Depth=1
	ds_read_u8 v71, v68 offset:1
	s_waitcnt lgkmcnt(1)
	v_mov_b32_e32 v70, v66
.LBB119_174:                            ;   in Loop: Header=BB119_2 Depth=1
	s_or_b64 exec, exec, s[22:23]
	v_add_u32_e32 v73, 1, v69
	v_add_u32_e32 v72, 1, v68
	v_cndmask_b32_e64 v73, v73, v69, s[20:21]
	v_cndmask_b32_e64 v72, v68, v72, s[20:21]
	v_cmp_ge_i32_e64 s[22:23], v73, v24
	s_waitcnt lgkmcnt(0)
	v_cmp_lt_u16_sdwa s[4:5], v71, v70 src0_sel:BYTE_0 src1_sel:BYTE_0
	v_cmp_lt_i32_e32 vcc, v72, v25
	s_or_b64 s[4:5], s[22:23], s[4:5]
	s_and_b64 s[22:23], vcc, s[4:5]
	s_xor_b64 s[4:5], s[22:23], -1
                                        ; implicit-def: $vgpr74
	s_and_saveexec_b64 s[24:25], s[4:5]
	s_xor_b64 s[24:25], exec, s[24:25]
; %bb.175:                              ;   in Loop: Header=BB119_2 Depth=1
	ds_read_u8 v74, v73 offset:1
; %bb.176:                              ;   in Loop: Header=BB119_2 Depth=1
	s_or_saveexec_b64 s[24:25], s[24:25]
	v_mov_b32_e32 v75, v71
	s_xor_b64 exec, exec, s[24:25]
	s_cbranch_execz .LBB119_178
; %bb.177:                              ;   in Loop: Header=BB119_2 Depth=1
	ds_read_u8 v75, v72 offset:1
	s_waitcnt lgkmcnt(1)
	v_mov_b32_e32 v74, v70
.LBB119_178:                            ;   in Loop: Header=BB119_2 Depth=1
	s_or_b64 exec, exec, s[24:25]
	v_add_u32_e32 v77, 1, v73
	v_add_u32_e32 v76, 1, v72
	v_cndmask_b32_e64 v77, v77, v73, s[22:23]
	v_cndmask_b32_e64 v76, v72, v76, s[22:23]
	v_cmp_ge_i32_e64 s[24:25], v77, v24
	s_waitcnt lgkmcnt(0)
	v_cmp_lt_u16_sdwa s[4:5], v75, v74 src0_sel:BYTE_0 src1_sel:BYTE_0
	v_cmp_lt_i32_e32 vcc, v76, v25
	s_or_b64 s[4:5], s[24:25], s[4:5]
	s_and_b64 s[24:25], vcc, s[4:5]
	s_xor_b64 s[4:5], s[24:25], -1
                                        ; implicit-def: $vgpr78
	s_and_saveexec_b64 s[26:27], s[4:5]
	s_xor_b64 s[26:27], exec, s[26:27]
; %bb.179:                              ;   in Loop: Header=BB119_2 Depth=1
	ds_read_u8 v78, v77 offset:1
; %bb.180:                              ;   in Loop: Header=BB119_2 Depth=1
	s_or_saveexec_b64 s[26:27], s[26:27]
	v_mov_b32_e32 v79, v75
	s_xor_b64 exec, exec, s[26:27]
	s_cbranch_execz .LBB119_182
; %bb.181:                              ;   in Loop: Header=BB119_2 Depth=1
	ds_read_u8 v79, v76 offset:1
	s_waitcnt lgkmcnt(1)
	v_mov_b32_e32 v78, v74
.LBB119_182:                            ;   in Loop: Header=BB119_2 Depth=1
	s_or_b64 exec, exec, s[26:27]
	v_add_u32_e32 v81, 1, v77
	v_add_u32_e32 v80, 1, v76
	v_cndmask_b32_e64 v81, v81, v77, s[24:25]
	v_cndmask_b32_e64 v80, v76, v80, s[24:25]
	v_cmp_ge_i32_e64 s[26:27], v81, v24
	s_waitcnt lgkmcnt(0)
	v_cmp_lt_u16_sdwa s[4:5], v79, v78 src0_sel:BYTE_0 src1_sel:BYTE_0
	v_cmp_lt_i32_e32 vcc, v80, v25
	s_or_b64 s[4:5], s[26:27], s[4:5]
	s_and_b64 s[26:27], vcc, s[4:5]
	s_xor_b64 s[4:5], s[26:27], -1
                                        ; implicit-def: $vgpr82
	s_and_saveexec_b64 s[28:29], s[4:5]
	s_xor_b64 s[28:29], exec, s[28:29]
; %bb.183:                              ;   in Loop: Header=BB119_2 Depth=1
	ds_read_u8 v82, v81 offset:1
; %bb.184:                              ;   in Loop: Header=BB119_2 Depth=1
	s_or_saveexec_b64 s[28:29], s[28:29]
	v_mov_b32_e32 v83, v79
	s_xor_b64 exec, exec, s[28:29]
	s_cbranch_execz .LBB119_186
; %bb.185:                              ;   in Loop: Header=BB119_2 Depth=1
	ds_read_u8 v83, v80 offset:1
	s_waitcnt lgkmcnt(1)
	v_mov_b32_e32 v82, v78
.LBB119_186:                            ;   in Loop: Header=BB119_2 Depth=1
	s_or_b64 exec, exec, s[28:29]
	v_add_u32_e32 v85, 1, v81
	v_add_u32_e32 v84, 1, v80
	v_cndmask_b32_e64 v85, v85, v81, s[26:27]
	v_cndmask_b32_e64 v84, v80, v84, s[26:27]
	v_cmp_ge_i32_e64 s[28:29], v85, v24
	s_waitcnt lgkmcnt(0)
	v_cmp_lt_u16_sdwa s[4:5], v83, v82 src0_sel:BYTE_0 src1_sel:BYTE_0
	v_cmp_lt_i32_e32 vcc, v84, v25
	s_or_b64 s[4:5], s[28:29], s[4:5]
	s_and_b64 vcc, vcc, s[4:5]
	s_xor_b64 s[4:5], vcc, -1
                                        ; implicit-def: $vgpr86
	s_and_saveexec_b64 s[28:29], s[4:5]
	s_xor_b64 s[28:29], exec, s[28:29]
; %bb.187:                              ;   in Loop: Header=BB119_2 Depth=1
	ds_read_u8 v86, v85 offset:1
; %bb.188:                              ;   in Loop: Header=BB119_2 Depth=1
	s_or_saveexec_b64 s[28:29], s[28:29]
	v_mov_b32_e32 v87, v83
	s_xor_b64 exec, exec, s[28:29]
	s_cbranch_execz .LBB119_190
; %bb.189:                              ;   in Loop: Header=BB119_2 Depth=1
	ds_read_u8 v87, v84 offset:1
	s_waitcnt lgkmcnt(1)
	v_mov_b32_e32 v86, v82
.LBB119_190:                            ;   in Loop: Header=BB119_2 Depth=1
	s_or_b64 exec, exec, s[28:29]
	v_add_u32_e32 v90, 1, v85
	v_add_u32_e32 v88, 1, v84
	v_cndmask_b32_e32 v90, v90, v85, vcc
	v_cndmask_b32_e32 v89, v84, v88, vcc
	v_cmp_ge_i32_e64 s[30:31], v90, v24
	s_waitcnt lgkmcnt(0)
	v_cmp_lt_u16_sdwa s[4:5], v87, v86 src0_sel:BYTE_0 src1_sel:BYTE_0
	v_cmp_lt_i32_e64 s[28:29], v89, v25
	s_or_b64 s[4:5], s[30:31], s[4:5]
	s_and_b64 s[28:29], s[28:29], s[4:5]
	s_xor_b64 s[4:5], s[28:29], -1
                                        ; implicit-def: $vgpr88
	s_and_saveexec_b64 s[30:31], s[4:5]
	s_xor_b64 s[30:31], exec, s[30:31]
; %bb.191:                              ;   in Loop: Header=BB119_2 Depth=1
	ds_read_u8 v88, v90 offset:1
; %bb.192:                              ;   in Loop: Header=BB119_2 Depth=1
	s_or_saveexec_b64 s[30:31], s[30:31]
	v_mov_b32_e32 v91, v87
	s_xor_b64 exec, exec, s[30:31]
	s_cbranch_execz .LBB119_194
; %bb.193:                              ;   in Loop: Header=BB119_2 Depth=1
	ds_read_u8 v91, v89 offset:1
	s_waitcnt lgkmcnt(1)
	v_mov_b32_e32 v88, v86
.LBB119_194:                            ;   in Loop: Header=BB119_2 Depth=1
	s_or_b64 exec, exec, s[30:31]
	v_add_u32_e32 v92, 1, v90
	v_cndmask_b32_e64 v86, v86, v87, s[28:29]
	v_add_u32_e32 v87, 1, v89
	v_cndmask_b32_e64 v92, v92, v90, s[28:29]
	v_cndmask_b32_e64 v87, v89, v87, s[28:29]
	;; [unrolled: 1-line block ×4, first 2 shown]
	v_cmp_ge_i32_e64 s[18:19], v92, v24
	s_waitcnt lgkmcnt(0)
	v_cmp_lt_u16_sdwa s[4:5], v91, v88 src0_sel:BYTE_0 src1_sel:BYTE_0
	v_cndmask_b32_sdwa v82, v82, v83, vcc dst_sel:BYTE_1 dst_unused:UNUSED_PAD src0_sel:DWORD src1_sel:DWORD
	v_cndmask_b32_e32 v83, v85, v84, vcc
	v_cmp_lt_i32_e32 vcc, v87, v25
	s_or_b64 s[4:5], s[18:19], s[4:5]
	v_perm_b32 v59, v59, v60, s92
	v_perm_b32 v58, v61, v58, s92
	;; [unrolled: 1-line block ×4, first 2 shown]
	s_and_b64 vcc, vcc, s[4:5]
	v_lshl_or_b32 v59, v58, 16, v59
	v_lshl_or_b32 v58, v2, 16, v1
	v_cndmask_b32_e64 v89, v90, v89, s[28:29]
	v_cndmask_b32_e64 v78, v78, v79, s[26:27]
	;; [unrolled: 1-line block ×9, first 2 shown]
	v_cndmask_b32_e32 v65, v92, v87, vcc
	s_barrier
	ds_write_b64 v5, v[58:59]
	s_waitcnt lgkmcnt(0)
	s_barrier
	ds_read_u8 v1, v62
	ds_read_u8 v58, v65
	;; [unrolled: 1-line block ×8, first 2 shown]
	v_lshlrev_b16_e32 v62, 8, v66
	v_cndmask_b32_e32 v63, v88, v91, vcc
	v_or_b32_sdwa v62, v64, v62 dst_sel:DWORD dst_unused:UNUSED_PAD src0_sel:BYTE_0 src1_sel:DWORD
	v_lshlrev_b16_e32 v64, 8, v74
	v_or_b32_sdwa v64, v70, v64 dst_sel:WORD_1 dst_unused:UNUSED_PAD src0_sel:BYTE_0 src1_sel:DWORD
	v_lshlrev_b16_e32 v63, 8, v63
	v_or_b32_sdwa v62, v62, v64 dst_sel:DWORD dst_unused:UNUSED_PAD src0_sel:WORD_0 src1_sel:DWORD
	v_or_b32_sdwa v64, v78, v82 dst_sel:DWORD dst_unused:UNUSED_PAD src0_sel:BYTE_0 src1_sel:DWORD
	v_or_b32_sdwa v63, v86, v63 dst_sel:WORD_1 dst_unused:UNUSED_PAD src0_sel:BYTE_0 src1_sel:DWORD
	v_or_b32_sdwa v63, v64, v63 dst_sel:DWORD dst_unused:UNUSED_PAD src0_sel:WORD_0 src1_sel:DWORD
	s_waitcnt lgkmcnt(0)
	s_barrier
	ds_write_b64 v5, v[62:63]
	v_mov_b32_e32 v63, v48
	s_waitcnt lgkmcnt(0)
	s_barrier
	s_and_saveexec_b64 s[18:19], s[12:13]
	s_cbranch_execz .LBB119_198
; %bb.195:                              ;   in Loop: Header=BB119_2 Depth=1
	s_mov_b64 s[20:21], 0
	v_mov_b32_e32 v63, v48
	v_mov_b32_e32 v62, v49
.LBB119_196:                            ;   Parent Loop BB119_2 Depth=1
                                        ; =>  This Inner Loop Header: Depth=2
	v_sub_u32_e32 v64, v62, v63
	v_lshrrev_b32_e32 v64, 1, v64
	v_add_u32_e32 v64, v64, v63
	v_add_u32_e32 v65, v12, v64
	v_xad_u32 v66, v64, -1, v50
	ds_read_u8 v65, v65
	ds_read_u8 v66, v66
	v_add_u32_e32 v67, 1, v64
	s_waitcnt lgkmcnt(0)
	v_cmp_lt_u16_e32 vcc, v66, v65
	v_cndmask_b32_e32 v62, v62, v64, vcc
	v_cndmask_b32_e32 v63, v67, v63, vcc
	v_cmp_ge_i32_e32 vcc, v63, v62
	s_or_b64 s[20:21], vcc, s[20:21]
	s_andn2_b64 exec, exec, s[20:21]
	s_cbranch_execnz .LBB119_196
; %bb.197:                              ;   in Loop: Header=BB119_2 Depth=1
	s_or_b64 exec, exec, s[20:21]
.LBB119_198:                            ;   in Loop: Header=BB119_2 Depth=1
	s_or_b64 exec, exec, s[18:19]
	v_add_u32_e32 v62, v63, v12
	v_sub_u32_e32 v63, v50, v63
	ds_read_u8 v64, v62
	ds_read_u8 v65, v63
	v_cmp_le_i32_e64 s[18:19], v26, v62
	v_cmp_gt_i32_e32 vcc, v27, v63
                                        ; implicit-def: $vgpr66
	s_waitcnt lgkmcnt(0)
	v_cmp_lt_u16_sdwa s[4:5], v65, v64 src0_sel:BYTE_0 src1_sel:BYTE_0
	s_or_b64 s[4:5], s[18:19], s[4:5]
	s_and_b64 s[18:19], vcc, s[4:5]
	s_xor_b64 s[4:5], s[18:19], -1
	s_and_saveexec_b64 s[20:21], s[4:5]
	s_xor_b64 s[20:21], exec, s[20:21]
; %bb.199:                              ;   in Loop: Header=BB119_2 Depth=1
	ds_read_u8 v66, v62 offset:1
; %bb.200:                              ;   in Loop: Header=BB119_2 Depth=1
	s_or_saveexec_b64 s[20:21], s[20:21]
	v_mov_b32_e32 v67, v65
	s_xor_b64 exec, exec, s[20:21]
	s_cbranch_execz .LBB119_202
; %bb.201:                              ;   in Loop: Header=BB119_2 Depth=1
	ds_read_u8 v67, v63 offset:1
	s_waitcnt lgkmcnt(1)
	v_mov_b32_e32 v66, v64
.LBB119_202:                            ;   in Loop: Header=BB119_2 Depth=1
	s_or_b64 exec, exec, s[20:21]
	v_add_u32_e32 v69, 1, v62
	v_add_u32_e32 v68, 1, v63
	v_cndmask_b32_e64 v69, v69, v62, s[18:19]
	v_cndmask_b32_e64 v68, v63, v68, s[18:19]
	v_cmp_ge_i32_e64 s[20:21], v69, v26
	s_waitcnt lgkmcnt(0)
	v_cmp_lt_u16_sdwa s[4:5], v67, v66 src0_sel:BYTE_0 src1_sel:BYTE_0
	v_cmp_lt_i32_e32 vcc, v68, v27
	s_or_b64 s[4:5], s[20:21], s[4:5]
	s_and_b64 s[20:21], vcc, s[4:5]
	s_xor_b64 s[4:5], s[20:21], -1
                                        ; implicit-def: $vgpr70
	s_and_saveexec_b64 s[22:23], s[4:5]
	s_xor_b64 s[22:23], exec, s[22:23]
; %bb.203:                              ;   in Loop: Header=BB119_2 Depth=1
	ds_read_u8 v70, v69 offset:1
; %bb.204:                              ;   in Loop: Header=BB119_2 Depth=1
	s_or_saveexec_b64 s[22:23], s[22:23]
	v_mov_b32_e32 v71, v67
	s_xor_b64 exec, exec, s[22:23]
	s_cbranch_execz .LBB119_206
; %bb.205:                              ;   in Loop: Header=BB119_2 Depth=1
	ds_read_u8 v71, v68 offset:1
	s_waitcnt lgkmcnt(1)
	v_mov_b32_e32 v70, v66
.LBB119_206:                            ;   in Loop: Header=BB119_2 Depth=1
	s_or_b64 exec, exec, s[22:23]
	v_add_u32_e32 v73, 1, v69
	v_add_u32_e32 v72, 1, v68
	v_cndmask_b32_e64 v73, v73, v69, s[20:21]
	v_cndmask_b32_e64 v72, v68, v72, s[20:21]
	v_cmp_ge_i32_e64 s[22:23], v73, v26
	s_waitcnt lgkmcnt(0)
	v_cmp_lt_u16_sdwa s[4:5], v71, v70 src0_sel:BYTE_0 src1_sel:BYTE_0
	v_cmp_lt_i32_e32 vcc, v72, v27
	s_or_b64 s[4:5], s[22:23], s[4:5]
	s_and_b64 s[22:23], vcc, s[4:5]
	s_xor_b64 s[4:5], s[22:23], -1
                                        ; implicit-def: $vgpr74
	s_and_saveexec_b64 s[24:25], s[4:5]
	s_xor_b64 s[24:25], exec, s[24:25]
; %bb.207:                              ;   in Loop: Header=BB119_2 Depth=1
	ds_read_u8 v74, v73 offset:1
; %bb.208:                              ;   in Loop: Header=BB119_2 Depth=1
	s_or_saveexec_b64 s[24:25], s[24:25]
	v_mov_b32_e32 v75, v71
	s_xor_b64 exec, exec, s[24:25]
	s_cbranch_execz .LBB119_210
; %bb.209:                              ;   in Loop: Header=BB119_2 Depth=1
	ds_read_u8 v75, v72 offset:1
	s_waitcnt lgkmcnt(1)
	v_mov_b32_e32 v74, v70
.LBB119_210:                            ;   in Loop: Header=BB119_2 Depth=1
	s_or_b64 exec, exec, s[24:25]
	v_add_u32_e32 v77, 1, v73
	v_add_u32_e32 v76, 1, v72
	v_cndmask_b32_e64 v77, v77, v73, s[22:23]
	v_cndmask_b32_e64 v76, v72, v76, s[22:23]
	v_cmp_ge_i32_e64 s[24:25], v77, v26
	s_waitcnt lgkmcnt(0)
	v_cmp_lt_u16_sdwa s[4:5], v75, v74 src0_sel:BYTE_0 src1_sel:BYTE_0
	v_cmp_lt_i32_e32 vcc, v76, v27
	s_or_b64 s[4:5], s[24:25], s[4:5]
	s_and_b64 s[24:25], vcc, s[4:5]
	s_xor_b64 s[4:5], s[24:25], -1
                                        ; implicit-def: $vgpr78
	s_and_saveexec_b64 s[26:27], s[4:5]
	s_xor_b64 s[26:27], exec, s[26:27]
; %bb.211:                              ;   in Loop: Header=BB119_2 Depth=1
	ds_read_u8 v78, v77 offset:1
; %bb.212:                              ;   in Loop: Header=BB119_2 Depth=1
	s_or_saveexec_b64 s[26:27], s[26:27]
	v_mov_b32_e32 v79, v75
	s_xor_b64 exec, exec, s[26:27]
	s_cbranch_execz .LBB119_214
; %bb.213:                              ;   in Loop: Header=BB119_2 Depth=1
	ds_read_u8 v79, v76 offset:1
	s_waitcnt lgkmcnt(1)
	v_mov_b32_e32 v78, v74
.LBB119_214:                            ;   in Loop: Header=BB119_2 Depth=1
	s_or_b64 exec, exec, s[26:27]
	v_add_u32_e32 v81, 1, v77
	v_add_u32_e32 v80, 1, v76
	v_cndmask_b32_e64 v81, v81, v77, s[24:25]
	v_cndmask_b32_e64 v80, v76, v80, s[24:25]
	v_cmp_ge_i32_e64 s[26:27], v81, v26
	s_waitcnt lgkmcnt(0)
	v_cmp_lt_u16_sdwa s[4:5], v79, v78 src0_sel:BYTE_0 src1_sel:BYTE_0
	v_cmp_lt_i32_e32 vcc, v80, v27
	s_or_b64 s[4:5], s[26:27], s[4:5]
	s_and_b64 s[26:27], vcc, s[4:5]
	s_xor_b64 s[4:5], s[26:27], -1
                                        ; implicit-def: $vgpr82
	s_and_saveexec_b64 s[28:29], s[4:5]
	s_xor_b64 s[28:29], exec, s[28:29]
; %bb.215:                              ;   in Loop: Header=BB119_2 Depth=1
	ds_read_u8 v82, v81 offset:1
; %bb.216:                              ;   in Loop: Header=BB119_2 Depth=1
	s_or_saveexec_b64 s[28:29], s[28:29]
	v_mov_b32_e32 v83, v79
	s_xor_b64 exec, exec, s[28:29]
	s_cbranch_execz .LBB119_218
; %bb.217:                              ;   in Loop: Header=BB119_2 Depth=1
	ds_read_u8 v83, v80 offset:1
	s_waitcnt lgkmcnt(1)
	v_mov_b32_e32 v82, v78
.LBB119_218:                            ;   in Loop: Header=BB119_2 Depth=1
	s_or_b64 exec, exec, s[28:29]
	v_add_u32_e32 v85, 1, v81
	v_add_u32_e32 v84, 1, v80
	v_cndmask_b32_e64 v85, v85, v81, s[26:27]
	v_cndmask_b32_e64 v84, v80, v84, s[26:27]
	v_cmp_ge_i32_e64 s[28:29], v85, v26
	s_waitcnt lgkmcnt(0)
	v_cmp_lt_u16_sdwa s[4:5], v83, v82 src0_sel:BYTE_0 src1_sel:BYTE_0
	v_cmp_lt_i32_e32 vcc, v84, v27
	s_or_b64 s[4:5], s[28:29], s[4:5]
	s_and_b64 vcc, vcc, s[4:5]
	s_xor_b64 s[4:5], vcc, -1
                                        ; implicit-def: $vgpr86
	s_and_saveexec_b64 s[28:29], s[4:5]
	s_xor_b64 s[28:29], exec, s[28:29]
; %bb.219:                              ;   in Loop: Header=BB119_2 Depth=1
	ds_read_u8 v86, v85 offset:1
; %bb.220:                              ;   in Loop: Header=BB119_2 Depth=1
	s_or_saveexec_b64 s[28:29], s[28:29]
	v_mov_b32_e32 v87, v83
	s_xor_b64 exec, exec, s[28:29]
	s_cbranch_execz .LBB119_222
; %bb.221:                              ;   in Loop: Header=BB119_2 Depth=1
	ds_read_u8 v87, v84 offset:1
	s_waitcnt lgkmcnt(1)
	v_mov_b32_e32 v86, v82
.LBB119_222:                            ;   in Loop: Header=BB119_2 Depth=1
	s_or_b64 exec, exec, s[28:29]
	v_add_u32_e32 v90, 1, v85
	v_add_u32_e32 v88, 1, v84
	v_cndmask_b32_e32 v90, v90, v85, vcc
	v_cndmask_b32_e32 v89, v84, v88, vcc
	v_cmp_ge_i32_e64 s[30:31], v90, v26
	s_waitcnt lgkmcnt(0)
	v_cmp_lt_u16_sdwa s[4:5], v87, v86 src0_sel:BYTE_0 src1_sel:BYTE_0
	v_cmp_lt_i32_e64 s[28:29], v89, v27
	s_or_b64 s[4:5], s[30:31], s[4:5]
	s_and_b64 s[28:29], s[28:29], s[4:5]
	s_xor_b64 s[4:5], s[28:29], -1
                                        ; implicit-def: $vgpr88
	s_and_saveexec_b64 s[30:31], s[4:5]
	s_xor_b64 s[30:31], exec, s[30:31]
; %bb.223:                              ;   in Loop: Header=BB119_2 Depth=1
	ds_read_u8 v88, v90 offset:1
; %bb.224:                              ;   in Loop: Header=BB119_2 Depth=1
	s_or_saveexec_b64 s[30:31], s[30:31]
	v_mov_b32_e32 v91, v87
	s_xor_b64 exec, exec, s[30:31]
	s_cbranch_execz .LBB119_226
; %bb.225:                              ;   in Loop: Header=BB119_2 Depth=1
	ds_read_u8 v91, v89 offset:1
	s_waitcnt lgkmcnt(1)
	v_mov_b32_e32 v88, v86
.LBB119_226:                            ;   in Loop: Header=BB119_2 Depth=1
	s_or_b64 exec, exec, s[30:31]
	v_add_u32_e32 v92, 1, v90
	v_cndmask_b32_e64 v86, v86, v87, s[28:29]
	v_add_u32_e32 v87, 1, v89
	v_cndmask_b32_e64 v92, v92, v90, s[28:29]
	v_cndmask_b32_e64 v87, v89, v87, s[28:29]
	;; [unrolled: 1-line block ×4, first 2 shown]
	v_cmp_ge_i32_e64 s[18:19], v92, v26
	s_waitcnt lgkmcnt(0)
	v_cmp_lt_u16_sdwa s[4:5], v91, v88 src0_sel:BYTE_0 src1_sel:BYTE_0
	v_cndmask_b32_sdwa v82, v82, v83, vcc dst_sel:BYTE_1 dst_unused:UNUSED_PAD src0_sel:DWORD src1_sel:DWORD
	v_cndmask_b32_e32 v83, v85, v84, vcc
	v_cmp_lt_i32_e32 vcc, v87, v27
	s_or_b64 s[4:5], s[18:19], s[4:5]
	v_perm_b32 v59, v59, v60, s92
	v_perm_b32 v58, v61, v58, s92
	;; [unrolled: 1-line block ×4, first 2 shown]
	s_and_b64 vcc, vcc, s[4:5]
	v_lshl_or_b32 v59, v58, 16, v59
	v_lshl_or_b32 v58, v2, 16, v1
	v_cndmask_b32_e64 v89, v90, v89, s[28:29]
	v_cndmask_b32_e64 v78, v78, v79, s[26:27]
	;; [unrolled: 1-line block ×9, first 2 shown]
	v_cndmask_b32_e32 v65, v92, v87, vcc
	s_barrier
	ds_write_b64 v5, v[58:59]
	s_waitcnt lgkmcnt(0)
	s_barrier
	ds_read_u8 v1, v62
	ds_read_u8 v58, v65
	;; [unrolled: 1-line block ×8, first 2 shown]
	v_lshlrev_b16_e32 v62, 8, v66
	v_cndmask_b32_e32 v63, v88, v91, vcc
	v_or_b32_sdwa v62, v64, v62 dst_sel:DWORD dst_unused:UNUSED_PAD src0_sel:BYTE_0 src1_sel:DWORD
	v_lshlrev_b16_e32 v64, 8, v74
	v_or_b32_sdwa v64, v70, v64 dst_sel:WORD_1 dst_unused:UNUSED_PAD src0_sel:BYTE_0 src1_sel:DWORD
	v_lshlrev_b16_e32 v63, 8, v63
	v_or_b32_sdwa v62, v62, v64 dst_sel:DWORD dst_unused:UNUSED_PAD src0_sel:WORD_0 src1_sel:DWORD
	v_or_b32_sdwa v64, v78, v82 dst_sel:DWORD dst_unused:UNUSED_PAD src0_sel:BYTE_0 src1_sel:DWORD
	v_or_b32_sdwa v63, v86, v63 dst_sel:WORD_1 dst_unused:UNUSED_PAD src0_sel:BYTE_0 src1_sel:DWORD
	v_or_b32_sdwa v63, v64, v63 dst_sel:DWORD dst_unused:UNUSED_PAD src0_sel:WORD_0 src1_sel:DWORD
	s_waitcnt lgkmcnt(0)
	s_barrier
	ds_write_b64 v5, v[62:63]
	v_mov_b32_e32 v63, v51
	s_waitcnt lgkmcnt(0)
	s_barrier
	s_and_saveexec_b64 s[18:19], s[14:15]
	s_cbranch_execz .LBB119_230
; %bb.227:                              ;   in Loop: Header=BB119_2 Depth=1
	s_mov_b64 s[20:21], 0
	v_mov_b32_e32 v63, v51
	v_mov_b32_e32 v62, v52
.LBB119_228:                            ;   Parent Loop BB119_2 Depth=1
                                        ; =>  This Inner Loop Header: Depth=2
	v_sub_u32_e32 v64, v62, v63
	v_lshrrev_b32_e32 v64, 1, v64
	v_add_u32_e32 v64, v64, v63
	v_add_u32_e32 v65, v13, v64
	v_xad_u32 v66, v64, -1, v53
	ds_read_u8 v65, v65
	ds_read_u8 v66, v66
	v_add_u32_e32 v67, 1, v64
	s_waitcnt lgkmcnt(0)
	v_cmp_lt_u16_e32 vcc, v66, v65
	v_cndmask_b32_e32 v62, v62, v64, vcc
	v_cndmask_b32_e32 v63, v67, v63, vcc
	v_cmp_ge_i32_e32 vcc, v63, v62
	s_or_b64 s[20:21], vcc, s[20:21]
	s_andn2_b64 exec, exec, s[20:21]
	s_cbranch_execnz .LBB119_228
; %bb.229:                              ;   in Loop: Header=BB119_2 Depth=1
	s_or_b64 exec, exec, s[20:21]
.LBB119_230:                            ;   in Loop: Header=BB119_2 Depth=1
	s_or_b64 exec, exec, s[18:19]
	v_add_u32_e32 v62, v63, v13
	v_sub_u32_e32 v63, v53, v63
	ds_read_u8 v64, v62
	ds_read_u8 v65, v63
	v_cmp_le_i32_e64 s[18:19], v28, v62
	v_cmp_gt_i32_e32 vcc, v29, v63
                                        ; implicit-def: $vgpr66
	s_waitcnt lgkmcnt(0)
	v_cmp_lt_u16_sdwa s[4:5], v65, v64 src0_sel:BYTE_0 src1_sel:BYTE_0
	s_or_b64 s[4:5], s[18:19], s[4:5]
	s_and_b64 s[18:19], vcc, s[4:5]
	s_xor_b64 s[4:5], s[18:19], -1
	s_and_saveexec_b64 s[20:21], s[4:5]
	s_xor_b64 s[20:21], exec, s[20:21]
; %bb.231:                              ;   in Loop: Header=BB119_2 Depth=1
	ds_read_u8 v66, v62 offset:1
; %bb.232:                              ;   in Loop: Header=BB119_2 Depth=1
	s_or_saveexec_b64 s[20:21], s[20:21]
	v_mov_b32_e32 v67, v65
	s_xor_b64 exec, exec, s[20:21]
	s_cbranch_execz .LBB119_234
; %bb.233:                              ;   in Loop: Header=BB119_2 Depth=1
	ds_read_u8 v67, v63 offset:1
	s_waitcnt lgkmcnt(1)
	v_mov_b32_e32 v66, v64
.LBB119_234:                            ;   in Loop: Header=BB119_2 Depth=1
	s_or_b64 exec, exec, s[20:21]
	v_add_u32_e32 v69, 1, v62
	v_add_u32_e32 v68, 1, v63
	v_cndmask_b32_e64 v69, v69, v62, s[18:19]
	v_cndmask_b32_e64 v68, v63, v68, s[18:19]
	v_cmp_ge_i32_e64 s[20:21], v69, v28
	s_waitcnt lgkmcnt(0)
	v_cmp_lt_u16_sdwa s[4:5], v67, v66 src0_sel:BYTE_0 src1_sel:BYTE_0
	v_cmp_lt_i32_e32 vcc, v68, v29
	s_or_b64 s[4:5], s[20:21], s[4:5]
	s_and_b64 s[20:21], vcc, s[4:5]
	s_xor_b64 s[4:5], s[20:21], -1
                                        ; implicit-def: $vgpr70
	s_and_saveexec_b64 s[22:23], s[4:5]
	s_xor_b64 s[22:23], exec, s[22:23]
; %bb.235:                              ;   in Loop: Header=BB119_2 Depth=1
	ds_read_u8 v70, v69 offset:1
; %bb.236:                              ;   in Loop: Header=BB119_2 Depth=1
	s_or_saveexec_b64 s[22:23], s[22:23]
	v_mov_b32_e32 v71, v67
	s_xor_b64 exec, exec, s[22:23]
	s_cbranch_execz .LBB119_238
; %bb.237:                              ;   in Loop: Header=BB119_2 Depth=1
	ds_read_u8 v71, v68 offset:1
	s_waitcnt lgkmcnt(1)
	v_mov_b32_e32 v70, v66
.LBB119_238:                            ;   in Loop: Header=BB119_2 Depth=1
	s_or_b64 exec, exec, s[22:23]
	v_add_u32_e32 v73, 1, v69
	v_add_u32_e32 v72, 1, v68
	v_cndmask_b32_e64 v73, v73, v69, s[20:21]
	v_cndmask_b32_e64 v72, v68, v72, s[20:21]
	v_cmp_ge_i32_e64 s[22:23], v73, v28
	s_waitcnt lgkmcnt(0)
	v_cmp_lt_u16_sdwa s[4:5], v71, v70 src0_sel:BYTE_0 src1_sel:BYTE_0
	v_cmp_lt_i32_e32 vcc, v72, v29
	s_or_b64 s[4:5], s[22:23], s[4:5]
	s_and_b64 s[22:23], vcc, s[4:5]
	s_xor_b64 s[4:5], s[22:23], -1
                                        ; implicit-def: $vgpr74
	s_and_saveexec_b64 s[24:25], s[4:5]
	s_xor_b64 s[24:25], exec, s[24:25]
; %bb.239:                              ;   in Loop: Header=BB119_2 Depth=1
	ds_read_u8 v74, v73 offset:1
; %bb.240:                              ;   in Loop: Header=BB119_2 Depth=1
	s_or_saveexec_b64 s[24:25], s[24:25]
	v_mov_b32_e32 v75, v71
	s_xor_b64 exec, exec, s[24:25]
	s_cbranch_execz .LBB119_242
; %bb.241:                              ;   in Loop: Header=BB119_2 Depth=1
	ds_read_u8 v75, v72 offset:1
	s_waitcnt lgkmcnt(1)
	v_mov_b32_e32 v74, v70
.LBB119_242:                            ;   in Loop: Header=BB119_2 Depth=1
	s_or_b64 exec, exec, s[24:25]
	v_add_u32_e32 v77, 1, v73
	v_add_u32_e32 v76, 1, v72
	v_cndmask_b32_e64 v77, v77, v73, s[22:23]
	v_cndmask_b32_e64 v76, v72, v76, s[22:23]
	v_cmp_ge_i32_e64 s[24:25], v77, v28
	s_waitcnt lgkmcnt(0)
	v_cmp_lt_u16_sdwa s[4:5], v75, v74 src0_sel:BYTE_0 src1_sel:BYTE_0
	v_cmp_lt_i32_e32 vcc, v76, v29
	s_or_b64 s[4:5], s[24:25], s[4:5]
	s_and_b64 s[24:25], vcc, s[4:5]
	s_xor_b64 s[4:5], s[24:25], -1
                                        ; implicit-def: $vgpr78
	s_and_saveexec_b64 s[26:27], s[4:5]
	s_xor_b64 s[26:27], exec, s[26:27]
; %bb.243:                              ;   in Loop: Header=BB119_2 Depth=1
	ds_read_u8 v78, v77 offset:1
; %bb.244:                              ;   in Loop: Header=BB119_2 Depth=1
	s_or_saveexec_b64 s[26:27], s[26:27]
	v_mov_b32_e32 v79, v75
	s_xor_b64 exec, exec, s[26:27]
	s_cbranch_execz .LBB119_246
; %bb.245:                              ;   in Loop: Header=BB119_2 Depth=1
	ds_read_u8 v79, v76 offset:1
	s_waitcnt lgkmcnt(1)
	v_mov_b32_e32 v78, v74
.LBB119_246:                            ;   in Loop: Header=BB119_2 Depth=1
	s_or_b64 exec, exec, s[26:27]
	v_add_u32_e32 v81, 1, v77
	v_add_u32_e32 v80, 1, v76
	v_cndmask_b32_e64 v81, v81, v77, s[24:25]
	v_cndmask_b32_e64 v80, v76, v80, s[24:25]
	v_cmp_ge_i32_e64 s[26:27], v81, v28
	s_waitcnt lgkmcnt(0)
	v_cmp_lt_u16_sdwa s[4:5], v79, v78 src0_sel:BYTE_0 src1_sel:BYTE_0
	v_cmp_lt_i32_e32 vcc, v80, v29
	s_or_b64 s[4:5], s[26:27], s[4:5]
	s_and_b64 s[26:27], vcc, s[4:5]
	s_xor_b64 s[4:5], s[26:27], -1
                                        ; implicit-def: $vgpr82
	s_and_saveexec_b64 s[28:29], s[4:5]
	s_xor_b64 s[28:29], exec, s[28:29]
; %bb.247:                              ;   in Loop: Header=BB119_2 Depth=1
	ds_read_u8 v82, v81 offset:1
; %bb.248:                              ;   in Loop: Header=BB119_2 Depth=1
	s_or_saveexec_b64 s[28:29], s[28:29]
	v_mov_b32_e32 v83, v79
	s_xor_b64 exec, exec, s[28:29]
	s_cbranch_execz .LBB119_250
; %bb.249:                              ;   in Loop: Header=BB119_2 Depth=1
	ds_read_u8 v83, v80 offset:1
	s_waitcnt lgkmcnt(1)
	v_mov_b32_e32 v82, v78
.LBB119_250:                            ;   in Loop: Header=BB119_2 Depth=1
	s_or_b64 exec, exec, s[28:29]
	v_add_u32_e32 v85, 1, v81
	v_add_u32_e32 v84, 1, v80
	v_cndmask_b32_e64 v85, v85, v81, s[26:27]
	v_cndmask_b32_e64 v84, v80, v84, s[26:27]
	v_cmp_ge_i32_e64 s[28:29], v85, v28
	s_waitcnt lgkmcnt(0)
	v_cmp_lt_u16_sdwa s[4:5], v83, v82 src0_sel:BYTE_0 src1_sel:BYTE_0
	v_cmp_lt_i32_e32 vcc, v84, v29
	s_or_b64 s[4:5], s[28:29], s[4:5]
	s_and_b64 vcc, vcc, s[4:5]
	s_xor_b64 s[4:5], vcc, -1
                                        ; implicit-def: $vgpr86
	s_and_saveexec_b64 s[28:29], s[4:5]
	s_xor_b64 s[28:29], exec, s[28:29]
; %bb.251:                              ;   in Loop: Header=BB119_2 Depth=1
	ds_read_u8 v86, v85 offset:1
; %bb.252:                              ;   in Loop: Header=BB119_2 Depth=1
	s_or_saveexec_b64 s[28:29], s[28:29]
	v_mov_b32_e32 v87, v83
	s_xor_b64 exec, exec, s[28:29]
	s_cbranch_execz .LBB119_254
; %bb.253:                              ;   in Loop: Header=BB119_2 Depth=1
	ds_read_u8 v87, v84 offset:1
	s_waitcnt lgkmcnt(1)
	v_mov_b32_e32 v86, v82
.LBB119_254:                            ;   in Loop: Header=BB119_2 Depth=1
	s_or_b64 exec, exec, s[28:29]
	v_add_u32_e32 v90, 1, v85
	v_add_u32_e32 v88, 1, v84
	v_cndmask_b32_e32 v90, v90, v85, vcc
	v_cndmask_b32_e32 v89, v84, v88, vcc
	v_cmp_ge_i32_e64 s[30:31], v90, v28
	s_waitcnt lgkmcnt(0)
	v_cmp_lt_u16_sdwa s[4:5], v87, v86 src0_sel:BYTE_0 src1_sel:BYTE_0
	v_cmp_lt_i32_e64 s[28:29], v89, v29
	s_or_b64 s[4:5], s[30:31], s[4:5]
	s_and_b64 s[28:29], s[28:29], s[4:5]
	s_xor_b64 s[4:5], s[28:29], -1
                                        ; implicit-def: $vgpr88
	s_and_saveexec_b64 s[30:31], s[4:5]
	s_xor_b64 s[30:31], exec, s[30:31]
; %bb.255:                              ;   in Loop: Header=BB119_2 Depth=1
	ds_read_u8 v88, v90 offset:1
; %bb.256:                              ;   in Loop: Header=BB119_2 Depth=1
	s_or_saveexec_b64 s[30:31], s[30:31]
	v_mov_b32_e32 v91, v87
	s_xor_b64 exec, exec, s[30:31]
	s_cbranch_execz .LBB119_258
; %bb.257:                              ;   in Loop: Header=BB119_2 Depth=1
	ds_read_u8 v91, v89 offset:1
	s_waitcnt lgkmcnt(1)
	v_mov_b32_e32 v88, v86
.LBB119_258:                            ;   in Loop: Header=BB119_2 Depth=1
	s_or_b64 exec, exec, s[30:31]
	v_add_u32_e32 v92, 1, v90
	v_cndmask_b32_e64 v86, v86, v87, s[28:29]
	v_add_u32_e32 v87, 1, v89
	v_cndmask_b32_e64 v92, v92, v90, s[28:29]
	v_cndmask_b32_e64 v87, v89, v87, s[28:29]
	;; [unrolled: 1-line block ×4, first 2 shown]
	v_cmp_ge_i32_e64 s[18:19], v92, v28
	s_waitcnt lgkmcnt(0)
	v_cmp_lt_u16_sdwa s[4:5], v91, v88 src0_sel:BYTE_0 src1_sel:BYTE_0
	v_cndmask_b32_sdwa v82, v82, v83, vcc dst_sel:BYTE_1 dst_unused:UNUSED_PAD src0_sel:DWORD src1_sel:DWORD
	v_cndmask_b32_e32 v83, v85, v84, vcc
	v_cmp_lt_i32_e32 vcc, v87, v29
	s_or_b64 s[4:5], s[18:19], s[4:5]
	v_perm_b32 v59, v59, v60, s92
	v_perm_b32 v58, v61, v58, s92
	;; [unrolled: 1-line block ×4, first 2 shown]
	s_and_b64 vcc, vcc, s[4:5]
	v_lshl_or_b32 v59, v58, 16, v59
	v_lshl_or_b32 v58, v2, 16, v1
	v_cndmask_b32_e64 v89, v90, v89, s[28:29]
	v_cndmask_b32_e64 v78, v78, v79, s[26:27]
	v_cndmask_b32_e64 v79, v81, v80, s[26:27]
	v_cndmask_b32_e64 v74, v74, v75, s[24:25]
	v_cndmask_b32_e64 v75, v77, v76, s[24:25]
	v_cndmask_b32_e64 v70, v70, v71, s[22:23]
	v_cndmask_b32_e64 v71, v73, v72, s[22:23]
	v_cndmask_b32_e64 v66, v66, v67, s[20:21]
	v_cndmask_b32_e64 v67, v69, v68, s[20:21]
	v_cndmask_b32_e32 v65, v92, v87, vcc
	s_barrier
	ds_write_b64 v5, v[58:59]
	s_waitcnt lgkmcnt(0)
	s_barrier
	ds_read_u8 v1, v62
	ds_read_u8 v58, v65
	;; [unrolled: 1-line block ×8, first 2 shown]
	v_lshlrev_b16_e32 v62, 8, v66
	v_cndmask_b32_e32 v63, v88, v91, vcc
	v_or_b32_sdwa v62, v64, v62 dst_sel:DWORD dst_unused:UNUSED_PAD src0_sel:BYTE_0 src1_sel:DWORD
	v_lshlrev_b16_e32 v64, 8, v74
	v_or_b32_sdwa v64, v70, v64 dst_sel:WORD_1 dst_unused:UNUSED_PAD src0_sel:BYTE_0 src1_sel:DWORD
	v_lshlrev_b16_e32 v63, 8, v63
	v_or_b32_sdwa v62, v62, v64 dst_sel:DWORD dst_unused:UNUSED_PAD src0_sel:WORD_0 src1_sel:DWORD
	v_or_b32_sdwa v64, v78, v82 dst_sel:DWORD dst_unused:UNUSED_PAD src0_sel:BYTE_0 src1_sel:DWORD
	v_or_b32_sdwa v63, v86, v63 dst_sel:WORD_1 dst_unused:UNUSED_PAD src0_sel:BYTE_0 src1_sel:DWORD
	v_or_b32_sdwa v63, v64, v63 dst_sel:DWORD dst_unused:UNUSED_PAD src0_sel:WORD_0 src1_sel:DWORD
	s_waitcnt lgkmcnt(0)
	s_barrier
	ds_write_b64 v5, v[62:63]
	v_mov_b32_e32 v62, v55
	s_waitcnt lgkmcnt(0)
	s_barrier
	s_and_saveexec_b64 s[18:19], s[16:17]
	s_cbranch_execz .LBB119_262
; %bb.259:                              ;   in Loop: Header=BB119_2 Depth=1
	s_mov_b64 s[20:21], 0
	v_mov_b32_e32 v62, v55
	v_mov_b32_e32 v63, v56
.LBB119_260:                            ;   Parent Loop BB119_2 Depth=1
                                        ; =>  This Inner Loop Header: Depth=2
	v_sub_u32_e32 v64, v63, v62
	v_lshrrev_b32_e32 v64, 1, v64
	v_add_u32_e32 v64, v64, v62
	v_xad_u32 v65, v64, -1, v57
	ds_read_u8 v66, v64
	ds_read_u8 v65, v65
	v_add_u32_e32 v67, 1, v64
	s_waitcnt lgkmcnt(0)
	v_cmp_lt_u16_e32 vcc, v65, v66
	v_cndmask_b32_e32 v63, v63, v64, vcc
	v_cndmask_b32_e32 v62, v67, v62, vcc
	v_cmp_ge_i32_e32 vcc, v62, v63
	s_or_b64 s[20:21], vcc, s[20:21]
	s_andn2_b64 exec, exec, s[20:21]
	s_cbranch_execnz .LBB119_260
; %bb.261:                              ;   in Loop: Header=BB119_2 Depth=1
	s_or_b64 exec, exec, s[20:21]
.LBB119_262:                            ;   in Loop: Header=BB119_2 Depth=1
	s_or_b64 exec, exec, s[18:19]
	v_sub_u32_e32 v63, v57, v62
	ds_read_u8 v64, v62
	ds_read_u8 v65, v63
	v_cmp_le_i32_e64 s[18:19], v54, v62
	v_cmp_gt_i32_e32 vcc, s3, v63
                                        ; implicit-def: $vgpr66
	s_waitcnt lgkmcnt(0)
	v_cmp_lt_u16_sdwa s[4:5], v65, v64 src0_sel:BYTE_0 src1_sel:BYTE_0
	s_or_b64 s[4:5], s[18:19], s[4:5]
	s_and_b64 vcc, vcc, s[4:5]
	s_xor_b64 s[4:5], vcc, -1
	s_and_saveexec_b64 s[18:19], s[4:5]
	s_xor_b64 s[18:19], exec, s[18:19]
; %bb.263:                              ;   in Loop: Header=BB119_2 Depth=1
	ds_read_u8 v66, v62 offset:1
; %bb.264:                              ;   in Loop: Header=BB119_2 Depth=1
	s_or_saveexec_b64 s[18:19], s[18:19]
	v_mov_b32_e32 v67, v65
	s_xor_b64 exec, exec, s[18:19]
	s_cbranch_execz .LBB119_266
; %bb.265:                              ;   in Loop: Header=BB119_2 Depth=1
	ds_read_u8 v67, v63 offset:1
	s_waitcnt lgkmcnt(1)
	v_mov_b32_e32 v66, v64
.LBB119_266:                            ;   in Loop: Header=BB119_2 Depth=1
	s_or_b64 exec, exec, s[18:19]
	v_add_u32_e32 v69, 1, v62
	v_add_u32_e32 v68, 1, v63
	v_cndmask_b32_e32 v69, v69, v62, vcc
	v_cndmask_b32_e32 v68, v63, v68, vcc
	v_cmp_ge_i32_e64 s[20:21], v69, v54
	s_waitcnt lgkmcnt(0)
	v_cmp_lt_u16_sdwa s[4:5], v67, v66 src0_sel:BYTE_0 src1_sel:BYTE_0
	v_cmp_gt_i32_e64 s[18:19], s3, v68
	s_or_b64 s[4:5], s[20:21], s[4:5]
	s_and_b64 s[18:19], s[18:19], s[4:5]
	s_xor_b64 s[4:5], s[18:19], -1
                                        ; implicit-def: $vgpr70
	s_and_saveexec_b64 s[20:21], s[4:5]
	s_xor_b64 s[20:21], exec, s[20:21]
; %bb.267:                              ;   in Loop: Header=BB119_2 Depth=1
	ds_read_u8 v70, v69 offset:1
; %bb.268:                              ;   in Loop: Header=BB119_2 Depth=1
	s_or_saveexec_b64 s[20:21], s[20:21]
	v_mov_b32_e32 v71, v67
	s_xor_b64 exec, exec, s[20:21]
	s_cbranch_execz .LBB119_270
; %bb.269:                              ;   in Loop: Header=BB119_2 Depth=1
	ds_read_u8 v71, v68 offset:1
	s_waitcnt lgkmcnt(1)
	v_mov_b32_e32 v70, v66
.LBB119_270:                            ;   in Loop: Header=BB119_2 Depth=1
	s_or_b64 exec, exec, s[20:21]
	v_add_u32_e32 v73, 1, v69
	v_add_u32_e32 v72, 1, v68
	v_cndmask_b32_e64 v73, v73, v69, s[18:19]
	v_cndmask_b32_e64 v72, v68, v72, s[18:19]
	v_cmp_ge_i32_e64 s[22:23], v73, v54
	s_waitcnt lgkmcnt(0)
	v_cmp_lt_u16_sdwa s[4:5], v71, v70 src0_sel:BYTE_0 src1_sel:BYTE_0
	v_cmp_gt_i32_e64 s[20:21], s3, v72
	s_or_b64 s[4:5], s[22:23], s[4:5]
	s_and_b64 s[20:21], s[20:21], s[4:5]
	s_xor_b64 s[4:5], s[20:21], -1
                                        ; implicit-def: $vgpr74
	s_and_saveexec_b64 s[22:23], s[4:5]
	s_xor_b64 s[22:23], exec, s[22:23]
; %bb.271:                              ;   in Loop: Header=BB119_2 Depth=1
	ds_read_u8 v74, v73 offset:1
; %bb.272:                              ;   in Loop: Header=BB119_2 Depth=1
	s_or_saveexec_b64 s[22:23], s[22:23]
	v_mov_b32_e32 v75, v71
	s_xor_b64 exec, exec, s[22:23]
	s_cbranch_execz .LBB119_274
; %bb.273:                              ;   in Loop: Header=BB119_2 Depth=1
	ds_read_u8 v75, v72 offset:1
	s_waitcnt lgkmcnt(1)
	v_mov_b32_e32 v74, v70
.LBB119_274:                            ;   in Loop: Header=BB119_2 Depth=1
	s_or_b64 exec, exec, s[22:23]
	v_add_u32_e32 v77, 1, v73
	v_add_u32_e32 v76, 1, v72
	v_cndmask_b32_e64 v77, v77, v73, s[20:21]
	v_cndmask_b32_e64 v76, v72, v76, s[20:21]
	v_cmp_ge_i32_e64 s[24:25], v77, v54
	s_waitcnt lgkmcnt(0)
	v_cmp_lt_u16_sdwa s[4:5], v75, v74 src0_sel:BYTE_0 src1_sel:BYTE_0
	v_cmp_gt_i32_e64 s[22:23], s3, v76
	s_or_b64 s[4:5], s[24:25], s[4:5]
	s_and_b64 s[22:23], s[22:23], s[4:5]
	s_xor_b64 s[4:5], s[22:23], -1
                                        ; implicit-def: $vgpr78
	s_and_saveexec_b64 s[24:25], s[4:5]
	s_xor_b64 s[24:25], exec, s[24:25]
; %bb.275:                              ;   in Loop: Header=BB119_2 Depth=1
	ds_read_u8 v78, v77 offset:1
; %bb.276:                              ;   in Loop: Header=BB119_2 Depth=1
	s_or_saveexec_b64 s[24:25], s[24:25]
	v_mov_b32_e32 v79, v75
	s_xor_b64 exec, exec, s[24:25]
	s_cbranch_execz .LBB119_278
; %bb.277:                              ;   in Loop: Header=BB119_2 Depth=1
	ds_read_u8 v79, v76 offset:1
	s_waitcnt lgkmcnt(1)
	v_mov_b32_e32 v78, v74
.LBB119_278:                            ;   in Loop: Header=BB119_2 Depth=1
	s_or_b64 exec, exec, s[24:25]
	v_add_u32_e32 v81, 1, v77
	v_add_u32_e32 v80, 1, v76
	v_cndmask_b32_e64 v81, v81, v77, s[22:23]
	v_cndmask_b32_e64 v80, v76, v80, s[22:23]
	v_cmp_ge_i32_e64 s[26:27], v81, v54
	s_waitcnt lgkmcnt(0)
	v_cmp_lt_u16_sdwa s[4:5], v79, v78 src0_sel:BYTE_0 src1_sel:BYTE_0
	v_cmp_gt_i32_e64 s[24:25], s3, v80
	s_or_b64 s[4:5], s[26:27], s[4:5]
	s_and_b64 s[24:25], s[24:25], s[4:5]
	s_xor_b64 s[4:5], s[24:25], -1
                                        ; implicit-def: $vgpr82
	s_and_saveexec_b64 s[26:27], s[4:5]
	s_xor_b64 s[26:27], exec, s[26:27]
; %bb.279:                              ;   in Loop: Header=BB119_2 Depth=1
	ds_read_u8 v82, v81 offset:1
; %bb.280:                              ;   in Loop: Header=BB119_2 Depth=1
	s_or_saveexec_b64 s[26:27], s[26:27]
	v_mov_b32_e32 v83, v79
	s_xor_b64 exec, exec, s[26:27]
	s_cbranch_execz .LBB119_282
; %bb.281:                              ;   in Loop: Header=BB119_2 Depth=1
	ds_read_u8 v83, v80 offset:1
	s_waitcnt lgkmcnt(1)
	v_mov_b32_e32 v82, v78
.LBB119_282:                            ;   in Loop: Header=BB119_2 Depth=1
	s_or_b64 exec, exec, s[26:27]
	v_add_u32_e32 v85, 1, v81
	v_add_u32_e32 v84, 1, v80
	v_cndmask_b32_e64 v85, v85, v81, s[24:25]
	v_cndmask_b32_e64 v84, v80, v84, s[24:25]
	v_cmp_ge_i32_e64 s[28:29], v85, v54
	s_waitcnt lgkmcnt(0)
	v_cmp_lt_u16_sdwa s[4:5], v83, v82 src0_sel:BYTE_0 src1_sel:BYTE_0
	v_cmp_gt_i32_e64 s[26:27], s3, v84
	s_or_b64 s[4:5], s[28:29], s[4:5]
	s_and_b64 s[26:27], s[26:27], s[4:5]
	s_xor_b64 s[4:5], s[26:27], -1
                                        ; implicit-def: $vgpr86
	s_and_saveexec_b64 s[28:29], s[4:5]
	s_xor_b64 s[28:29], exec, s[28:29]
; %bb.283:                              ;   in Loop: Header=BB119_2 Depth=1
	ds_read_u8 v86, v85 offset:1
; %bb.284:                              ;   in Loop: Header=BB119_2 Depth=1
	s_or_saveexec_b64 s[28:29], s[28:29]
	v_mov_b32_e32 v87, v83
	s_xor_b64 exec, exec, s[28:29]
	s_cbranch_execz .LBB119_286
; %bb.285:                              ;   in Loop: Header=BB119_2 Depth=1
	ds_read_u8 v87, v84 offset:1
	s_waitcnt lgkmcnt(1)
	v_mov_b32_e32 v86, v82
.LBB119_286:                            ;   in Loop: Header=BB119_2 Depth=1
	s_or_b64 exec, exec, s[28:29]
	v_add_u32_e32 v89, 1, v85
	v_add_u32_e32 v88, 1, v84
	v_cndmask_b32_e64 v92, v89, v85, s[26:27]
	v_cndmask_b32_e64 v88, v84, v88, s[26:27]
	v_cmp_ge_i32_e64 s[30:31], v92, v54
	s_waitcnt lgkmcnt(0)
	v_cmp_lt_u16_sdwa s[4:5], v87, v86 src0_sel:BYTE_0 src1_sel:BYTE_0
	v_cmp_gt_i32_e64 s[28:29], s3, v88
	s_or_b64 s[4:5], s[30:31], s[4:5]
	s_and_b64 s[28:29], s[28:29], s[4:5]
	s_xor_b64 s[4:5], s[28:29], -1
                                        ; implicit-def: $vgpr91
                                        ; implicit-def: $vgpr90
	s_and_saveexec_b64 s[30:31], s[4:5]
	s_xor_b64 s[30:31], exec, s[30:31]
; %bb.287:                              ;   in Loop: Header=BB119_2 Depth=1
	ds_read_u8 v91, v92 offset:1
	v_add_u32_e32 v90, 1, v92
; %bb.288:                              ;   in Loop: Header=BB119_2 Depth=1
	s_or_saveexec_b64 s[30:31], s[30:31]
	v_mov_b32_e32 v89, v92
	v_mov_b32_e32 v93, v87
	s_xor_b64 exec, exec, s[30:31]
	s_cbranch_execz .LBB119_1
; %bb.289:                              ;   in Loop: Header=BB119_2 Depth=1
	ds_read_u8 v93, v88 offset:1
	s_waitcnt lgkmcnt(1)
	v_add_u32_e32 v91, 1, v88
	v_mov_b32_e32 v89, v88
	v_mov_b32_e32 v90, v92
	;; [unrolled: 1-line block ×4, first 2 shown]
	s_branch .LBB119_1
.LBB119_290:
	v_readlane_b32 s0, v94, 1
	v_readlane_b32 s2, v94, 3
	;; [unrolled: 1-line block ×5, first 2 shown]
	s_add_u32 s0, s2, s0
	s_addc_u32 s1, s3, 0
	v_mov_b32_e32 v1, s1
	v_add_co_u32_e32 v0, vcc, s0, v0
	v_add_u16_e32 v2, v64, v58
	v_addc_co_u32_e32 v1, vcc, 0, v1, vcc
	v_add_u16_e32 v3, v65, v61
	v_add_u16_e32 v4, v66, v63
	;; [unrolled: 1-line block ×7, first 2 shown]
	global_store_byte v[0:1], v2, off
	global_store_byte v[0:1], v3, off offset:512
	global_store_byte v[0:1], v4, off offset:1024
	;; [unrolled: 1-line block ×7, first 2 shown]
	s_endpgm
	.section	.rodata,"a",@progbits
	.p2align	6, 0x0
	.amdhsa_kernel _Z17sort_pairs_kernelIhLj512ELj8EN10test_utils4lessELj10EEvPKT_PS2_T2_
		.amdhsa_group_segment_fixed_size 4097
		.amdhsa_private_segment_fixed_size 0
		.amdhsa_kernarg_size 20
		.amdhsa_user_sgpr_count 6
		.amdhsa_user_sgpr_private_segment_buffer 1
		.amdhsa_user_sgpr_dispatch_ptr 0
		.amdhsa_user_sgpr_queue_ptr 0
		.amdhsa_user_sgpr_kernarg_segment_ptr 1
		.amdhsa_user_sgpr_dispatch_id 0
		.amdhsa_user_sgpr_flat_scratch_init 0
		.amdhsa_user_sgpr_private_segment_size 0
		.amdhsa_uses_dynamic_stack 0
		.amdhsa_system_sgpr_private_segment_wavefront_offset 0
		.amdhsa_system_sgpr_workgroup_id_x 1
		.amdhsa_system_sgpr_workgroup_id_y 0
		.amdhsa_system_sgpr_workgroup_id_z 0
		.amdhsa_system_sgpr_workgroup_info 0
		.amdhsa_system_vgpr_workitem_id 0
		.amdhsa_next_free_vgpr 95
		.amdhsa_next_free_sgpr 96
		.amdhsa_reserve_vcc 1
		.amdhsa_reserve_flat_scratch 0
		.amdhsa_float_round_mode_32 0
		.amdhsa_float_round_mode_16_64 0
		.amdhsa_float_denorm_mode_32 3
		.amdhsa_float_denorm_mode_16_64 3
		.amdhsa_dx10_clamp 1
		.amdhsa_ieee_mode 1
		.amdhsa_fp16_overflow 0
		.amdhsa_exception_fp_ieee_invalid_op 0
		.amdhsa_exception_fp_denorm_src 0
		.amdhsa_exception_fp_ieee_div_zero 0
		.amdhsa_exception_fp_ieee_overflow 0
		.amdhsa_exception_fp_ieee_underflow 0
		.amdhsa_exception_fp_ieee_inexact 0
		.amdhsa_exception_int_div_zero 0
	.end_amdhsa_kernel
	.section	.text._Z17sort_pairs_kernelIhLj512ELj8EN10test_utils4lessELj10EEvPKT_PS2_T2_,"axG",@progbits,_Z17sort_pairs_kernelIhLj512ELj8EN10test_utils4lessELj10EEvPKT_PS2_T2_,comdat
.Lfunc_end119:
	.size	_Z17sort_pairs_kernelIhLj512ELj8EN10test_utils4lessELj10EEvPKT_PS2_T2_, .Lfunc_end119-_Z17sort_pairs_kernelIhLj512ELj8EN10test_utils4lessELj10EEvPKT_PS2_T2_
                                        ; -- End function
	.set _Z17sort_pairs_kernelIhLj512ELj8EN10test_utils4lessELj10EEvPKT_PS2_T2_.num_vgpr, 95
	.set _Z17sort_pairs_kernelIhLj512ELj8EN10test_utils4lessELj10EEvPKT_PS2_T2_.num_agpr, 0
	.set _Z17sort_pairs_kernelIhLj512ELj8EN10test_utils4lessELj10EEvPKT_PS2_T2_.numbered_sgpr, 96
	.set _Z17sort_pairs_kernelIhLj512ELj8EN10test_utils4lessELj10EEvPKT_PS2_T2_.num_named_barrier, 0
	.set _Z17sort_pairs_kernelIhLj512ELj8EN10test_utils4lessELj10EEvPKT_PS2_T2_.private_seg_size, 0
	.set _Z17sort_pairs_kernelIhLj512ELj8EN10test_utils4lessELj10EEvPKT_PS2_T2_.uses_vcc, 1
	.set _Z17sort_pairs_kernelIhLj512ELj8EN10test_utils4lessELj10EEvPKT_PS2_T2_.uses_flat_scratch, 0
	.set _Z17sort_pairs_kernelIhLj512ELj8EN10test_utils4lessELj10EEvPKT_PS2_T2_.has_dyn_sized_stack, 0
	.set _Z17sort_pairs_kernelIhLj512ELj8EN10test_utils4lessELj10EEvPKT_PS2_T2_.has_recursion, 0
	.set _Z17sort_pairs_kernelIhLj512ELj8EN10test_utils4lessELj10EEvPKT_PS2_T2_.has_indirect_call, 0
	.section	.AMDGPU.csdata,"",@progbits
; Kernel info:
; codeLenInByte = 14548
; TotalNumSgprs: 100
; NumVgprs: 95
; ScratchSize: 0
; MemoryBound: 0
; FloatMode: 240
; IeeeMode: 1
; LDSByteSize: 4097 bytes/workgroup (compile time only)
; SGPRBlocks: 12
; VGPRBlocks: 23
; NumSGPRsForWavesPerEU: 100
; NumVGPRsForWavesPerEU: 95
; Occupancy: 2
; WaveLimiterHint : 1
; COMPUTE_PGM_RSRC2:SCRATCH_EN: 0
; COMPUTE_PGM_RSRC2:USER_SGPR: 6
; COMPUTE_PGM_RSRC2:TRAP_HANDLER: 0
; COMPUTE_PGM_RSRC2:TGID_X_EN: 1
; COMPUTE_PGM_RSRC2:TGID_Y_EN: 0
; COMPUTE_PGM_RSRC2:TGID_Z_EN: 0
; COMPUTE_PGM_RSRC2:TIDIG_COMP_CNT: 0
	.section	.text._Z16sort_keys_kernelIxLj64ELj1EN10test_utils4lessELj10EEvPKT_PS2_T2_,"axG",@progbits,_Z16sort_keys_kernelIxLj64ELj1EN10test_utils4lessELj10EEvPKT_PS2_T2_,comdat
	.protected	_Z16sort_keys_kernelIxLj64ELj1EN10test_utils4lessELj10EEvPKT_PS2_T2_ ; -- Begin function _Z16sort_keys_kernelIxLj64ELj1EN10test_utils4lessELj10EEvPKT_PS2_T2_
	.globl	_Z16sort_keys_kernelIxLj64ELj1EN10test_utils4lessELj10EEvPKT_PS2_T2_
	.p2align	8
	.type	_Z16sort_keys_kernelIxLj64ELj1EN10test_utils4lessELj10EEvPKT_PS2_T2_,@function
_Z16sort_keys_kernelIxLj64ELj1EN10test_utils4lessELj10EEvPKT_PS2_T2_: ; @_Z16sort_keys_kernelIxLj64ELj1EN10test_utils4lessELj10EEvPKT_PS2_T2_
; %bb.0:
	s_load_dwordx4 s[16:19], s[4:5], 0x0
	s_lshl_b32 s22, s6, 6
	s_mov_b32 s23, 0
	s_lshl_b64 s[20:21], s[22:23], 3
	v_lshlrev_b32_e32 v3, 3, v0
	s_waitcnt lgkmcnt(0)
	s_add_u32 s0, s16, s20
	s_addc_u32 s1, s17, s21
	global_load_dwordx2 v[1:2], v3, s[0:1]
	v_and_b32_e32 v14, 60, v0
	v_and_b32_e32 v20, 56, v0
	;; [unrolled: 1-line block ×4, first 2 shown]
	v_or_b32_e32 v17, 2, v14
	v_add_u32_e32 v4, 4, v14
	v_or_b32_e32 v23, 4, v20
	v_add_u32_e32 v5, 8, v20
	;; [unrolled: 2-line block ×4, first 2 shown]
	v_and_b32_e32 v18, 3, v0
	v_sub_u32_e32 v15, v4, v17
	v_and_b32_e32 v24, 7, v0
	v_sub_u32_e32 v21, v5, v23
	v_and_b32_e32 v30, 15, v0
	v_sub_u32_e32 v27, v6, v29
	v_and_b32_e32 v36, 31, v0
	v_sub_u32_e32 v33, v7, v35
	v_and_b32_e32 v10, 62, v0
	v_sub_u32_e32 v16, v18, v15
	v_sub_u32_e32 v22, v24, v21
	v_sub_u32_e32 v28, v30, v27
	;; [unrolled: 1-line block ×3, first 2 shown]
	v_or_b32_e32 v8, 1, v10
	v_and_b32_e32 v40, 1, v0
	v_cmp_ge_i32_e64 s[0:1], v18, v15
	v_cmp_ge_i32_e64 s[2:3], v24, v21
	;; [unrolled: 1-line block ×4, first 2 shown]
	v_sub_u32_e32 v9, v8, v10
	v_add_u32_e32 v11, -1, v40
	v_cmp_lt_i32_e32 vcc, 0, v40
	v_sub_u32_e32 v13, v17, v14
	v_cndmask_b32_e64 v15, 0, v16, s[0:1]
	v_lshlrev_b32_e32 v16, 3, v18
	v_sub_u32_e32 v19, v23, v20
	v_cndmask_b32_e64 v21, 0, v22, s[2:3]
	v_lshlrev_b32_e32 v22, 3, v24
	;; [unrolled: 3-line block ×4, first 2 shown]
	v_cndmask_b32_e32 v11, 0, v11, vcc
	v_min_i32_e32 v12, v40, v9
	v_lshl_add_u32 v16, v17, 3, v16
	v_add_u32_e32 v17, v17, v18
	v_min_i32_e32 v18, v18, v13
	v_lshl_add_u32 v22, v23, 3, v22
	v_add_u32_e32 v23, v23, v24
	;; [unrolled: 3-line block ×4, first 2 shown]
	v_min_i32_e32 v36, v36, v31
	v_sub_u32_e64 v37, v0, 32 clamp
	v_min_i32_e32 v38, 32, v0
	v_add_u32_e32 v39, v8, v40
	v_lshlrev_b32_e32 v40, 3, v40
	v_lshlrev_b32_e32 v10, 3, v10
	v_cmp_lt_i32_e32 vcc, v11, v12
	v_lshlrev_b32_e32 v14, 3, v14
	v_cmp_lt_i32_e64 s[0:1], v15, v18
	v_lshlrev_b32_e32 v20, 3, v20
	v_cmp_lt_i32_e64 s[2:3], v21, v24
	;; [unrolled: 2-line block ×4, first 2 shown]
	v_cmp_lt_i32_e64 s[8:9], v37, v38
	v_lshl_add_u32 v40, v8, 3, v40
	v_add_u32_e32 v41, 0x100, v3
	s_branch .LBB120_2
.LBB120_1:                              ;   in Loop: Header=BB120_2 Depth=1
	s_or_b64 exec, exec, s[12:13]
	v_add_u32_e32 v2, 32, v0
	v_sub_u32_e32 v2, v2, v1
	v_lshlrev_b32_e32 v42, 3, v1
	v_lshlrev_b32_e32 v44, 3, v2
	ds_read_b64 v[42:43], v42
	ds_read_b64 v[44:45], v44
	v_cmp_le_i32_e64 s[10:11], 32, v1
	v_cmp_gt_i32_e64 s[14:15], 64, v2
	s_add_i32 s23, s23, 1
	s_waitcnt lgkmcnt(0)
	v_cmp_lt_i64_e64 s[12:13], v[44:45], v[42:43]
	s_or_b64 s[10:11], s[10:11], s[12:13]
	s_and_b64 s[10:11], s[14:15], s[10:11]
	v_cndmask_b32_e64 v2, v43, v45, s[10:11]
	s_cmp_eq_u32 s23, 10
	v_cndmask_b32_e64 v1, v42, v44, s[10:11]
	s_cbranch_scc1 .LBB120_26
.LBB120_2:                              ; =>This Loop Header: Depth=1
                                        ;     Child Loop BB120_4 Depth 2
                                        ;     Child Loop BB120_8 Depth 2
	;; [unrolled: 1-line block ×6, first 2 shown]
	s_waitcnt vmcnt(0)
	; wave barrier
	ds_write_b64 v3, v[1:2]
	v_mov_b32_e32 v1, v11
	s_waitcnt lgkmcnt(0)
	; wave barrier
	s_and_saveexec_b64 s[12:13], vcc
	s_cbranch_execz .LBB120_6
; %bb.3:                                ;   in Loop: Header=BB120_2 Depth=1
	s_mov_b64 s[14:15], 0
	v_mov_b32_e32 v1, v11
	v_mov_b32_e32 v2, v12
.LBB120_4:                              ;   Parent Loop BB120_2 Depth=1
                                        ; =>  This Inner Loop Header: Depth=2
	v_sub_u32_e32 v42, v2, v1
	v_lshrrev_b32_e32 v42, 1, v42
	v_add_u32_e32 v46, v42, v1
	v_not_b32_e32 v43, v46
	v_lshl_add_u32 v42, v46, 3, v10
	v_lshl_add_u32 v44, v43, 3, v40
	ds_read_b64 v[42:43], v42
	ds_read_b64 v[44:45], v44
	v_add_u32_e32 v47, 1, v46
	s_waitcnt lgkmcnt(0)
	v_cmp_lt_i64_e64 s[10:11], v[44:45], v[42:43]
	v_cndmask_b32_e64 v2, v2, v46, s[10:11]
	v_cndmask_b32_e64 v1, v47, v1, s[10:11]
	v_cmp_ge_i32_e64 s[10:11], v1, v2
	s_or_b64 s[14:15], s[10:11], s[14:15]
	s_andn2_b64 exec, exec, s[14:15]
	s_cbranch_execnz .LBB120_4
; %bb.5:                                ;   in Loop: Header=BB120_2 Depth=1
	s_or_b64 exec, exec, s[14:15]
.LBB120_6:                              ;   in Loop: Header=BB120_2 Depth=1
	s_or_b64 exec, exec, s[12:13]
	v_sub_u32_e32 v2, v39, v1
	v_lshl_add_u32 v42, v1, 3, v10
	v_lshlrev_b32_e32 v44, 3, v2
	ds_read_b64 v[42:43], v42
	ds_read_b64 v[44:45], v44
	v_cmp_ge_i32_e64 s[10:11], v1, v9
	v_cmp_ge_i32_e64 s[14:15], v8, v2
	s_waitcnt lgkmcnt(0)
	; wave barrier
	v_cmp_lt_i64_e64 s[12:13], v[44:45], v[42:43]
	s_or_b64 s[10:11], s[10:11], s[12:13]
	s_and_b64 s[10:11], s[14:15], s[10:11]
	v_cndmask_b32_e64 v2, v43, v45, s[10:11]
	v_cndmask_b32_e64 v1, v42, v44, s[10:11]
	ds_write_b64 v3, v[1:2]
	v_mov_b32_e32 v1, v15
	s_waitcnt lgkmcnt(0)
	; wave barrier
	s_and_saveexec_b64 s[12:13], s[0:1]
	s_cbranch_execz .LBB120_10
; %bb.7:                                ;   in Loop: Header=BB120_2 Depth=1
	s_mov_b64 s[14:15], 0
	v_mov_b32_e32 v1, v15
	v_mov_b32_e32 v2, v18
.LBB120_8:                              ;   Parent Loop BB120_2 Depth=1
                                        ; =>  This Inner Loop Header: Depth=2
	v_sub_u32_e32 v42, v2, v1
	v_lshrrev_b32_e32 v42, 1, v42
	v_add_u32_e32 v46, v42, v1
	v_not_b32_e32 v43, v46
	v_lshl_add_u32 v42, v46, 3, v14
	v_lshl_add_u32 v44, v43, 3, v16
	ds_read_b64 v[42:43], v42
	ds_read_b64 v[44:45], v44
	v_add_u32_e32 v47, 1, v46
	s_waitcnt lgkmcnt(0)
	v_cmp_lt_i64_e64 s[10:11], v[44:45], v[42:43]
	v_cndmask_b32_e64 v2, v2, v46, s[10:11]
	v_cndmask_b32_e64 v1, v47, v1, s[10:11]
	v_cmp_ge_i32_e64 s[10:11], v1, v2
	s_or_b64 s[14:15], s[10:11], s[14:15]
	s_andn2_b64 exec, exec, s[14:15]
	s_cbranch_execnz .LBB120_8
; %bb.9:                                ;   in Loop: Header=BB120_2 Depth=1
	s_or_b64 exec, exec, s[14:15]
.LBB120_10:                             ;   in Loop: Header=BB120_2 Depth=1
	s_or_b64 exec, exec, s[12:13]
	v_sub_u32_e32 v2, v17, v1
	v_lshl_add_u32 v42, v1, 3, v14
	v_lshlrev_b32_e32 v44, 3, v2
	ds_read_b64 v[42:43], v42
	ds_read_b64 v[44:45], v44
	v_cmp_ge_i32_e64 s[10:11], v1, v13
	v_cmp_gt_i32_e64 s[14:15], v4, v2
	s_waitcnt lgkmcnt(0)
	; wave barrier
	v_cmp_lt_i64_e64 s[12:13], v[44:45], v[42:43]
	s_or_b64 s[10:11], s[10:11], s[12:13]
	s_and_b64 s[10:11], s[14:15], s[10:11]
	v_cndmask_b32_e64 v2, v43, v45, s[10:11]
	v_cndmask_b32_e64 v1, v42, v44, s[10:11]
	ds_write_b64 v3, v[1:2]
	v_mov_b32_e32 v1, v21
	s_waitcnt lgkmcnt(0)
	; wave barrier
	s_and_saveexec_b64 s[12:13], s[2:3]
	s_cbranch_execz .LBB120_14
; %bb.11:                               ;   in Loop: Header=BB120_2 Depth=1
	s_mov_b64 s[14:15], 0
	v_mov_b32_e32 v1, v21
	v_mov_b32_e32 v2, v24
.LBB120_12:                             ;   Parent Loop BB120_2 Depth=1
                                        ; =>  This Inner Loop Header: Depth=2
	v_sub_u32_e32 v42, v2, v1
	v_lshrrev_b32_e32 v42, 1, v42
	v_add_u32_e32 v46, v42, v1
	v_not_b32_e32 v43, v46
	v_lshl_add_u32 v42, v46, 3, v20
	v_lshl_add_u32 v44, v43, 3, v22
	ds_read_b64 v[42:43], v42
	ds_read_b64 v[44:45], v44
	v_add_u32_e32 v47, 1, v46
	s_waitcnt lgkmcnt(0)
	v_cmp_lt_i64_e64 s[10:11], v[44:45], v[42:43]
	v_cndmask_b32_e64 v2, v2, v46, s[10:11]
	v_cndmask_b32_e64 v1, v47, v1, s[10:11]
	v_cmp_ge_i32_e64 s[10:11], v1, v2
	s_or_b64 s[14:15], s[10:11], s[14:15]
	s_andn2_b64 exec, exec, s[14:15]
	s_cbranch_execnz .LBB120_12
; %bb.13:                               ;   in Loop: Header=BB120_2 Depth=1
	s_or_b64 exec, exec, s[14:15]
.LBB120_14:                             ;   in Loop: Header=BB120_2 Depth=1
	s_or_b64 exec, exec, s[12:13]
	v_sub_u32_e32 v2, v23, v1
	v_lshl_add_u32 v42, v1, 3, v20
	v_lshlrev_b32_e32 v44, 3, v2
	ds_read_b64 v[42:43], v42
	ds_read_b64 v[44:45], v44
	v_cmp_ge_i32_e64 s[10:11], v1, v19
	v_cmp_gt_i32_e64 s[14:15], v5, v2
	s_waitcnt lgkmcnt(0)
	; wave barrier
	v_cmp_lt_i64_e64 s[12:13], v[44:45], v[42:43]
	s_or_b64 s[10:11], s[10:11], s[12:13]
	s_and_b64 s[10:11], s[14:15], s[10:11]
	v_cndmask_b32_e64 v2, v43, v45, s[10:11]
	v_cndmask_b32_e64 v1, v42, v44, s[10:11]
	ds_write_b64 v3, v[1:2]
	v_mov_b32_e32 v1, v27
	s_waitcnt lgkmcnt(0)
	; wave barrier
	s_and_saveexec_b64 s[12:13], s[4:5]
	s_cbranch_execz .LBB120_18
; %bb.15:                               ;   in Loop: Header=BB120_2 Depth=1
	s_mov_b64 s[14:15], 0
	v_mov_b32_e32 v1, v27
	v_mov_b32_e32 v2, v30
.LBB120_16:                             ;   Parent Loop BB120_2 Depth=1
                                        ; =>  This Inner Loop Header: Depth=2
	v_sub_u32_e32 v42, v2, v1
	v_lshrrev_b32_e32 v42, 1, v42
	v_add_u32_e32 v46, v42, v1
	v_not_b32_e32 v43, v46
	v_lshl_add_u32 v42, v46, 3, v26
	v_lshl_add_u32 v44, v43, 3, v28
	ds_read_b64 v[42:43], v42
	ds_read_b64 v[44:45], v44
	v_add_u32_e32 v47, 1, v46
	s_waitcnt lgkmcnt(0)
	v_cmp_lt_i64_e64 s[10:11], v[44:45], v[42:43]
	v_cndmask_b32_e64 v2, v2, v46, s[10:11]
	v_cndmask_b32_e64 v1, v47, v1, s[10:11]
	v_cmp_ge_i32_e64 s[10:11], v1, v2
	s_or_b64 s[14:15], s[10:11], s[14:15]
	s_andn2_b64 exec, exec, s[14:15]
	s_cbranch_execnz .LBB120_16
; %bb.17:                               ;   in Loop: Header=BB120_2 Depth=1
	s_or_b64 exec, exec, s[14:15]
.LBB120_18:                             ;   in Loop: Header=BB120_2 Depth=1
	;; [unrolled: 47-line block ×3, first 2 shown]
	s_or_b64 exec, exec, s[12:13]
	v_sub_u32_e32 v2, v35, v1
	v_lshl_add_u32 v42, v1, 3, v32
	v_lshlrev_b32_e32 v44, 3, v2
	ds_read_b64 v[42:43], v42
	ds_read_b64 v[44:45], v44
	v_cmp_ge_i32_e64 s[10:11], v1, v31
	v_cmp_gt_i32_e64 s[14:15], v7, v2
	s_waitcnt lgkmcnt(0)
	; wave barrier
	v_cmp_lt_i64_e64 s[12:13], v[44:45], v[42:43]
	s_or_b64 s[10:11], s[10:11], s[12:13]
	s_and_b64 s[10:11], s[14:15], s[10:11]
	v_cndmask_b32_e64 v2, v43, v45, s[10:11]
	v_cndmask_b32_e64 v1, v42, v44, s[10:11]
	ds_write_b64 v3, v[1:2]
	v_mov_b32_e32 v1, v37
	s_waitcnt lgkmcnt(0)
	; wave barrier
	s_and_saveexec_b64 s[12:13], s[8:9]
	s_cbranch_execz .LBB120_1
; %bb.23:                               ;   in Loop: Header=BB120_2 Depth=1
	s_mov_b64 s[14:15], 0
	v_mov_b32_e32 v1, v37
	v_mov_b32_e32 v2, v38
.LBB120_24:                             ;   Parent Loop BB120_2 Depth=1
                                        ; =>  This Inner Loop Header: Depth=2
	v_sub_u32_e32 v42, v2, v1
	v_lshrrev_b32_e32 v42, 1, v42
	v_add_u32_e32 v46, v42, v1
	v_not_b32_e32 v43, v46
	v_lshlrev_b32_e32 v42, 3, v46
	v_lshl_add_u32 v44, v43, 3, v41
	ds_read_b64 v[42:43], v42
	ds_read_b64 v[44:45], v44
	v_add_u32_e32 v47, 1, v46
	s_waitcnt lgkmcnt(0)
	v_cmp_lt_i64_e64 s[10:11], v[44:45], v[42:43]
	v_cndmask_b32_e64 v2, v2, v46, s[10:11]
	v_cndmask_b32_e64 v1, v47, v1, s[10:11]
	v_cmp_ge_i32_e64 s[10:11], v1, v2
	s_or_b64 s[14:15], s[10:11], s[14:15]
	s_andn2_b64 exec, exec, s[14:15]
	s_cbranch_execnz .LBB120_24
; %bb.25:                               ;   in Loop: Header=BB120_2 Depth=1
	s_or_b64 exec, exec, s[14:15]
	s_branch .LBB120_1
.LBB120_26:
	s_add_u32 s0, s18, s20
	s_addc_u32 s1, s19, s21
	v_lshlrev_b32_e32 v0, 3, v0
	global_store_dwordx2 v0, v[1:2], s[0:1]
	s_endpgm
	.section	.rodata,"a",@progbits
	.p2align	6, 0x0
	.amdhsa_kernel _Z16sort_keys_kernelIxLj64ELj1EN10test_utils4lessELj10EEvPKT_PS2_T2_
		.amdhsa_group_segment_fixed_size 520
		.amdhsa_private_segment_fixed_size 0
		.amdhsa_kernarg_size 20
		.amdhsa_user_sgpr_count 6
		.amdhsa_user_sgpr_private_segment_buffer 1
		.amdhsa_user_sgpr_dispatch_ptr 0
		.amdhsa_user_sgpr_queue_ptr 0
		.amdhsa_user_sgpr_kernarg_segment_ptr 1
		.amdhsa_user_sgpr_dispatch_id 0
		.amdhsa_user_sgpr_flat_scratch_init 0
		.amdhsa_user_sgpr_private_segment_size 0
		.amdhsa_uses_dynamic_stack 0
		.amdhsa_system_sgpr_private_segment_wavefront_offset 0
		.amdhsa_system_sgpr_workgroup_id_x 1
		.amdhsa_system_sgpr_workgroup_id_y 0
		.amdhsa_system_sgpr_workgroup_id_z 0
		.amdhsa_system_sgpr_workgroup_info 0
		.amdhsa_system_vgpr_workitem_id 0
		.amdhsa_next_free_vgpr 48
		.amdhsa_next_free_sgpr 24
		.amdhsa_reserve_vcc 1
		.amdhsa_reserve_flat_scratch 0
		.amdhsa_float_round_mode_32 0
		.amdhsa_float_round_mode_16_64 0
		.amdhsa_float_denorm_mode_32 3
		.amdhsa_float_denorm_mode_16_64 3
		.amdhsa_dx10_clamp 1
		.amdhsa_ieee_mode 1
		.amdhsa_fp16_overflow 0
		.amdhsa_exception_fp_ieee_invalid_op 0
		.amdhsa_exception_fp_denorm_src 0
		.amdhsa_exception_fp_ieee_div_zero 0
		.amdhsa_exception_fp_ieee_overflow 0
		.amdhsa_exception_fp_ieee_underflow 0
		.amdhsa_exception_fp_ieee_inexact 0
		.amdhsa_exception_int_div_zero 0
	.end_amdhsa_kernel
	.section	.text._Z16sort_keys_kernelIxLj64ELj1EN10test_utils4lessELj10EEvPKT_PS2_T2_,"axG",@progbits,_Z16sort_keys_kernelIxLj64ELj1EN10test_utils4lessELj10EEvPKT_PS2_T2_,comdat
.Lfunc_end120:
	.size	_Z16sort_keys_kernelIxLj64ELj1EN10test_utils4lessELj10EEvPKT_PS2_T2_, .Lfunc_end120-_Z16sort_keys_kernelIxLj64ELj1EN10test_utils4lessELj10EEvPKT_PS2_T2_
                                        ; -- End function
	.set _Z16sort_keys_kernelIxLj64ELj1EN10test_utils4lessELj10EEvPKT_PS2_T2_.num_vgpr, 48
	.set _Z16sort_keys_kernelIxLj64ELj1EN10test_utils4lessELj10EEvPKT_PS2_T2_.num_agpr, 0
	.set _Z16sort_keys_kernelIxLj64ELj1EN10test_utils4lessELj10EEvPKT_PS2_T2_.numbered_sgpr, 24
	.set _Z16sort_keys_kernelIxLj64ELj1EN10test_utils4lessELj10EEvPKT_PS2_T2_.num_named_barrier, 0
	.set _Z16sort_keys_kernelIxLj64ELj1EN10test_utils4lessELj10EEvPKT_PS2_T2_.private_seg_size, 0
	.set _Z16sort_keys_kernelIxLj64ELj1EN10test_utils4lessELj10EEvPKT_PS2_T2_.uses_vcc, 1
	.set _Z16sort_keys_kernelIxLj64ELj1EN10test_utils4lessELj10EEvPKT_PS2_T2_.uses_flat_scratch, 0
	.set _Z16sort_keys_kernelIxLj64ELj1EN10test_utils4lessELj10EEvPKT_PS2_T2_.has_dyn_sized_stack, 0
	.set _Z16sort_keys_kernelIxLj64ELj1EN10test_utils4lessELj10EEvPKT_PS2_T2_.has_recursion, 0
	.set _Z16sort_keys_kernelIxLj64ELj1EN10test_utils4lessELj10EEvPKT_PS2_T2_.has_indirect_call, 0
	.section	.AMDGPU.csdata,"",@progbits
; Kernel info:
; codeLenInByte = 1844
; TotalNumSgprs: 28
; NumVgprs: 48
; ScratchSize: 0
; MemoryBound: 0
; FloatMode: 240
; IeeeMode: 1
; LDSByteSize: 520 bytes/workgroup (compile time only)
; SGPRBlocks: 3
; VGPRBlocks: 11
; NumSGPRsForWavesPerEU: 28
; NumVGPRsForWavesPerEU: 48
; Occupancy: 5
; WaveLimiterHint : 0
; COMPUTE_PGM_RSRC2:SCRATCH_EN: 0
; COMPUTE_PGM_RSRC2:USER_SGPR: 6
; COMPUTE_PGM_RSRC2:TRAP_HANDLER: 0
; COMPUTE_PGM_RSRC2:TGID_X_EN: 1
; COMPUTE_PGM_RSRC2:TGID_Y_EN: 0
; COMPUTE_PGM_RSRC2:TGID_Z_EN: 0
; COMPUTE_PGM_RSRC2:TIDIG_COMP_CNT: 0
	.section	.text._Z17sort_pairs_kernelIxLj64ELj1EN10test_utils4lessELj10EEvPKT_PS2_T2_,"axG",@progbits,_Z17sort_pairs_kernelIxLj64ELj1EN10test_utils4lessELj10EEvPKT_PS2_T2_,comdat
	.protected	_Z17sort_pairs_kernelIxLj64ELj1EN10test_utils4lessELj10EEvPKT_PS2_T2_ ; -- Begin function _Z17sort_pairs_kernelIxLj64ELj1EN10test_utils4lessELj10EEvPKT_PS2_T2_
	.globl	_Z17sort_pairs_kernelIxLj64ELj1EN10test_utils4lessELj10EEvPKT_PS2_T2_
	.p2align	8
	.type	_Z17sort_pairs_kernelIxLj64ELj1EN10test_utils4lessELj10EEvPKT_PS2_T2_,@function
_Z17sort_pairs_kernelIxLj64ELj1EN10test_utils4lessELj10EEvPKT_PS2_T2_: ; @_Z17sort_pairs_kernelIxLj64ELj1EN10test_utils4lessELj10EEvPKT_PS2_T2_
; %bb.0:
	s_load_dwordx4 s[16:19], s[4:5], 0x0
	s_lshl_b32 s22, s6, 6
	s_mov_b32 s23, 0
	s_lshl_b64 s[20:21], s[22:23], 3
	v_lshlrev_b32_e32 v5, 3, v0
	s_waitcnt lgkmcnt(0)
	s_add_u32 s0, s16, s20
	s_addc_u32 s1, s17, s21
	global_load_dwordx2 v[1:2], v5, s[0:1]
	v_and_b32_e32 v6, 60, v0
	v_and_b32_e32 v7, 56, v0
	v_or_b32_e32 v13, 2, v6
	v_add_u32_e32 v14, 4, v6
	v_and_b32_e32 v3, 3, v0
	v_and_b32_e32 v8, 48, v0
	v_or_b32_e32 v15, 4, v7
	v_add_u32_e32 v16, 8, v7
	v_sub_u32_e32 v41, v14, v13
	v_and_b32_e32 v4, 7, v0
	v_and_b32_e32 v9, 32, v0
	;; [unrolled: 1-line block ×3, first 2 shown]
	v_or_b32_e32 v17, 8, v8
	v_add_u32_e32 v18, 16, v8
	v_sub_u32_e32 v42, v16, v15
	v_sub_u32_e32 v48, v3, v41
	v_cmp_ge_i32_e64 s[2:3], v3, v41
	v_and_b32_e32 v43, 15, v0
	v_or_b32_e32 v19, 16, v9
	v_add_u32_e32 v20, 32, v9
	v_or_b32_e32 v21, 1, v10
	v_sub_u32_e32 v45, v18, v17
	v_sub_u32_e32 v49, v4, v42
	v_cndmask_b32_e64 v41, 0, v48, s[2:3]
	v_cmp_ge_i32_e64 s[2:3], v4, v42
	v_and_b32_e32 v44, 31, v0
	v_and_b32_e32 v36, 1, v0
	v_sub_u32_e32 v46, v20, v19
	v_sub_u32_e32 v37, v21, v10
	;; [unrolled: 1-line block ×6, first 2 shown]
	v_cndmask_b32_e64 v42, 0, v49, s[2:3]
	v_cmp_ge_i32_e64 s[2:3], v43, v45
	v_add_u32_e32 v25, -1, v36
	v_lshlrev_b32_e32 v27, 3, v36
	v_lshlrev_b32_e32 v33, 3, v43
	v_cmp_lt_i32_e64 s[0:1], 0, v36
	v_sub_u32_e32 v47, v19, v9
	v_add_u32_e32 v26, v21, v36
	v_add_u32_e32 v32, v17, v43
	v_sub_u32_e32 v51, v44, v46
	v_min_i32_e32 v36, v36, v37
	v_min_i32_e32 v37, v3, v38
	;; [unrolled: 1-line block ×4, first 2 shown]
	v_cndmask_b32_e64 v43, 0, v50, s[2:3]
	v_cmp_ge_i32_e64 s[2:3], v44, v46
	v_sub_u32_e64 v11, v0, 32 clamp
	v_min_i32_e32 v12, 32, v0
	v_lshlrev_b32_e32 v29, 3, v3
	v_lshlrev_b32_e32 v31, 3, v4
	;; [unrolled: 1-line block ×3, first 2 shown]
	v_cndmask_b32_e64 v25, 0, v25, s[0:1]
	v_add_u32_e32 v28, v13, v3
	v_add_u32_e32 v34, v19, v44
	v_min_i32_e32 v40, v44, v47
	v_cndmask_b32_e64 v44, 0, v51, s[2:3]
	v_cmp_lt_i32_e32 vcc, v11, v12
	v_lshlrev_b32_e32 v22, 3, v10
	v_lshlrev_b32_e32 v23, 3, v6
	;; [unrolled: 1-line block ×3, first 2 shown]
	v_lshl_add_u32 v27, v21, 3, v27
	v_lshl_add_u32 v29, v13, 3, v29
	v_add_u32_e32 v30, v15, v4
	v_lshl_add_u32 v31, v15, 3, v31
	v_lshl_add_u32 v33, v17, 3, v33
	;; [unrolled: 1-line block ×3, first 2 shown]
	v_cmp_lt_i32_e64 s[0:1], v25, v36
	v_cmp_lt_i32_e64 s[2:3], v41, v37
	;; [unrolled: 1-line block ×5, first 2 shown]
	v_lshlrev_b32_e32 v45, 3, v8
	v_lshlrev_b32_e32 v46, 3, v9
	v_add_u32_e32 v47, 32, v0
	v_add_u32_e32 v48, 0x100, v5
	s_waitcnt vmcnt(0)
	v_add_co_u32_e64 v3, s[10:11], 1, v1
	v_addc_co_u32_e64 v4, s[10:11], 0, v2, s[10:11]
	s_branch .LBB121_2
.LBB121_1:                              ;   in Loop: Header=BB121_2 Depth=1
	s_or_b64 exec, exec, s[12:13]
	v_sub_u32_e32 v53, v47, v1
	v_lshlrev_b32_e32 v2, 3, v1
	v_lshlrev_b32_e32 v51, 3, v53
	ds_read_b64 v[49:50], v2
	ds_read_b64 v[51:52], v51
	v_cmp_le_i32_e64 s[10:11], 32, v1
	v_cmp_gt_i32_e64 s[14:15], 64, v53
	s_waitcnt lgkmcnt(0)
	; wave barrier
	v_cmp_lt_i64_e64 s[12:13], v[51:52], v[49:50]
	ds_write_b64 v5, v[3:4]
	s_or_b64 s[10:11], s[10:11], s[12:13]
	s_and_b64 s[10:11], s[14:15], s[10:11]
	v_cndmask_b32_e64 v1, v1, v53, s[10:11]
	v_lshlrev_b32_e32 v1, 3, v1
	s_waitcnt lgkmcnt(0)
	; wave barrier
	ds_read_b64 v[3:4], v1
	s_add_i32 s23, s23, 1
	v_cndmask_b32_e64 v2, v50, v52, s[10:11]
	s_cmp_eq_u32 s23, 10
	v_cndmask_b32_e64 v1, v49, v51, s[10:11]
	s_cbranch_scc1 .LBB121_26
.LBB121_2:                              ; =>This Loop Header: Depth=1
                                        ;     Child Loop BB121_4 Depth 2
                                        ;     Child Loop BB121_8 Depth 2
	;; [unrolled: 1-line block ×6, first 2 shown]
	; wave barrier
	ds_write_b64 v5, v[1:2]
	v_mov_b32_e32 v1, v25
	s_waitcnt lgkmcnt(0)
	; wave barrier
	s_and_saveexec_b64 s[12:13], s[0:1]
	s_cbranch_execz .LBB121_6
; %bb.3:                                ;   in Loop: Header=BB121_2 Depth=1
	s_mov_b64 s[14:15], 0
	v_mov_b32_e32 v1, v25
	v_mov_b32_e32 v2, v36
.LBB121_4:                              ;   Parent Loop BB121_2 Depth=1
                                        ; =>  This Inner Loop Header: Depth=2
	v_sub_u32_e32 v49, v2, v1
	v_lshrrev_b32_e32 v49, 1, v49
	v_add_u32_e32 v53, v49, v1
	v_not_b32_e32 v50, v53
	v_lshl_add_u32 v49, v53, 3, v22
	v_lshl_add_u32 v51, v50, 3, v27
	ds_read_b64 v[49:50], v49
	ds_read_b64 v[51:52], v51
	v_add_u32_e32 v54, 1, v53
	s_waitcnt lgkmcnt(0)
	v_cmp_lt_i64_e64 s[10:11], v[51:52], v[49:50]
	v_cndmask_b32_e64 v2, v2, v53, s[10:11]
	v_cndmask_b32_e64 v1, v54, v1, s[10:11]
	v_cmp_ge_i32_e64 s[10:11], v1, v2
	s_or_b64 s[14:15], s[10:11], s[14:15]
	s_andn2_b64 exec, exec, s[14:15]
	s_cbranch_execnz .LBB121_4
; %bb.5:                                ;   in Loop: Header=BB121_2 Depth=1
	s_or_b64 exec, exec, s[14:15]
.LBB121_6:                              ;   in Loop: Header=BB121_2 Depth=1
	s_or_b64 exec, exec, s[12:13]
	v_sub_u32_e32 v2, v26, v1
	v_lshl_add_u32 v49, v1, 3, v22
	v_lshlrev_b32_e32 v51, 3, v2
	ds_read_b64 v[49:50], v49
	ds_read_b64 v[51:52], v51
	v_add_u32_e32 v1, v1, v10
	v_cmp_le_i32_e64 s[14:15], v21, v1
	v_cmp_ge_i32_e64 s[10:11], v21, v2
	s_waitcnt lgkmcnt(0)
	v_cmp_lt_i64_e64 s[12:13], v[51:52], v[49:50]
	; wave barrier
	s_or_b64 s[12:13], s[14:15], s[12:13]
	s_and_b64 s[10:11], s[10:11], s[12:13]
	v_cndmask_b32_e64 v1, v1, v2, s[10:11]
	v_lshlrev_b32_e32 v1, 3, v1
	ds_write_b64 v5, v[3:4]
	s_waitcnt lgkmcnt(0)
	; wave barrier
	ds_read_b64 v[1:2], v1
	v_cndmask_b32_e64 v50, v50, v52, s[10:11]
	v_cndmask_b32_e64 v49, v49, v51, s[10:11]
	v_mov_b32_e32 v3, v41
	s_waitcnt lgkmcnt(0)
	; wave barrier
	ds_write_b64 v5, v[49:50]
	s_waitcnt lgkmcnt(0)
	; wave barrier
	s_and_saveexec_b64 s[12:13], s[2:3]
	s_cbranch_execz .LBB121_10
; %bb.7:                                ;   in Loop: Header=BB121_2 Depth=1
	s_mov_b64 s[14:15], 0
	v_mov_b32_e32 v3, v41
	v_mov_b32_e32 v4, v37
.LBB121_8:                              ;   Parent Loop BB121_2 Depth=1
                                        ; =>  This Inner Loop Header: Depth=2
	v_sub_u32_e32 v49, v4, v3
	v_lshrrev_b32_e32 v49, 1, v49
	v_add_u32_e32 v53, v49, v3
	v_not_b32_e32 v50, v53
	v_lshl_add_u32 v49, v53, 3, v23
	v_lshl_add_u32 v51, v50, 3, v29
	ds_read_b64 v[49:50], v49
	ds_read_b64 v[51:52], v51
	v_add_u32_e32 v54, 1, v53
	s_waitcnt lgkmcnt(0)
	v_cmp_lt_i64_e64 s[10:11], v[51:52], v[49:50]
	v_cndmask_b32_e64 v4, v4, v53, s[10:11]
	v_cndmask_b32_e64 v3, v54, v3, s[10:11]
	v_cmp_ge_i32_e64 s[10:11], v3, v4
	s_or_b64 s[14:15], s[10:11], s[14:15]
	s_andn2_b64 exec, exec, s[14:15]
	s_cbranch_execnz .LBB121_8
; %bb.9:                                ;   in Loop: Header=BB121_2 Depth=1
	s_or_b64 exec, exec, s[14:15]
.LBB121_10:                             ;   in Loop: Header=BB121_2 Depth=1
	s_or_b64 exec, exec, s[12:13]
	v_sub_u32_e32 v53, v28, v3
	v_lshl_add_u32 v4, v3, 3, v23
	v_lshlrev_b32_e32 v51, 3, v53
	ds_read_b64 v[49:50], v4
	ds_read_b64 v[51:52], v51
	v_add_u32_e32 v54, v3, v6
	v_cmp_le_i32_e64 s[14:15], v13, v54
	v_cmp_gt_i32_e64 s[10:11], v14, v53
	s_waitcnt lgkmcnt(0)
	v_cmp_lt_i64_e64 s[12:13], v[51:52], v[49:50]
	; wave barrier
	s_or_b64 s[12:13], s[14:15], s[12:13]
	s_and_b64 s[10:11], s[10:11], s[12:13]
	v_cndmask_b32_e64 v3, v49, v51, s[10:11]
	v_cndmask_b32_e64 v49, v54, v53, s[10:11]
	ds_write_b64 v5, v[1:2]
	v_lshlrev_b32_e32 v1, 3, v49
	s_waitcnt lgkmcnt(0)
	; wave barrier
	ds_read_b64 v[1:2], v1
	v_cndmask_b32_e64 v4, v50, v52, s[10:11]
	s_waitcnt lgkmcnt(0)
	; wave barrier
	ds_write_b64 v5, v[3:4]
	v_mov_b32_e32 v3, v42
	s_waitcnt lgkmcnt(0)
	; wave barrier
	s_and_saveexec_b64 s[12:13], s[4:5]
	s_cbranch_execz .LBB121_14
; %bb.11:                               ;   in Loop: Header=BB121_2 Depth=1
	s_mov_b64 s[14:15], 0
	v_mov_b32_e32 v3, v42
	v_mov_b32_e32 v4, v38
.LBB121_12:                             ;   Parent Loop BB121_2 Depth=1
                                        ; =>  This Inner Loop Header: Depth=2
	v_sub_u32_e32 v49, v4, v3
	v_lshrrev_b32_e32 v49, 1, v49
	v_add_u32_e32 v53, v49, v3
	v_not_b32_e32 v50, v53
	v_lshl_add_u32 v49, v53, 3, v24
	v_lshl_add_u32 v51, v50, 3, v31
	ds_read_b64 v[49:50], v49
	ds_read_b64 v[51:52], v51
	v_add_u32_e32 v54, 1, v53
	s_waitcnt lgkmcnt(0)
	v_cmp_lt_i64_e64 s[10:11], v[51:52], v[49:50]
	v_cndmask_b32_e64 v4, v4, v53, s[10:11]
	v_cndmask_b32_e64 v3, v54, v3, s[10:11]
	v_cmp_ge_i32_e64 s[10:11], v3, v4
	s_or_b64 s[14:15], s[10:11], s[14:15]
	s_andn2_b64 exec, exec, s[14:15]
	s_cbranch_execnz .LBB121_12
; %bb.13:                               ;   in Loop: Header=BB121_2 Depth=1
	s_or_b64 exec, exec, s[14:15]
.LBB121_14:                             ;   in Loop: Header=BB121_2 Depth=1
	s_or_b64 exec, exec, s[12:13]
	v_sub_u32_e32 v53, v30, v3
	v_lshl_add_u32 v4, v3, 3, v24
	v_lshlrev_b32_e32 v51, 3, v53
	ds_read_b64 v[49:50], v4
	ds_read_b64 v[51:52], v51
	v_add_u32_e32 v54, v3, v7
	v_cmp_le_i32_e64 s[14:15], v15, v54
	v_cmp_gt_i32_e64 s[10:11], v16, v53
	s_waitcnt lgkmcnt(0)
	v_cmp_lt_i64_e64 s[12:13], v[51:52], v[49:50]
	; wave barrier
	s_or_b64 s[12:13], s[14:15], s[12:13]
	s_and_b64 s[10:11], s[10:11], s[12:13]
	v_cndmask_b32_e64 v3, v49, v51, s[10:11]
	v_cndmask_b32_e64 v49, v54, v53, s[10:11]
	ds_write_b64 v5, v[1:2]
	v_lshlrev_b32_e32 v1, 3, v49
	s_waitcnt lgkmcnt(0)
	; wave barrier
	ds_read_b64 v[1:2], v1
	v_cndmask_b32_e64 v4, v50, v52, s[10:11]
	s_waitcnt lgkmcnt(0)
	; wave barrier
	ds_write_b64 v5, v[3:4]
	v_mov_b32_e32 v3, v43
	s_waitcnt lgkmcnt(0)
	; wave barrier
	s_and_saveexec_b64 s[12:13], s[6:7]
	s_cbranch_execz .LBB121_18
; %bb.15:                               ;   in Loop: Header=BB121_2 Depth=1
	s_mov_b64 s[14:15], 0
	v_mov_b32_e32 v3, v43
	v_mov_b32_e32 v4, v39
.LBB121_16:                             ;   Parent Loop BB121_2 Depth=1
                                        ; =>  This Inner Loop Header: Depth=2
	v_sub_u32_e32 v49, v4, v3
	v_lshrrev_b32_e32 v49, 1, v49
	v_add_u32_e32 v53, v49, v3
	v_not_b32_e32 v50, v53
	v_lshl_add_u32 v49, v53, 3, v45
	v_lshl_add_u32 v51, v50, 3, v33
	ds_read_b64 v[49:50], v49
	ds_read_b64 v[51:52], v51
	v_add_u32_e32 v54, 1, v53
	s_waitcnt lgkmcnt(0)
	v_cmp_lt_i64_e64 s[10:11], v[51:52], v[49:50]
	v_cndmask_b32_e64 v4, v4, v53, s[10:11]
	v_cndmask_b32_e64 v3, v54, v3, s[10:11]
	v_cmp_ge_i32_e64 s[10:11], v3, v4
	s_or_b64 s[14:15], s[10:11], s[14:15]
	s_andn2_b64 exec, exec, s[14:15]
	s_cbranch_execnz .LBB121_16
; %bb.17:                               ;   in Loop: Header=BB121_2 Depth=1
	s_or_b64 exec, exec, s[14:15]
.LBB121_18:                             ;   in Loop: Header=BB121_2 Depth=1
	;; [unrolled: 56-line block ×3, first 2 shown]
	s_or_b64 exec, exec, s[12:13]
	v_sub_u32_e32 v4, v34, v3
	v_lshl_add_u32 v49, v3, 3, v46
	v_lshlrev_b32_e32 v51, 3, v4
	ds_read_b64 v[49:50], v49
	ds_read_b64 v[51:52], v51
	v_add_u32_e32 v3, v3, v9
	v_cmp_le_i32_e64 s[14:15], v19, v3
	v_cmp_gt_i32_e64 s[10:11], v20, v4
	s_waitcnt lgkmcnt(0)
	v_cmp_lt_i64_e64 s[12:13], v[51:52], v[49:50]
	; wave barrier
	s_or_b64 s[12:13], s[14:15], s[12:13]
	s_and_b64 s[10:11], s[10:11], s[12:13]
	v_cndmask_b32_e64 v3, v3, v4, s[10:11]
	ds_write_b64 v5, v[1:2]
	v_lshlrev_b32_e32 v1, 3, v3
	s_waitcnt lgkmcnt(0)
	; wave barrier
	ds_read_b64 v[3:4], v1
	v_cndmask_b32_e64 v50, v50, v52, s[10:11]
	v_cndmask_b32_e64 v49, v49, v51, s[10:11]
	v_mov_b32_e32 v1, v11
	s_waitcnt lgkmcnt(0)
	; wave barrier
	ds_write_b64 v5, v[49:50]
	s_waitcnt lgkmcnt(0)
	; wave barrier
	s_and_saveexec_b64 s[12:13], vcc
	s_cbranch_execz .LBB121_1
; %bb.23:                               ;   in Loop: Header=BB121_2 Depth=1
	s_mov_b64 s[14:15], 0
	v_mov_b32_e32 v1, v11
	v_mov_b32_e32 v2, v12
.LBB121_24:                             ;   Parent Loop BB121_2 Depth=1
                                        ; =>  This Inner Loop Header: Depth=2
	v_sub_u32_e32 v49, v2, v1
	v_lshrrev_b32_e32 v49, 1, v49
	v_add_u32_e32 v53, v49, v1
	v_not_b32_e32 v50, v53
	v_lshlrev_b32_e32 v49, 3, v53
	v_lshl_add_u32 v51, v50, 3, v48
	ds_read_b64 v[49:50], v49
	ds_read_b64 v[51:52], v51
	v_add_u32_e32 v54, 1, v53
	s_waitcnt lgkmcnt(0)
	v_cmp_lt_i64_e64 s[10:11], v[51:52], v[49:50]
	v_cndmask_b32_e64 v2, v2, v53, s[10:11]
	v_cndmask_b32_e64 v1, v54, v1, s[10:11]
	v_cmp_ge_i32_e64 s[10:11], v1, v2
	s_or_b64 s[14:15], s[10:11], s[14:15]
	s_andn2_b64 exec, exec, s[14:15]
	s_cbranch_execnz .LBB121_24
; %bb.25:                               ;   in Loop: Header=BB121_2 Depth=1
	s_or_b64 exec, exec, s[14:15]
	s_branch .LBB121_1
.LBB121_26:
	s_waitcnt lgkmcnt(0)
	v_add_co_u32_e32 v1, vcc, v1, v3
	s_add_u32 s0, s18, s20
	v_addc_co_u32_e32 v2, vcc, v2, v4, vcc
	s_addc_u32 s1, s19, s21
	v_lshlrev_b32_e32 v0, 3, v0
	global_store_dwordx2 v0, v[1:2], s[0:1]
	s_endpgm
	.section	.rodata,"a",@progbits
	.p2align	6, 0x0
	.amdhsa_kernel _Z17sort_pairs_kernelIxLj64ELj1EN10test_utils4lessELj10EEvPKT_PS2_T2_
		.amdhsa_group_segment_fixed_size 520
		.amdhsa_private_segment_fixed_size 0
		.amdhsa_kernarg_size 20
		.amdhsa_user_sgpr_count 6
		.amdhsa_user_sgpr_private_segment_buffer 1
		.amdhsa_user_sgpr_dispatch_ptr 0
		.amdhsa_user_sgpr_queue_ptr 0
		.amdhsa_user_sgpr_kernarg_segment_ptr 1
		.amdhsa_user_sgpr_dispatch_id 0
		.amdhsa_user_sgpr_flat_scratch_init 0
		.amdhsa_user_sgpr_private_segment_size 0
		.amdhsa_uses_dynamic_stack 0
		.amdhsa_system_sgpr_private_segment_wavefront_offset 0
		.amdhsa_system_sgpr_workgroup_id_x 1
		.amdhsa_system_sgpr_workgroup_id_y 0
		.amdhsa_system_sgpr_workgroup_id_z 0
		.amdhsa_system_sgpr_workgroup_info 0
		.amdhsa_system_vgpr_workitem_id 0
		.amdhsa_next_free_vgpr 55
		.amdhsa_next_free_sgpr 24
		.amdhsa_reserve_vcc 1
		.amdhsa_reserve_flat_scratch 0
		.amdhsa_float_round_mode_32 0
		.amdhsa_float_round_mode_16_64 0
		.amdhsa_float_denorm_mode_32 3
		.amdhsa_float_denorm_mode_16_64 3
		.amdhsa_dx10_clamp 1
		.amdhsa_ieee_mode 1
		.amdhsa_fp16_overflow 0
		.amdhsa_exception_fp_ieee_invalid_op 0
		.amdhsa_exception_fp_denorm_src 0
		.amdhsa_exception_fp_ieee_div_zero 0
		.amdhsa_exception_fp_ieee_overflow 0
		.amdhsa_exception_fp_ieee_underflow 0
		.amdhsa_exception_fp_ieee_inexact 0
		.amdhsa_exception_int_div_zero 0
	.end_amdhsa_kernel
	.section	.text._Z17sort_pairs_kernelIxLj64ELj1EN10test_utils4lessELj10EEvPKT_PS2_T2_,"axG",@progbits,_Z17sort_pairs_kernelIxLj64ELj1EN10test_utils4lessELj10EEvPKT_PS2_T2_,comdat
.Lfunc_end121:
	.size	_Z17sort_pairs_kernelIxLj64ELj1EN10test_utils4lessELj10EEvPKT_PS2_T2_, .Lfunc_end121-_Z17sort_pairs_kernelIxLj64ELj1EN10test_utils4lessELj10EEvPKT_PS2_T2_
                                        ; -- End function
	.set _Z17sort_pairs_kernelIxLj64ELj1EN10test_utils4lessELj10EEvPKT_PS2_T2_.num_vgpr, 55
	.set _Z17sort_pairs_kernelIxLj64ELj1EN10test_utils4lessELj10EEvPKT_PS2_T2_.num_agpr, 0
	.set _Z17sort_pairs_kernelIxLj64ELj1EN10test_utils4lessELj10EEvPKT_PS2_T2_.numbered_sgpr, 24
	.set _Z17sort_pairs_kernelIxLj64ELj1EN10test_utils4lessELj10EEvPKT_PS2_T2_.num_named_barrier, 0
	.set _Z17sort_pairs_kernelIxLj64ELj1EN10test_utils4lessELj10EEvPKT_PS2_T2_.private_seg_size, 0
	.set _Z17sort_pairs_kernelIxLj64ELj1EN10test_utils4lessELj10EEvPKT_PS2_T2_.uses_vcc, 1
	.set _Z17sort_pairs_kernelIxLj64ELj1EN10test_utils4lessELj10EEvPKT_PS2_T2_.uses_flat_scratch, 0
	.set _Z17sort_pairs_kernelIxLj64ELj1EN10test_utils4lessELj10EEvPKT_PS2_T2_.has_dyn_sized_stack, 0
	.set _Z17sort_pairs_kernelIxLj64ELj1EN10test_utils4lessELj10EEvPKT_PS2_T2_.has_recursion, 0
	.set _Z17sort_pairs_kernelIxLj64ELj1EN10test_utils4lessELj10EEvPKT_PS2_T2_.has_indirect_call, 0
	.section	.AMDGPU.csdata,"",@progbits
; Kernel info:
; codeLenInByte = 2112
; TotalNumSgprs: 28
; NumVgprs: 55
; ScratchSize: 0
; MemoryBound: 0
; FloatMode: 240
; IeeeMode: 1
; LDSByteSize: 520 bytes/workgroup (compile time only)
; SGPRBlocks: 3
; VGPRBlocks: 13
; NumSGPRsForWavesPerEU: 28
; NumVGPRsForWavesPerEU: 55
; Occupancy: 4
; WaveLimiterHint : 0
; COMPUTE_PGM_RSRC2:SCRATCH_EN: 0
; COMPUTE_PGM_RSRC2:USER_SGPR: 6
; COMPUTE_PGM_RSRC2:TRAP_HANDLER: 0
; COMPUTE_PGM_RSRC2:TGID_X_EN: 1
; COMPUTE_PGM_RSRC2:TGID_Y_EN: 0
; COMPUTE_PGM_RSRC2:TGID_Z_EN: 0
; COMPUTE_PGM_RSRC2:TIDIG_COMP_CNT: 0
	.section	.text._Z16sort_keys_kernelIxLj64ELj2EN10test_utils4lessELj10EEvPKT_PS2_T2_,"axG",@progbits,_Z16sort_keys_kernelIxLj64ELj2EN10test_utils4lessELj10EEvPKT_PS2_T2_,comdat
	.protected	_Z16sort_keys_kernelIxLj64ELj2EN10test_utils4lessELj10EEvPKT_PS2_T2_ ; -- Begin function _Z16sort_keys_kernelIxLj64ELj2EN10test_utils4lessELj10EEvPKT_PS2_T2_
	.globl	_Z16sort_keys_kernelIxLj64ELj2EN10test_utils4lessELj10EEvPKT_PS2_T2_
	.p2align	8
	.type	_Z16sort_keys_kernelIxLj64ELj2EN10test_utils4lessELj10EEvPKT_PS2_T2_,@function
_Z16sort_keys_kernelIxLj64ELj2EN10test_utils4lessELj10EEvPKT_PS2_T2_: ; @_Z16sort_keys_kernelIxLj64ELj2EN10test_utils4lessELj10EEvPKT_PS2_T2_
; %bb.0:
	s_load_dwordx4 s[16:19], s[4:5], 0x0
	s_lshl_b32 s22, s6, 7
	s_mov_b32 s23, 0
	s_lshl_b64 s[20:21], s[22:23], 3
	v_lshlrev_b32_e32 v7, 3, v0
	s_waitcnt lgkmcnt(0)
	s_add_u32 s0, s16, s20
	s_addc_u32 s1, s17, s21
	global_load_dwordx2 v[1:2], v7, s[0:1]
	global_load_dwordx2 v[3:4], v7, s[0:1] offset:512
	v_lshlrev_b32_e32 v5, 1, v0
	v_and_b32_e32 v9, 0x7c, v5
	v_or_b32_e32 v10, 2, v9
	v_add_u32_e32 v11, 4, v9
	v_and_b32_e32 v12, 0x78, v5
	v_and_b32_e32 v6, 2, v5
	v_sub_u32_e32 v7, v11, v10
	v_or_b32_e32 v13, 4, v12
	v_add_u32_e32 v14, 8, v12
	v_and_b32_e32 v15, 0x70, v5
	v_sub_u32_e32 v8, v6, v7
	v_and_b32_e32 v40, 6, v5
	v_sub_u32_e32 v26, v14, v13
	v_or_b32_e32 v16, 8, v15
	v_add_u32_e32 v17, 16, v15
	v_and_b32_e32 v18, 0x60, v5
	v_cmp_ge_i32_e32 vcc, v6, v7
	v_sub_u32_e32 v7, v10, v9
	v_sub_u32_e32 v27, v40, v26
	v_and_b32_e32 v42, 14, v5
	v_sub_u32_e32 v28, v17, v16
	v_and_b32_e32 v44, 30, v5
	v_or_b32_e32 v19, 16, v18
	v_add_u32_e32 v20, 32, v18
	v_and_b32_e32 v21, 64, v5
	v_and_b32_e32 v46, 62, v5
	v_min_i32_e32 v25, v6, v7
	v_cmp_ge_i32_e64 s[0:1], v40, v26
	v_sub_u32_e32 v7, v13, v12
	v_sub_u32_e64 v34, v5, 64 clamp
	v_min_i32_e32 v35, 64, v5
	v_add_u32_e32 v36, 64, v5
	v_lshlrev_b32_e32 v5, 3, v6
	v_sub_u32_e32 v29, v42, v28
	v_sub_u32_e32 v30, v20, v19
	v_or_b32_e32 v22, 32, v21
	v_add_u32_e32 v23, 64, v21
	v_cndmask_b32_e64 v26, 0, v27, s[0:1]
	v_min_i32_e32 v27, v40, v7
	v_cmp_ge_i32_e64 s[2:3], v42, v28
	v_sub_u32_e32 v7, v16, v15
	v_lshl_add_u32 v38, v10, 3, v5
	v_lshlrev_b32_e32 v5, 3, v40
	v_sub_u32_e32 v31, v44, v30
	v_sub_u32_e32 v32, v23, v22
	v_cndmask_b32_e64 v28, 0, v29, s[2:3]
	v_min_i32_e32 v29, v42, v7
	v_cmp_ge_i32_e64 s[4:5], v44, v30
	v_sub_u32_e32 v7, v19, v18
	v_add_u32_e32 v39, v13, v40
	v_lshl_add_u32 v40, v13, 3, v5
	v_lshlrev_b32_e32 v5, 3, v42
	v_sub_u32_e32 v33, v46, v32
	v_cndmask_b32_e64 v30, 0, v31, s[4:5]
	v_min_i32_e32 v31, v44, v7
	v_cmp_ge_i32_e64 s[6:7], v46, v32
	v_sub_u32_e32 v7, v22, v21
	v_add_u32_e32 v41, v16, v42
	v_lshl_add_u32 v42, v16, 3, v5
	v_lshlrev_b32_e32 v5, 3, v44
	v_cndmask_b32_e32 v24, 0, v8, vcc
	v_cndmask_b32_e64 v32, 0, v33, s[6:7]
	v_min_i32_e32 v33, v46, v7
	v_add_u32_e32 v43, v19, v44
	v_lshl_add_u32 v44, v19, 3, v5
	v_lshlrev_b32_e32 v5, 3, v46
	v_lshlrev_b32_e32 v47, 4, v0
	v_cmp_lt_i32_e32 vcc, v24, v25
	v_cmp_lt_i32_e64 s[0:1], v26, v27
	v_cmp_lt_i32_e64 s[2:3], v28, v29
	;; [unrolled: 1-line block ×5, first 2 shown]
	v_add_u32_e32 v37, v10, v6
	v_add_u32_e32 v45, v22, v46
	v_lshl_add_u32 v46, v22, 3, v5
	s_movk_i32 s16, 0x80
	v_lshlrev_b32_e32 v48, 3, v9
	v_lshlrev_b32_e32 v49, 3, v12
	;; [unrolled: 1-line block ×5, first 2 shown]
	v_add_u32_e32 v53, 0x200, v47
	s_branch .LBB122_2
.LBB122_1:                              ;   in Loop: Header=BB122_2 Depth=1
	s_or_b64 exec, exec, s[12:13]
	s_waitcnt lgkmcnt(0)
	v_cmp_lt_i64_e64 s[12:13], v[7:8], v[5:6]
	v_cmp_le_i32_e64 s[14:15], 64, v54
	v_cndmask_b32_e64 v2, v2, v4, s[10:11]
	v_cndmask_b32_e64 v1, v1, v3, s[10:11]
	v_cmp_gt_i32_e64 s[10:11], s16, v55
	s_or_b64 s[12:13], s[14:15], s[12:13]
	s_and_b64 s[10:11], s[10:11], s[12:13]
	s_add_i32 s23, s23, 1
	v_cndmask_b32_e64 v4, v6, v8, s[10:11]
	s_cmp_eq_u32 s23, 10
	v_cndmask_b32_e64 v3, v5, v7, s[10:11]
	s_cbranch_scc1 .LBB122_50
.LBB122_2:                              ; =>This Loop Header: Depth=1
                                        ;     Child Loop BB122_4 Depth 2
                                        ;     Child Loop BB122_12 Depth 2
	;; [unrolled: 1-line block ×6, first 2 shown]
	s_waitcnt vmcnt(0)
	v_cmp_lt_i64_e64 s[10:11], v[3:4], v[1:2]
	v_cndmask_b32_e64 v6, v4, v2, s[10:11]
	v_cndmask_b32_e64 v5, v3, v1, s[10:11]
	;; [unrolled: 1-line block ×4, first 2 shown]
	; wave barrier
	ds_write2_b64 v47, v[1:2], v[5:6] offset1:1
	v_mov_b32_e32 v5, v24
	s_waitcnt lgkmcnt(0)
	; wave barrier
	s_and_saveexec_b64 s[12:13], vcc
	s_cbranch_execz .LBB122_6
; %bb.3:                                ;   in Loop: Header=BB122_2 Depth=1
	s_mov_b64 s[14:15], 0
	v_mov_b32_e32 v5, v24
	v_mov_b32_e32 v1, v25
.LBB122_4:                              ;   Parent Loop BB122_2 Depth=1
                                        ; =>  This Inner Loop Header: Depth=2
	v_sub_u32_e32 v2, v1, v5
	v_lshrrev_b32_e32 v2, 1, v2
	v_add_u32_e32 v4, v2, v5
	v_not_b32_e32 v3, v4
	v_lshl_add_u32 v2, v4, 3, v48
	v_lshl_add_u32 v6, v3, 3, v38
	ds_read_b64 v[2:3], v2
	ds_read_b64 v[6:7], v6
	v_add_u32_e32 v8, 1, v4
	s_waitcnt lgkmcnt(0)
	v_cmp_lt_i64_e64 s[10:11], v[6:7], v[2:3]
	v_cndmask_b32_e64 v1, v1, v4, s[10:11]
	v_cndmask_b32_e64 v5, v8, v5, s[10:11]
	v_cmp_ge_i32_e64 s[10:11], v5, v1
	s_or_b64 s[14:15], s[10:11], s[14:15]
	s_andn2_b64 exec, exec, s[14:15]
	s_cbranch_execnz .LBB122_4
; %bb.5:                                ;   in Loop: Header=BB122_2 Depth=1
	s_or_b64 exec, exec, s[14:15]
.LBB122_6:                              ;   in Loop: Header=BB122_2 Depth=1
	s_or_b64 exec, exec, s[12:13]
	v_sub_u32_e32 v54, v37, v5
	v_lshl_add_u32 v7, v5, 3, v48
	v_lshlrev_b32_e32 v56, 3, v54
	ds_read_b64 v[1:2], v7
	ds_read_b64 v[3:4], v56
	v_add_u32_e32 v55, v5, v9
	v_cmp_le_i32_e64 s[14:15], v10, v55
	v_cmp_gt_i32_e64 s[10:11], v11, v54
                                        ; implicit-def: $vgpr5_vgpr6
	s_waitcnt lgkmcnt(0)
	v_cmp_lt_i64_e64 s[12:13], v[3:4], v[1:2]
	s_or_b64 s[12:13], s[14:15], s[12:13]
	s_and_b64 s[10:11], s[10:11], s[12:13]
	s_xor_b64 s[12:13], s[10:11], -1
	s_and_saveexec_b64 s[14:15], s[12:13]
	s_xor_b64 s[12:13], exec, s[14:15]
; %bb.7:                                ;   in Loop: Header=BB122_2 Depth=1
	ds_read_b64 v[5:6], v7 offset:8
                                        ; implicit-def: $vgpr56
; %bb.8:                                ;   in Loop: Header=BB122_2 Depth=1
	s_or_saveexec_b64 s[12:13], s[12:13]
	v_mov_b32_e32 v8, v4
	v_mov_b32_e32 v7, v3
	s_xor_b64 exec, exec, s[12:13]
	s_cbranch_execz .LBB122_10
; %bb.9:                                ;   in Loop: Header=BB122_2 Depth=1
	ds_read_b64 v[7:8], v56 offset:8
	s_waitcnt lgkmcnt(1)
	v_mov_b32_e32 v6, v2
	v_mov_b32_e32 v5, v1
.LBB122_10:                             ;   in Loop: Header=BB122_2 Depth=1
	s_or_b64 exec, exec, s[12:13]
	v_cndmask_b32_e64 v2, v2, v4, s[10:11]
	v_add_u32_e32 v4, 1, v55
	v_cndmask_b32_e64 v1, v1, v3, s[10:11]
	v_add_u32_e32 v3, 1, v54
	v_cndmask_b32_e64 v4, v4, v55, s[10:11]
	s_waitcnt lgkmcnt(0)
	v_cmp_lt_i64_e64 s[12:13], v[7:8], v[5:6]
	v_cndmask_b32_e64 v3, v54, v3, s[10:11]
	v_cmp_ge_i32_e64 s[14:15], v4, v10
	v_cmp_lt_i32_e64 s[10:11], v3, v11
	s_or_b64 s[12:13], s[14:15], s[12:13]
	s_and_b64 s[10:11], s[10:11], s[12:13]
	v_cndmask_b32_e64 v4, v6, v8, s[10:11]
	v_cndmask_b32_e64 v3, v5, v7, s[10:11]
	v_mov_b32_e32 v5, v26
	; wave barrier
	ds_write2_b64 v47, v[1:2], v[3:4] offset1:1
	s_waitcnt lgkmcnt(0)
	; wave barrier
	s_and_saveexec_b64 s[12:13], s[0:1]
	s_cbranch_execz .LBB122_14
; %bb.11:                               ;   in Loop: Header=BB122_2 Depth=1
	s_mov_b64 s[14:15], 0
	v_mov_b32_e32 v5, v26
	v_mov_b32_e32 v1, v27
.LBB122_12:                             ;   Parent Loop BB122_2 Depth=1
                                        ; =>  This Inner Loop Header: Depth=2
	v_sub_u32_e32 v2, v1, v5
	v_lshrrev_b32_e32 v2, 1, v2
	v_add_u32_e32 v4, v2, v5
	v_not_b32_e32 v3, v4
	v_lshl_add_u32 v2, v4, 3, v49
	v_lshl_add_u32 v6, v3, 3, v40
	ds_read_b64 v[2:3], v2
	ds_read_b64 v[6:7], v6
	v_add_u32_e32 v8, 1, v4
	s_waitcnt lgkmcnt(0)
	v_cmp_lt_i64_e64 s[10:11], v[6:7], v[2:3]
	v_cndmask_b32_e64 v1, v1, v4, s[10:11]
	v_cndmask_b32_e64 v5, v8, v5, s[10:11]
	v_cmp_ge_i32_e64 s[10:11], v5, v1
	s_or_b64 s[14:15], s[10:11], s[14:15]
	s_andn2_b64 exec, exec, s[14:15]
	s_cbranch_execnz .LBB122_12
; %bb.13:                               ;   in Loop: Header=BB122_2 Depth=1
	s_or_b64 exec, exec, s[14:15]
.LBB122_14:                             ;   in Loop: Header=BB122_2 Depth=1
	s_or_b64 exec, exec, s[12:13]
	v_sub_u32_e32 v54, v39, v5
	v_lshl_add_u32 v7, v5, 3, v49
	v_lshlrev_b32_e32 v56, 3, v54
	ds_read_b64 v[1:2], v7
	ds_read_b64 v[3:4], v56
	v_add_u32_e32 v55, v5, v12
	v_cmp_le_i32_e64 s[14:15], v13, v55
	v_cmp_gt_i32_e64 s[10:11], v14, v54
                                        ; implicit-def: $vgpr5_vgpr6
	s_waitcnt lgkmcnt(0)
	v_cmp_lt_i64_e64 s[12:13], v[3:4], v[1:2]
	s_or_b64 s[12:13], s[14:15], s[12:13]
	s_and_b64 s[10:11], s[10:11], s[12:13]
	s_xor_b64 s[12:13], s[10:11], -1
	s_and_saveexec_b64 s[14:15], s[12:13]
	s_xor_b64 s[12:13], exec, s[14:15]
; %bb.15:                               ;   in Loop: Header=BB122_2 Depth=1
	ds_read_b64 v[5:6], v7 offset:8
                                        ; implicit-def: $vgpr56
; %bb.16:                               ;   in Loop: Header=BB122_2 Depth=1
	s_or_saveexec_b64 s[12:13], s[12:13]
	v_mov_b32_e32 v8, v4
	v_mov_b32_e32 v7, v3
	s_xor_b64 exec, exec, s[12:13]
	s_cbranch_execz .LBB122_18
; %bb.17:                               ;   in Loop: Header=BB122_2 Depth=1
	ds_read_b64 v[7:8], v56 offset:8
	s_waitcnt lgkmcnt(1)
	v_mov_b32_e32 v6, v2
	v_mov_b32_e32 v5, v1
.LBB122_18:                             ;   in Loop: Header=BB122_2 Depth=1
	s_or_b64 exec, exec, s[12:13]
	v_cndmask_b32_e64 v2, v2, v4, s[10:11]
	v_add_u32_e32 v4, 1, v55
	v_cndmask_b32_e64 v1, v1, v3, s[10:11]
	v_add_u32_e32 v3, 1, v54
	v_cndmask_b32_e64 v4, v4, v55, s[10:11]
	s_waitcnt lgkmcnt(0)
	v_cmp_lt_i64_e64 s[12:13], v[7:8], v[5:6]
	v_cndmask_b32_e64 v3, v54, v3, s[10:11]
	v_cmp_ge_i32_e64 s[14:15], v4, v13
	v_cmp_lt_i32_e64 s[10:11], v3, v14
	s_or_b64 s[12:13], s[14:15], s[12:13]
	s_and_b64 s[10:11], s[10:11], s[12:13]
	v_cndmask_b32_e64 v4, v6, v8, s[10:11]
	v_cndmask_b32_e64 v3, v5, v7, s[10:11]
	v_mov_b32_e32 v5, v28
	; wave barrier
	ds_write2_b64 v47, v[1:2], v[3:4] offset1:1
	s_waitcnt lgkmcnt(0)
	; wave barrier
	s_and_saveexec_b64 s[12:13], s[2:3]
	s_cbranch_execz .LBB122_22
; %bb.19:                               ;   in Loop: Header=BB122_2 Depth=1
	s_mov_b64 s[14:15], 0
	v_mov_b32_e32 v5, v28
	v_mov_b32_e32 v1, v29
.LBB122_20:                             ;   Parent Loop BB122_2 Depth=1
                                        ; =>  This Inner Loop Header: Depth=2
	v_sub_u32_e32 v2, v1, v5
	v_lshrrev_b32_e32 v2, 1, v2
	v_add_u32_e32 v4, v2, v5
	v_not_b32_e32 v3, v4
	v_lshl_add_u32 v2, v4, 3, v50
	v_lshl_add_u32 v6, v3, 3, v42
	ds_read_b64 v[2:3], v2
	ds_read_b64 v[6:7], v6
	v_add_u32_e32 v8, 1, v4
	s_waitcnt lgkmcnt(0)
	v_cmp_lt_i64_e64 s[10:11], v[6:7], v[2:3]
	v_cndmask_b32_e64 v1, v1, v4, s[10:11]
	v_cndmask_b32_e64 v5, v8, v5, s[10:11]
	v_cmp_ge_i32_e64 s[10:11], v5, v1
	s_or_b64 s[14:15], s[10:11], s[14:15]
	s_andn2_b64 exec, exec, s[14:15]
	s_cbranch_execnz .LBB122_20
; %bb.21:                               ;   in Loop: Header=BB122_2 Depth=1
	s_or_b64 exec, exec, s[14:15]
.LBB122_22:                             ;   in Loop: Header=BB122_2 Depth=1
	s_or_b64 exec, exec, s[12:13]
	v_sub_u32_e32 v54, v41, v5
	v_lshl_add_u32 v7, v5, 3, v50
	v_lshlrev_b32_e32 v56, 3, v54
	ds_read_b64 v[1:2], v7
	ds_read_b64 v[3:4], v56
	v_add_u32_e32 v55, v5, v15
	v_cmp_le_i32_e64 s[14:15], v16, v55
	v_cmp_gt_i32_e64 s[10:11], v17, v54
                                        ; implicit-def: $vgpr5_vgpr6
	s_waitcnt lgkmcnt(0)
	v_cmp_lt_i64_e64 s[12:13], v[3:4], v[1:2]
	s_or_b64 s[12:13], s[14:15], s[12:13]
	s_and_b64 s[10:11], s[10:11], s[12:13]
	s_xor_b64 s[12:13], s[10:11], -1
	s_and_saveexec_b64 s[14:15], s[12:13]
	s_xor_b64 s[12:13], exec, s[14:15]
; %bb.23:                               ;   in Loop: Header=BB122_2 Depth=1
	ds_read_b64 v[5:6], v7 offset:8
                                        ; implicit-def: $vgpr56
; %bb.24:                               ;   in Loop: Header=BB122_2 Depth=1
	s_or_saveexec_b64 s[12:13], s[12:13]
	v_mov_b32_e32 v8, v4
	v_mov_b32_e32 v7, v3
	s_xor_b64 exec, exec, s[12:13]
	s_cbranch_execz .LBB122_26
; %bb.25:                               ;   in Loop: Header=BB122_2 Depth=1
	ds_read_b64 v[7:8], v56 offset:8
	s_waitcnt lgkmcnt(1)
	v_mov_b32_e32 v6, v2
	v_mov_b32_e32 v5, v1
.LBB122_26:                             ;   in Loop: Header=BB122_2 Depth=1
	s_or_b64 exec, exec, s[12:13]
	v_cndmask_b32_e64 v2, v2, v4, s[10:11]
	v_add_u32_e32 v4, 1, v55
	v_cndmask_b32_e64 v1, v1, v3, s[10:11]
	v_add_u32_e32 v3, 1, v54
	v_cndmask_b32_e64 v4, v4, v55, s[10:11]
	s_waitcnt lgkmcnt(0)
	v_cmp_lt_i64_e64 s[12:13], v[7:8], v[5:6]
	v_cndmask_b32_e64 v3, v54, v3, s[10:11]
	v_cmp_ge_i32_e64 s[14:15], v4, v16
	v_cmp_lt_i32_e64 s[10:11], v3, v17
	s_or_b64 s[12:13], s[14:15], s[12:13]
	s_and_b64 s[10:11], s[10:11], s[12:13]
	v_cndmask_b32_e64 v4, v6, v8, s[10:11]
	v_cndmask_b32_e64 v3, v5, v7, s[10:11]
	v_mov_b32_e32 v5, v30
	; wave barrier
	ds_write2_b64 v47, v[1:2], v[3:4] offset1:1
	s_waitcnt lgkmcnt(0)
	; wave barrier
	s_and_saveexec_b64 s[12:13], s[4:5]
	s_cbranch_execz .LBB122_30
; %bb.27:                               ;   in Loop: Header=BB122_2 Depth=1
	s_mov_b64 s[14:15], 0
	v_mov_b32_e32 v5, v30
	v_mov_b32_e32 v1, v31
.LBB122_28:                             ;   Parent Loop BB122_2 Depth=1
                                        ; =>  This Inner Loop Header: Depth=2
	v_sub_u32_e32 v2, v1, v5
	v_lshrrev_b32_e32 v2, 1, v2
	v_add_u32_e32 v4, v2, v5
	v_not_b32_e32 v3, v4
	v_lshl_add_u32 v2, v4, 3, v51
	v_lshl_add_u32 v6, v3, 3, v44
	ds_read_b64 v[2:3], v2
	ds_read_b64 v[6:7], v6
	v_add_u32_e32 v8, 1, v4
	s_waitcnt lgkmcnt(0)
	v_cmp_lt_i64_e64 s[10:11], v[6:7], v[2:3]
	v_cndmask_b32_e64 v1, v1, v4, s[10:11]
	v_cndmask_b32_e64 v5, v8, v5, s[10:11]
	v_cmp_ge_i32_e64 s[10:11], v5, v1
	s_or_b64 s[14:15], s[10:11], s[14:15]
	s_andn2_b64 exec, exec, s[14:15]
	s_cbranch_execnz .LBB122_28
; %bb.29:                               ;   in Loop: Header=BB122_2 Depth=1
	s_or_b64 exec, exec, s[14:15]
.LBB122_30:                             ;   in Loop: Header=BB122_2 Depth=1
	s_or_b64 exec, exec, s[12:13]
	v_sub_u32_e32 v54, v43, v5
	v_lshl_add_u32 v7, v5, 3, v51
	v_lshlrev_b32_e32 v56, 3, v54
	ds_read_b64 v[1:2], v7
	ds_read_b64 v[3:4], v56
	v_add_u32_e32 v55, v5, v18
	v_cmp_le_i32_e64 s[14:15], v19, v55
	v_cmp_gt_i32_e64 s[10:11], v20, v54
                                        ; implicit-def: $vgpr5_vgpr6
	s_waitcnt lgkmcnt(0)
	v_cmp_lt_i64_e64 s[12:13], v[3:4], v[1:2]
	s_or_b64 s[12:13], s[14:15], s[12:13]
	s_and_b64 s[10:11], s[10:11], s[12:13]
	s_xor_b64 s[12:13], s[10:11], -1
	s_and_saveexec_b64 s[14:15], s[12:13]
	s_xor_b64 s[12:13], exec, s[14:15]
; %bb.31:                               ;   in Loop: Header=BB122_2 Depth=1
	ds_read_b64 v[5:6], v7 offset:8
                                        ; implicit-def: $vgpr56
; %bb.32:                               ;   in Loop: Header=BB122_2 Depth=1
	s_or_saveexec_b64 s[12:13], s[12:13]
	v_mov_b32_e32 v8, v4
	v_mov_b32_e32 v7, v3
	s_xor_b64 exec, exec, s[12:13]
	s_cbranch_execz .LBB122_34
; %bb.33:                               ;   in Loop: Header=BB122_2 Depth=1
	ds_read_b64 v[7:8], v56 offset:8
	s_waitcnt lgkmcnt(1)
	v_mov_b32_e32 v6, v2
	v_mov_b32_e32 v5, v1
.LBB122_34:                             ;   in Loop: Header=BB122_2 Depth=1
	s_or_b64 exec, exec, s[12:13]
	v_cndmask_b32_e64 v2, v2, v4, s[10:11]
	v_add_u32_e32 v4, 1, v55
	v_cndmask_b32_e64 v1, v1, v3, s[10:11]
	v_add_u32_e32 v3, 1, v54
	v_cndmask_b32_e64 v4, v4, v55, s[10:11]
	s_waitcnt lgkmcnt(0)
	v_cmp_lt_i64_e64 s[12:13], v[7:8], v[5:6]
	v_cndmask_b32_e64 v3, v54, v3, s[10:11]
	v_cmp_ge_i32_e64 s[14:15], v4, v19
	v_cmp_lt_i32_e64 s[10:11], v3, v20
	s_or_b64 s[12:13], s[14:15], s[12:13]
	s_and_b64 s[10:11], s[10:11], s[12:13]
	v_cndmask_b32_e64 v4, v6, v8, s[10:11]
	v_cndmask_b32_e64 v3, v5, v7, s[10:11]
	v_mov_b32_e32 v5, v32
	; wave barrier
	ds_write2_b64 v47, v[1:2], v[3:4] offset1:1
	s_waitcnt lgkmcnt(0)
	; wave barrier
	s_and_saveexec_b64 s[12:13], s[6:7]
	s_cbranch_execz .LBB122_38
; %bb.35:                               ;   in Loop: Header=BB122_2 Depth=1
	s_mov_b64 s[14:15], 0
	v_mov_b32_e32 v5, v32
	v_mov_b32_e32 v1, v33
.LBB122_36:                             ;   Parent Loop BB122_2 Depth=1
                                        ; =>  This Inner Loop Header: Depth=2
	v_sub_u32_e32 v2, v1, v5
	v_lshrrev_b32_e32 v2, 1, v2
	v_add_u32_e32 v4, v2, v5
	v_not_b32_e32 v3, v4
	v_lshl_add_u32 v2, v4, 3, v52
	v_lshl_add_u32 v6, v3, 3, v46
	ds_read_b64 v[2:3], v2
	ds_read_b64 v[6:7], v6
	v_add_u32_e32 v8, 1, v4
	s_waitcnt lgkmcnt(0)
	v_cmp_lt_i64_e64 s[10:11], v[6:7], v[2:3]
	v_cndmask_b32_e64 v1, v1, v4, s[10:11]
	v_cndmask_b32_e64 v5, v8, v5, s[10:11]
	v_cmp_ge_i32_e64 s[10:11], v5, v1
	s_or_b64 s[14:15], s[10:11], s[14:15]
	s_andn2_b64 exec, exec, s[14:15]
	s_cbranch_execnz .LBB122_36
; %bb.37:                               ;   in Loop: Header=BB122_2 Depth=1
	s_or_b64 exec, exec, s[14:15]
.LBB122_38:                             ;   in Loop: Header=BB122_2 Depth=1
	s_or_b64 exec, exec, s[12:13]
	v_sub_u32_e32 v54, v45, v5
	v_lshl_add_u32 v7, v5, 3, v52
	v_lshlrev_b32_e32 v56, 3, v54
	ds_read_b64 v[1:2], v7
	ds_read_b64 v[3:4], v56
	v_add_u32_e32 v55, v5, v21
	v_cmp_le_i32_e64 s[14:15], v22, v55
	v_cmp_gt_i32_e64 s[10:11], v23, v54
                                        ; implicit-def: $vgpr5_vgpr6
	s_waitcnt lgkmcnt(0)
	v_cmp_lt_i64_e64 s[12:13], v[3:4], v[1:2]
	s_or_b64 s[12:13], s[14:15], s[12:13]
	s_and_b64 s[10:11], s[10:11], s[12:13]
	s_xor_b64 s[12:13], s[10:11], -1
	s_and_saveexec_b64 s[14:15], s[12:13]
	s_xor_b64 s[12:13], exec, s[14:15]
; %bb.39:                               ;   in Loop: Header=BB122_2 Depth=1
	ds_read_b64 v[5:6], v7 offset:8
                                        ; implicit-def: $vgpr56
; %bb.40:                               ;   in Loop: Header=BB122_2 Depth=1
	s_or_saveexec_b64 s[12:13], s[12:13]
	v_mov_b32_e32 v8, v4
	v_mov_b32_e32 v7, v3
	s_xor_b64 exec, exec, s[12:13]
	s_cbranch_execz .LBB122_42
; %bb.41:                               ;   in Loop: Header=BB122_2 Depth=1
	ds_read_b64 v[7:8], v56 offset:8
	s_waitcnt lgkmcnt(1)
	v_mov_b32_e32 v6, v2
	v_mov_b32_e32 v5, v1
.LBB122_42:                             ;   in Loop: Header=BB122_2 Depth=1
	s_or_b64 exec, exec, s[12:13]
	v_cndmask_b32_e64 v2, v2, v4, s[10:11]
	v_add_u32_e32 v4, 1, v55
	v_cndmask_b32_e64 v1, v1, v3, s[10:11]
	v_add_u32_e32 v3, 1, v54
	v_cndmask_b32_e64 v4, v4, v55, s[10:11]
	s_waitcnt lgkmcnt(0)
	v_cmp_lt_i64_e64 s[12:13], v[7:8], v[5:6]
	v_cndmask_b32_e64 v3, v54, v3, s[10:11]
	v_cmp_ge_i32_e64 s[14:15], v4, v22
	v_cmp_lt_i32_e64 s[10:11], v3, v23
	s_or_b64 s[12:13], s[14:15], s[12:13]
	s_and_b64 s[10:11], s[10:11], s[12:13]
	v_cndmask_b32_e64 v4, v6, v8, s[10:11]
	v_cndmask_b32_e64 v3, v5, v7, s[10:11]
	v_mov_b32_e32 v54, v34
	; wave barrier
	ds_write2_b64 v47, v[1:2], v[3:4] offset1:1
	s_waitcnt lgkmcnt(0)
	; wave barrier
	s_and_saveexec_b64 s[12:13], s[8:9]
	s_cbranch_execz .LBB122_46
; %bb.43:                               ;   in Loop: Header=BB122_2 Depth=1
	s_mov_b64 s[14:15], 0
	v_mov_b32_e32 v54, v34
	v_mov_b32_e32 v1, v35
.LBB122_44:                             ;   Parent Loop BB122_2 Depth=1
                                        ; =>  This Inner Loop Header: Depth=2
	v_sub_u32_e32 v2, v1, v54
	v_lshrrev_b32_e32 v2, 1, v2
	v_add_u32_e32 v6, v2, v54
	v_not_b32_e32 v3, v6
	v_lshlrev_b32_e32 v2, 3, v6
	v_lshl_add_u32 v4, v3, 3, v53
	ds_read_b64 v[2:3], v2
	ds_read_b64 v[4:5], v4
	v_add_u32_e32 v7, 1, v6
	s_waitcnt lgkmcnt(0)
	v_cmp_lt_i64_e64 s[10:11], v[4:5], v[2:3]
	v_cndmask_b32_e64 v1, v1, v6, s[10:11]
	v_cndmask_b32_e64 v54, v7, v54, s[10:11]
	v_cmp_ge_i32_e64 s[10:11], v54, v1
	s_or_b64 s[14:15], s[10:11], s[14:15]
	s_andn2_b64 exec, exec, s[14:15]
	s_cbranch_execnz .LBB122_44
; %bb.45:                               ;   in Loop: Header=BB122_2 Depth=1
	s_or_b64 exec, exec, s[14:15]
.LBB122_46:                             ;   in Loop: Header=BB122_2 Depth=1
	s_or_b64 exec, exec, s[12:13]
	v_sub_u32_e32 v55, v36, v54
	v_lshlrev_b32_e32 v7, 3, v54
	v_lshlrev_b32_e32 v56, 3, v55
	ds_read_b64 v[1:2], v7
	ds_read_b64 v[3:4], v56
	v_cmp_le_i32_e64 s[14:15], 64, v54
	v_cmp_gt_i32_e64 s[10:11], s16, v55
                                        ; implicit-def: $vgpr5_vgpr6
	s_waitcnt lgkmcnt(0)
	v_cmp_lt_i64_e64 s[12:13], v[3:4], v[1:2]
	s_or_b64 s[12:13], s[14:15], s[12:13]
	s_and_b64 s[10:11], s[10:11], s[12:13]
	s_xor_b64 s[12:13], s[10:11], -1
	s_and_saveexec_b64 s[14:15], s[12:13]
	s_xor_b64 s[12:13], exec, s[14:15]
; %bb.47:                               ;   in Loop: Header=BB122_2 Depth=1
	ds_read_b64 v[5:6], v7 offset:8
	v_add_u32_e32 v54, 1, v54
                                        ; implicit-def: $vgpr56
; %bb.48:                               ;   in Loop: Header=BB122_2 Depth=1
	s_or_saveexec_b64 s[12:13], s[12:13]
	v_mov_b32_e32 v8, v4
	v_mov_b32_e32 v7, v3
	s_xor_b64 exec, exec, s[12:13]
	s_cbranch_execz .LBB122_1
; %bb.49:                               ;   in Loop: Header=BB122_2 Depth=1
	ds_read_b64 v[7:8], v56 offset:8
	s_waitcnt lgkmcnt(1)
	v_mov_b32_e32 v6, v2
	v_add_u32_e32 v55, 1, v55
	v_mov_b32_e32 v5, v1
	s_branch .LBB122_1
.LBB122_50:
	s_add_u32 s0, s18, s20
	s_addc_u32 s1, s19, s21
	v_lshlrev_b32_e32 v0, 3, v0
	global_store_dwordx2 v0, v[1:2], s[0:1]
	global_store_dwordx2 v0, v[3:4], s[0:1] offset:512
	s_endpgm
	.section	.rodata,"a",@progbits
	.p2align	6, 0x0
	.amdhsa_kernel _Z16sort_keys_kernelIxLj64ELj2EN10test_utils4lessELj10EEvPKT_PS2_T2_
		.amdhsa_group_segment_fixed_size 1032
		.amdhsa_private_segment_fixed_size 0
		.amdhsa_kernarg_size 20
		.amdhsa_user_sgpr_count 6
		.amdhsa_user_sgpr_private_segment_buffer 1
		.amdhsa_user_sgpr_dispatch_ptr 0
		.amdhsa_user_sgpr_queue_ptr 0
		.amdhsa_user_sgpr_kernarg_segment_ptr 1
		.amdhsa_user_sgpr_dispatch_id 0
		.amdhsa_user_sgpr_flat_scratch_init 0
		.amdhsa_user_sgpr_private_segment_size 0
		.amdhsa_uses_dynamic_stack 0
		.amdhsa_system_sgpr_private_segment_wavefront_offset 0
		.amdhsa_system_sgpr_workgroup_id_x 1
		.amdhsa_system_sgpr_workgroup_id_y 0
		.amdhsa_system_sgpr_workgroup_id_z 0
		.amdhsa_system_sgpr_workgroup_info 0
		.amdhsa_system_vgpr_workitem_id 0
		.amdhsa_next_free_vgpr 57
		.amdhsa_next_free_sgpr 24
		.amdhsa_reserve_vcc 1
		.amdhsa_reserve_flat_scratch 0
		.amdhsa_float_round_mode_32 0
		.amdhsa_float_round_mode_16_64 0
		.amdhsa_float_denorm_mode_32 3
		.amdhsa_float_denorm_mode_16_64 3
		.amdhsa_dx10_clamp 1
		.amdhsa_ieee_mode 1
		.amdhsa_fp16_overflow 0
		.amdhsa_exception_fp_ieee_invalid_op 0
		.amdhsa_exception_fp_denorm_src 0
		.amdhsa_exception_fp_ieee_div_zero 0
		.amdhsa_exception_fp_ieee_overflow 0
		.amdhsa_exception_fp_ieee_underflow 0
		.amdhsa_exception_fp_ieee_inexact 0
		.amdhsa_exception_int_div_zero 0
	.end_amdhsa_kernel
	.section	.text._Z16sort_keys_kernelIxLj64ELj2EN10test_utils4lessELj10EEvPKT_PS2_T2_,"axG",@progbits,_Z16sort_keys_kernelIxLj64ELj2EN10test_utils4lessELj10EEvPKT_PS2_T2_,comdat
.Lfunc_end122:
	.size	_Z16sort_keys_kernelIxLj64ELj2EN10test_utils4lessELj10EEvPKT_PS2_T2_, .Lfunc_end122-_Z16sort_keys_kernelIxLj64ELj2EN10test_utils4lessELj10EEvPKT_PS2_T2_
                                        ; -- End function
	.set _Z16sort_keys_kernelIxLj64ELj2EN10test_utils4lessELj10EEvPKT_PS2_T2_.num_vgpr, 57
	.set _Z16sort_keys_kernelIxLj64ELj2EN10test_utils4lessELj10EEvPKT_PS2_T2_.num_agpr, 0
	.set _Z16sort_keys_kernelIxLj64ELj2EN10test_utils4lessELj10EEvPKT_PS2_T2_.numbered_sgpr, 24
	.set _Z16sort_keys_kernelIxLj64ELj2EN10test_utils4lessELj10EEvPKT_PS2_T2_.num_named_barrier, 0
	.set _Z16sort_keys_kernelIxLj64ELj2EN10test_utils4lessELj10EEvPKT_PS2_T2_.private_seg_size, 0
	.set _Z16sort_keys_kernelIxLj64ELj2EN10test_utils4lessELj10EEvPKT_PS2_T2_.uses_vcc, 1
	.set _Z16sort_keys_kernelIxLj64ELj2EN10test_utils4lessELj10EEvPKT_PS2_T2_.uses_flat_scratch, 0
	.set _Z16sort_keys_kernelIxLj64ELj2EN10test_utils4lessELj10EEvPKT_PS2_T2_.has_dyn_sized_stack, 0
	.set _Z16sort_keys_kernelIxLj64ELj2EN10test_utils4lessELj10EEvPKT_PS2_T2_.has_recursion, 0
	.set _Z16sort_keys_kernelIxLj64ELj2EN10test_utils4lessELj10EEvPKT_PS2_T2_.has_indirect_call, 0
	.section	.AMDGPU.csdata,"",@progbits
; Kernel info:
; codeLenInByte = 2780
; TotalNumSgprs: 28
; NumVgprs: 57
; ScratchSize: 0
; MemoryBound: 0
; FloatMode: 240
; IeeeMode: 1
; LDSByteSize: 1032 bytes/workgroup (compile time only)
; SGPRBlocks: 3
; VGPRBlocks: 14
; NumSGPRsForWavesPerEU: 28
; NumVGPRsForWavesPerEU: 57
; Occupancy: 4
; WaveLimiterHint : 1
; COMPUTE_PGM_RSRC2:SCRATCH_EN: 0
; COMPUTE_PGM_RSRC2:USER_SGPR: 6
; COMPUTE_PGM_RSRC2:TRAP_HANDLER: 0
; COMPUTE_PGM_RSRC2:TGID_X_EN: 1
; COMPUTE_PGM_RSRC2:TGID_Y_EN: 0
; COMPUTE_PGM_RSRC2:TGID_Z_EN: 0
; COMPUTE_PGM_RSRC2:TIDIG_COMP_CNT: 0
	.section	.text._Z17sort_pairs_kernelIxLj64ELj2EN10test_utils4lessELj10EEvPKT_PS2_T2_,"axG",@progbits,_Z17sort_pairs_kernelIxLj64ELj2EN10test_utils4lessELj10EEvPKT_PS2_T2_,comdat
	.protected	_Z17sort_pairs_kernelIxLj64ELj2EN10test_utils4lessELj10EEvPKT_PS2_T2_ ; -- Begin function _Z17sort_pairs_kernelIxLj64ELj2EN10test_utils4lessELj10EEvPKT_PS2_T2_
	.globl	_Z17sort_pairs_kernelIxLj64ELj2EN10test_utils4lessELj10EEvPKT_PS2_T2_
	.p2align	8
	.type	_Z17sort_pairs_kernelIxLj64ELj2EN10test_utils4lessELj10EEvPKT_PS2_T2_,@function
_Z17sort_pairs_kernelIxLj64ELj2EN10test_utils4lessELj10EEvPKT_PS2_T2_: ; @_Z17sort_pairs_kernelIxLj64ELj2EN10test_utils4lessELj10EEvPKT_PS2_T2_
; %bb.0:
	s_load_dwordx4 s[16:19], s[4:5], 0x0
	s_lshl_b32 s22, s6, 7
	s_mov_b32 s23, 0
	s_lshl_b64 s[20:21], s[22:23], 3
	v_lshlrev_b32_e32 v1, 3, v0
	s_waitcnt lgkmcnt(0)
	s_add_u32 s0, s16, s20
	s_addc_u32 s1, s17, s21
	global_load_dwordx2 v[5:6], v1, s[0:1]
	global_load_dwordx2 v[7:8], v1, s[0:1] offset:512
	v_lshlrev_b32_e32 v1, 1, v0
	v_and_b32_e32 v13, 0x7c, v1
	v_and_b32_e32 v2, 2, v1
	;; [unrolled: 1-line block ×3, first 2 shown]
	v_or_b32_e32 v21, 2, v13
	v_add_u32_e32 v22, 4, v13
	v_and_b32_e32 v3, 6, v1
	v_and_b32_e32 v15, 0x70, v1
	;; [unrolled: 1-line block ×7, first 2 shown]
	v_sub_u32_e64 v18, v1, 64 clamp
	v_min_i32_e32 v19, 64, v1
	v_add_u32_e32 v20, 64, v1
	v_or_b32_e32 v23, 4, v14
	v_add_u32_e32 v24, 8, v14
	v_lshlrev_b32_e32 v1, 3, v2
	v_sub_u32_e32 v42, v22, v21
	v_or_b32_e32 v25, 8, v15
	v_add_u32_e32 v26, 16, v15
	v_lshlrev_b32_e32 v11, 3, v3
	v_sub_u32_e32 v43, v24, v23
	v_lshl_add_u32 v32, v21, 3, v1
	v_sub_u32_e32 v1, v2, v42
	v_cmp_ge_i32_e64 s[0:1], v2, v42
	v_or_b32_e32 v27, 16, v16
	v_add_u32_e32 v28, 32, v16
	v_lshlrev_b32_e32 v12, 3, v4
	v_sub_u32_e32 v44, v26, v25
	v_lshl_add_u32 v34, v23, 3, v11
	v_sub_u32_e32 v11, v3, v43
	v_cndmask_b32_e64 v42, 0, v1, s[0:1]
	v_cmp_ge_i32_e64 s[0:1], v3, v43
	v_or_b32_e32 v29, 32, v17
	v_add_u32_e32 v30, 64, v17
	v_sub_u32_e32 v45, v28, v27
	v_lshl_add_u32 v36, v25, 3, v12
	v_sub_u32_e32 v12, v4, v44
	v_cndmask_b32_e64 v43, 0, v11, s[0:1]
	v_cmp_ge_i32_e64 s[0:1], v4, v44
	v_sub_u32_e32 v46, v30, v29
	v_sub_u32_e32 v37, v21, v13
	v_sub_u32_e32 v40, v27, v16
	v_sub_u32_e32 v47, v9, v45
	v_cndmask_b32_e64 v44, 0, v12, s[0:1]
	v_cmp_ge_i32_e64 s[0:1], v9, v45
	v_sub_u32_e32 v38, v23, v14
	v_sub_u32_e32 v39, v25, v15
	;; [unrolled: 1-line block ×3, first 2 shown]
	v_add_u32_e32 v31, v21, v2
	v_sub_u32_e32 v48, v10, v46
	v_min_i32_e32 v37, v2, v37
	v_min_i32_e32 v40, v9, v40
	v_cndmask_b32_e64 v45, 0, v47, s[0:1]
	v_cmp_ge_i32_e64 s[0:1], v10, v46
	v_add_u32_e32 v47, v27, v9
	v_lshlrev_b32_e32 v9, 3, v9
	v_add_u32_e32 v33, v23, v3
	v_min_i32_e32 v38, v3, v38
	v_min_i32_e32 v39, v4, v39
	;; [unrolled: 1-line block ×3, first 2 shown]
	v_cndmask_b32_e64 v46, 0, v48, s[0:1]
	v_lshl_add_u32 v48, v27, 3, v9
	v_lshlrev_b32_e32 v9, 3, v10
	v_lshlrev_b32_e32 v51, 4, v0
	v_cmp_lt_i32_e32 vcc, v18, v19
	v_add_u32_e32 v35, v25, v4
	v_cmp_lt_i32_e64 s[0:1], v42, v37
	v_cmp_lt_i32_e64 s[2:3], v43, v38
	;; [unrolled: 1-line block ×5, first 2 shown]
	v_add_u32_e32 v49, v29, v10
	v_lshl_add_u32 v50, v29, 3, v9
	s_movk_i32 s22, 0x80
	v_lshlrev_b32_e32 v52, 3, v13
	s_waitcnt vmcnt(1)
	v_add_co_u32_e64 v1, s[10:11], 1, v5
	v_addc_co_u32_e64 v2, s[10:11], 0, v6, s[10:11]
	s_waitcnt vmcnt(0)
	v_add_co_u32_e64 v3, s[10:11], 1, v7
	v_addc_co_u32_e64 v4, s[10:11], 0, v8, s[10:11]
	v_lshlrev_b32_e32 v53, 3, v14
	v_lshlrev_b32_e32 v54, 3, v15
	;; [unrolled: 1-line block ×4, first 2 shown]
	v_add_u32_e32 v57, 0x200, v51
	s_branch .LBB123_2
.LBB123_1:                              ;   in Loop: Header=BB123_2 Depth=1
	s_or_b64 exec, exec, s[12:13]
	s_waitcnt lgkmcnt(0)
	v_cmp_lt_i64_e64 s[14:15], v[11:12], v[9:10]
	v_cmp_le_i32_e64 s[16:17], 64, v60
	v_cmp_gt_i32_e64 s[12:13], s22, v59
	s_or_b64 s[14:15], s[16:17], s[14:15]
	s_and_b64 s[12:13], s[12:13], s[14:15]
	v_cndmask_b32_e64 v6, v6, v8, s[10:11]
	v_cndmask_b32_e64 v8, v10, v12, s[12:13]
	;; [unrolled: 1-line block ×3, first 2 shown]
	; wave barrier
	ds_write2_b64 v51, v[1:2], v[3:4] offset1:1
	v_lshlrev_b32_e32 v1, 3, v61
	v_lshlrev_b32_e32 v3, 3, v10
	s_waitcnt lgkmcnt(0)
	; wave barrier
	ds_read_b64 v[1:2], v1
	ds_read_b64 v[3:4], v3
	s_add_i32 s23, s23, 1
	v_cndmask_b32_e64 v5, v5, v7, s[10:11]
	s_cmp_eq_u32 s23, 10
	v_cndmask_b32_e64 v7, v9, v11, s[12:13]
	s_cbranch_scc1 .LBB123_50
.LBB123_2:                              ; =>This Loop Header: Depth=1
                                        ;     Child Loop BB123_4 Depth 2
                                        ;     Child Loop BB123_12 Depth 2
	;; [unrolled: 1-line block ×6, first 2 shown]
	v_cmp_lt_i64_e64 s[10:11], v[7:8], v[5:6]
	v_cndmask_b32_e64 v10, v8, v6, s[10:11]
	v_cndmask_b32_e64 v9, v7, v5, s[10:11]
	v_cndmask_b32_e64 v6, v6, v8, s[10:11]
	v_cndmask_b32_e64 v5, v5, v7, s[10:11]
	; wave barrier
	ds_write2_b64 v51, v[5:6], v[9:10] offset1:1
	v_mov_b32_e32 v5, v42
	s_waitcnt lgkmcnt(0)
	; wave barrier
	s_and_saveexec_b64 s[14:15], s[0:1]
	s_cbranch_execz .LBB123_6
; %bb.3:                                ;   in Loop: Header=BB123_2 Depth=1
	s_mov_b64 s[16:17], 0
	v_mov_b32_e32 v5, v42
	v_mov_b32_e32 v6, v37
.LBB123_4:                              ;   Parent Loop BB123_2 Depth=1
                                        ; =>  This Inner Loop Header: Depth=2
	v_sub_u32_e32 v7, v6, v5
	v_lshrrev_b32_e32 v7, 1, v7
	v_add_u32_e32 v11, v7, v5
	v_not_b32_e32 v8, v11
	v_lshl_add_u32 v7, v11, 3, v52
	v_lshl_add_u32 v9, v8, 3, v32
	ds_read_b64 v[7:8], v7
	ds_read_b64 v[9:10], v9
	v_add_u32_e32 v12, 1, v11
	s_waitcnt lgkmcnt(0)
	v_cmp_lt_i64_e64 s[12:13], v[9:10], v[7:8]
	v_cndmask_b32_e64 v6, v6, v11, s[12:13]
	v_cndmask_b32_e64 v5, v12, v5, s[12:13]
	v_cmp_ge_i32_e64 s[12:13], v5, v6
	s_or_b64 s[16:17], s[12:13], s[16:17]
	s_andn2_b64 exec, exec, s[16:17]
	s_cbranch_execnz .LBB123_4
; %bb.5:                                ;   in Loop: Header=BB123_2 Depth=1
	s_or_b64 exec, exec, s[16:17]
.LBB123_6:                              ;   in Loop: Header=BB123_2 Depth=1
	s_or_b64 exec, exec, s[14:15]
	v_sub_u32_e32 v58, v31, v5
	v_lshl_add_u32 v11, v5, 3, v52
	v_lshlrev_b32_e32 v60, 3, v58
	ds_read_b64 v[7:8], v11
	ds_read_b64 v[9:10], v60
	v_add_u32_e32 v59, v5, v13
	v_cmp_le_i32_e64 s[16:17], v21, v59
	v_cmp_gt_i32_e64 s[12:13], v22, v58
                                        ; implicit-def: $vgpr5_vgpr6
	s_waitcnt lgkmcnt(0)
	v_cmp_lt_i64_e64 s[14:15], v[9:10], v[7:8]
	s_or_b64 s[14:15], s[16:17], s[14:15]
	s_and_b64 s[12:13], s[12:13], s[14:15]
	s_xor_b64 s[14:15], s[12:13], -1
	s_and_saveexec_b64 s[16:17], s[14:15]
	s_xor_b64 s[14:15], exec, s[16:17]
; %bb.7:                                ;   in Loop: Header=BB123_2 Depth=1
	ds_read_b64 v[5:6], v11 offset:8
                                        ; implicit-def: $vgpr60
; %bb.8:                                ;   in Loop: Header=BB123_2 Depth=1
	s_or_saveexec_b64 s[14:15], s[14:15]
	v_mov_b32_e32 v12, v10
	v_mov_b32_e32 v11, v9
	s_xor_b64 exec, exec, s[14:15]
	s_cbranch_execz .LBB123_10
; %bb.9:                                ;   in Loop: Header=BB123_2 Depth=1
	ds_read_b64 v[11:12], v60 offset:8
	s_waitcnt lgkmcnt(1)
	v_mov_b32_e32 v5, v7
	v_mov_b32_e32 v6, v8
.LBB123_10:                             ;   in Loop: Header=BB123_2 Depth=1
	s_or_b64 exec, exec, s[14:15]
	v_cndmask_b32_e64 v8, v8, v10, s[12:13]
	v_cndmask_b32_e64 v7, v7, v9, s[12:13]
	v_add_u32_e32 v9, 1, v58
	v_add_u32_e32 v10, 1, v59
	v_cndmask_b32_e64 v60, v58, v9, s[12:13]
	v_cndmask_b32_e64 v61, v10, v59, s[12:13]
	;; [unrolled: 1-line block ×3, first 2 shown]
	s_waitcnt lgkmcnt(0)
	v_cmp_lt_i64_e64 s[12:13], v[11:12], v[5:6]
	v_cmp_ge_i32_e64 s[14:15], v61, v21
	v_cndmask_b32_e64 v10, v4, v2, s[10:11]
	v_cndmask_b32_e64 v9, v3, v1, s[10:11]
	;; [unrolled: 1-line block ×4, first 2 shown]
	v_cmp_lt_i32_e64 s[10:11], v60, v22
	s_or_b64 s[12:13], s[14:15], s[12:13]
	s_and_b64 s[10:11], s[10:11], s[12:13]
	v_cndmask_b32_e64 v3, v61, v60, s[10:11]
	; wave barrier
	ds_write2_b64 v51, v[1:2], v[9:10] offset1:1
	v_lshlrev_b32_e32 v1, 3, v58
	v_lshlrev_b32_e32 v3, 3, v3
	s_waitcnt lgkmcnt(0)
	; wave barrier
	ds_read_b64 v[1:2], v1
	ds_read_b64 v[3:4], v3
	v_cndmask_b32_e64 v6, v6, v12, s[10:11]
	v_cndmask_b32_e64 v5, v5, v11, s[10:11]
	s_waitcnt lgkmcnt(0)
	; wave barrier
	ds_write2_b64 v51, v[7:8], v[5:6] offset1:1
	v_mov_b32_e32 v7, v43
	s_waitcnt lgkmcnt(0)
	; wave barrier
	s_and_saveexec_b64 s[12:13], s[2:3]
	s_cbranch_execz .LBB123_14
; %bb.11:                               ;   in Loop: Header=BB123_2 Depth=1
	s_mov_b64 s[14:15], 0
	v_mov_b32_e32 v7, v43
	v_mov_b32_e32 v5, v38
.LBB123_12:                             ;   Parent Loop BB123_2 Depth=1
                                        ; =>  This Inner Loop Header: Depth=2
	v_sub_u32_e32 v6, v5, v7
	v_lshrrev_b32_e32 v6, 1, v6
	v_add_u32_e32 v6, v6, v7
	v_not_b32_e32 v9, v6
	v_lshl_add_u32 v8, v6, 3, v53
	v_lshl_add_u32 v10, v9, 3, v34
	ds_read_b64 v[8:9], v8
	ds_read_b64 v[10:11], v10
	v_add_u32_e32 v12, 1, v6
	s_waitcnt lgkmcnt(0)
	v_cmp_lt_i64_e64 s[10:11], v[10:11], v[8:9]
	v_cndmask_b32_e64 v5, v5, v6, s[10:11]
	v_cndmask_b32_e64 v7, v12, v7, s[10:11]
	v_cmp_ge_i32_e64 s[10:11], v7, v5
	s_or_b64 s[14:15], s[10:11], s[14:15]
	s_andn2_b64 exec, exec, s[14:15]
	s_cbranch_execnz .LBB123_12
; %bb.13:                               ;   in Loop: Header=BB123_2 Depth=1
	s_or_b64 exec, exec, s[14:15]
.LBB123_14:                             ;   in Loop: Header=BB123_2 Depth=1
	s_or_b64 exec, exec, s[12:13]
	v_sub_u32_e32 v58, v33, v7
	v_lshl_add_u32 v11, v7, 3, v53
	v_lshlrev_b32_e32 v60, 3, v58
	ds_read_b64 v[5:6], v11
	ds_read_b64 v[9:10], v60
	v_add_u32_e32 v59, v7, v14
	v_cmp_le_i32_e64 s[14:15], v23, v59
	v_cmp_gt_i32_e64 s[10:11], v24, v58
                                        ; implicit-def: $vgpr7_vgpr8
	s_waitcnt lgkmcnt(0)
	v_cmp_lt_i64_e64 s[12:13], v[9:10], v[5:6]
	s_or_b64 s[12:13], s[14:15], s[12:13]
	s_and_b64 s[10:11], s[10:11], s[12:13]
	s_xor_b64 s[12:13], s[10:11], -1
	s_and_saveexec_b64 s[14:15], s[12:13]
	s_xor_b64 s[12:13], exec, s[14:15]
; %bb.15:                               ;   in Loop: Header=BB123_2 Depth=1
	ds_read_b64 v[7:8], v11 offset:8
                                        ; implicit-def: $vgpr60
; %bb.16:                               ;   in Loop: Header=BB123_2 Depth=1
	s_or_saveexec_b64 s[12:13], s[12:13]
	v_mov_b32_e32 v12, v10
	v_mov_b32_e32 v11, v9
	s_xor_b64 exec, exec, s[12:13]
	s_cbranch_execz .LBB123_18
; %bb.17:                               ;   in Loop: Header=BB123_2 Depth=1
	ds_read_b64 v[11:12], v60 offset:8
	s_waitcnt lgkmcnt(1)
	v_mov_b32_e32 v8, v6
	v_mov_b32_e32 v7, v5
.LBB123_18:                             ;   in Loop: Header=BB123_2 Depth=1
	s_or_b64 exec, exec, s[12:13]
	v_cndmask_b32_e64 v6, v6, v10, s[10:11]
	v_add_u32_e32 v10, 1, v59
	v_cndmask_b32_e64 v5, v5, v9, s[10:11]
	v_add_u32_e32 v9, 1, v58
	v_cndmask_b32_e64 v10, v10, v59, s[10:11]
	s_waitcnt lgkmcnt(0)
	v_cmp_lt_i64_e64 s[12:13], v[11:12], v[7:8]
	v_cndmask_b32_e64 v9, v58, v9, s[10:11]
	v_cmp_ge_i32_e64 s[14:15], v10, v23
	v_cndmask_b32_e64 v58, v59, v58, s[10:11]
	v_cmp_lt_i32_e64 s[10:11], v9, v24
	s_or_b64 s[12:13], s[14:15], s[12:13]
	s_and_b64 s[10:11], s[10:11], s[12:13]
	v_cndmask_b32_e64 v9, v10, v9, s[10:11]
	; wave barrier
	ds_write2_b64 v51, v[1:2], v[3:4] offset1:1
	v_lshlrev_b32_e32 v1, 3, v58
	v_lshlrev_b32_e32 v3, 3, v9
	s_waitcnt lgkmcnt(0)
	; wave barrier
	ds_read_b64 v[1:2], v1
	ds_read_b64 v[3:4], v3
	v_cndmask_b32_e64 v8, v8, v12, s[10:11]
	v_cndmask_b32_e64 v7, v7, v11, s[10:11]
	s_waitcnt lgkmcnt(0)
	; wave barrier
	ds_write2_b64 v51, v[5:6], v[7:8] offset1:1
	v_mov_b32_e32 v7, v44
	s_waitcnt lgkmcnt(0)
	; wave barrier
	s_and_saveexec_b64 s[12:13], s[4:5]
	s_cbranch_execz .LBB123_22
; %bb.19:                               ;   in Loop: Header=BB123_2 Depth=1
	s_mov_b64 s[14:15], 0
	v_mov_b32_e32 v7, v44
	v_mov_b32_e32 v5, v39
.LBB123_20:                             ;   Parent Loop BB123_2 Depth=1
                                        ; =>  This Inner Loop Header: Depth=2
	v_sub_u32_e32 v6, v5, v7
	v_lshrrev_b32_e32 v6, 1, v6
	v_add_u32_e32 v6, v6, v7
	v_not_b32_e32 v9, v6
	v_lshl_add_u32 v8, v6, 3, v54
	v_lshl_add_u32 v10, v9, 3, v36
	ds_read_b64 v[8:9], v8
	ds_read_b64 v[10:11], v10
	v_add_u32_e32 v12, 1, v6
	s_waitcnt lgkmcnt(0)
	v_cmp_lt_i64_e64 s[10:11], v[10:11], v[8:9]
	v_cndmask_b32_e64 v5, v5, v6, s[10:11]
	v_cndmask_b32_e64 v7, v12, v7, s[10:11]
	v_cmp_ge_i32_e64 s[10:11], v7, v5
	s_or_b64 s[14:15], s[10:11], s[14:15]
	s_andn2_b64 exec, exec, s[14:15]
	s_cbranch_execnz .LBB123_20
; %bb.21:                               ;   in Loop: Header=BB123_2 Depth=1
	s_or_b64 exec, exec, s[14:15]
.LBB123_22:                             ;   in Loop: Header=BB123_2 Depth=1
	s_or_b64 exec, exec, s[12:13]
	v_sub_u32_e32 v58, v35, v7
	v_lshl_add_u32 v11, v7, 3, v54
	v_lshlrev_b32_e32 v60, 3, v58
	ds_read_b64 v[5:6], v11
	ds_read_b64 v[9:10], v60
	v_add_u32_e32 v59, v7, v15
	v_cmp_le_i32_e64 s[14:15], v25, v59
	v_cmp_gt_i32_e64 s[10:11], v26, v58
                                        ; implicit-def: $vgpr7_vgpr8
	s_waitcnt lgkmcnt(0)
	v_cmp_lt_i64_e64 s[12:13], v[9:10], v[5:6]
	s_or_b64 s[12:13], s[14:15], s[12:13]
	s_and_b64 s[10:11], s[10:11], s[12:13]
	s_xor_b64 s[12:13], s[10:11], -1
	s_and_saveexec_b64 s[14:15], s[12:13]
	s_xor_b64 s[12:13], exec, s[14:15]
; %bb.23:                               ;   in Loop: Header=BB123_2 Depth=1
	ds_read_b64 v[7:8], v11 offset:8
                                        ; implicit-def: $vgpr60
; %bb.24:                               ;   in Loop: Header=BB123_2 Depth=1
	s_or_saveexec_b64 s[12:13], s[12:13]
	v_mov_b32_e32 v12, v10
	v_mov_b32_e32 v11, v9
	s_xor_b64 exec, exec, s[12:13]
	s_cbranch_execz .LBB123_26
; %bb.25:                               ;   in Loop: Header=BB123_2 Depth=1
	ds_read_b64 v[11:12], v60 offset:8
	s_waitcnt lgkmcnt(1)
	v_mov_b32_e32 v8, v6
	v_mov_b32_e32 v7, v5
.LBB123_26:                             ;   in Loop: Header=BB123_2 Depth=1
	s_or_b64 exec, exec, s[12:13]
	v_cndmask_b32_e64 v6, v6, v10, s[10:11]
	v_add_u32_e32 v10, 1, v59
	v_cndmask_b32_e64 v5, v5, v9, s[10:11]
	v_add_u32_e32 v9, 1, v58
	v_cndmask_b32_e64 v10, v10, v59, s[10:11]
	s_waitcnt lgkmcnt(0)
	v_cmp_lt_i64_e64 s[12:13], v[11:12], v[7:8]
	v_cndmask_b32_e64 v9, v58, v9, s[10:11]
	v_cmp_ge_i32_e64 s[14:15], v10, v25
	v_cndmask_b32_e64 v58, v59, v58, s[10:11]
	v_cmp_lt_i32_e64 s[10:11], v9, v26
	s_or_b64 s[12:13], s[14:15], s[12:13]
	s_and_b64 s[10:11], s[10:11], s[12:13]
	v_cndmask_b32_e64 v9, v10, v9, s[10:11]
	; wave barrier
	ds_write2_b64 v51, v[1:2], v[3:4] offset1:1
	v_lshlrev_b32_e32 v1, 3, v58
	v_lshlrev_b32_e32 v3, 3, v9
	s_waitcnt lgkmcnt(0)
	; wave barrier
	ds_read_b64 v[1:2], v1
	ds_read_b64 v[3:4], v3
	v_cndmask_b32_e64 v8, v8, v12, s[10:11]
	v_cndmask_b32_e64 v7, v7, v11, s[10:11]
	s_waitcnt lgkmcnt(0)
	; wave barrier
	ds_write2_b64 v51, v[5:6], v[7:8] offset1:1
	v_mov_b32_e32 v7, v45
	s_waitcnt lgkmcnt(0)
	; wave barrier
	s_and_saveexec_b64 s[12:13], s[6:7]
	s_cbranch_execz .LBB123_30
; %bb.27:                               ;   in Loop: Header=BB123_2 Depth=1
	s_mov_b64 s[14:15], 0
	v_mov_b32_e32 v7, v45
	v_mov_b32_e32 v5, v40
.LBB123_28:                             ;   Parent Loop BB123_2 Depth=1
                                        ; =>  This Inner Loop Header: Depth=2
	v_sub_u32_e32 v6, v5, v7
	v_lshrrev_b32_e32 v6, 1, v6
	v_add_u32_e32 v6, v6, v7
	v_not_b32_e32 v9, v6
	v_lshl_add_u32 v8, v6, 3, v55
	v_lshl_add_u32 v10, v9, 3, v48
	ds_read_b64 v[8:9], v8
	ds_read_b64 v[10:11], v10
	v_add_u32_e32 v12, 1, v6
	s_waitcnt lgkmcnt(0)
	v_cmp_lt_i64_e64 s[10:11], v[10:11], v[8:9]
	v_cndmask_b32_e64 v5, v5, v6, s[10:11]
	v_cndmask_b32_e64 v7, v12, v7, s[10:11]
	v_cmp_ge_i32_e64 s[10:11], v7, v5
	s_or_b64 s[14:15], s[10:11], s[14:15]
	s_andn2_b64 exec, exec, s[14:15]
	s_cbranch_execnz .LBB123_28
; %bb.29:                               ;   in Loop: Header=BB123_2 Depth=1
	s_or_b64 exec, exec, s[14:15]
.LBB123_30:                             ;   in Loop: Header=BB123_2 Depth=1
	s_or_b64 exec, exec, s[12:13]
	v_sub_u32_e32 v58, v47, v7
	v_lshl_add_u32 v11, v7, 3, v55
	v_lshlrev_b32_e32 v60, 3, v58
	ds_read_b64 v[5:6], v11
	ds_read_b64 v[9:10], v60
	v_add_u32_e32 v59, v7, v16
	v_cmp_le_i32_e64 s[14:15], v27, v59
	v_cmp_gt_i32_e64 s[10:11], v28, v58
                                        ; implicit-def: $vgpr7_vgpr8
	s_waitcnt lgkmcnt(0)
	v_cmp_lt_i64_e64 s[12:13], v[9:10], v[5:6]
	s_or_b64 s[12:13], s[14:15], s[12:13]
	s_and_b64 s[10:11], s[10:11], s[12:13]
	s_xor_b64 s[12:13], s[10:11], -1
	s_and_saveexec_b64 s[14:15], s[12:13]
	s_xor_b64 s[12:13], exec, s[14:15]
; %bb.31:                               ;   in Loop: Header=BB123_2 Depth=1
	ds_read_b64 v[7:8], v11 offset:8
                                        ; implicit-def: $vgpr60
; %bb.32:                               ;   in Loop: Header=BB123_2 Depth=1
	s_or_saveexec_b64 s[12:13], s[12:13]
	v_mov_b32_e32 v12, v10
	v_mov_b32_e32 v11, v9
	s_xor_b64 exec, exec, s[12:13]
	s_cbranch_execz .LBB123_34
; %bb.33:                               ;   in Loop: Header=BB123_2 Depth=1
	ds_read_b64 v[11:12], v60 offset:8
	s_waitcnt lgkmcnt(1)
	v_mov_b32_e32 v8, v6
	v_mov_b32_e32 v7, v5
.LBB123_34:                             ;   in Loop: Header=BB123_2 Depth=1
	s_or_b64 exec, exec, s[12:13]
	v_cndmask_b32_e64 v6, v6, v10, s[10:11]
	v_add_u32_e32 v10, 1, v59
	v_cndmask_b32_e64 v5, v5, v9, s[10:11]
	v_add_u32_e32 v9, 1, v58
	v_cndmask_b32_e64 v10, v10, v59, s[10:11]
	s_waitcnt lgkmcnt(0)
	v_cmp_lt_i64_e64 s[12:13], v[11:12], v[7:8]
	v_cndmask_b32_e64 v9, v58, v9, s[10:11]
	v_cmp_ge_i32_e64 s[14:15], v10, v27
	v_cndmask_b32_e64 v58, v59, v58, s[10:11]
	v_cmp_lt_i32_e64 s[10:11], v9, v28
	s_or_b64 s[12:13], s[14:15], s[12:13]
	s_and_b64 s[10:11], s[10:11], s[12:13]
	v_cndmask_b32_e64 v9, v10, v9, s[10:11]
	; wave barrier
	ds_write2_b64 v51, v[1:2], v[3:4] offset1:1
	v_lshlrev_b32_e32 v1, 3, v58
	v_lshlrev_b32_e32 v3, 3, v9
	s_waitcnt lgkmcnt(0)
	; wave barrier
	ds_read_b64 v[1:2], v1
	ds_read_b64 v[3:4], v3
	v_cndmask_b32_e64 v8, v8, v12, s[10:11]
	v_cndmask_b32_e64 v7, v7, v11, s[10:11]
	s_waitcnt lgkmcnt(0)
	; wave barrier
	ds_write2_b64 v51, v[5:6], v[7:8] offset1:1
	v_mov_b32_e32 v7, v46
	s_waitcnt lgkmcnt(0)
	; wave barrier
	s_and_saveexec_b64 s[12:13], s[8:9]
	s_cbranch_execz .LBB123_38
; %bb.35:                               ;   in Loop: Header=BB123_2 Depth=1
	s_mov_b64 s[14:15], 0
	v_mov_b32_e32 v7, v46
	v_mov_b32_e32 v5, v41
.LBB123_36:                             ;   Parent Loop BB123_2 Depth=1
                                        ; =>  This Inner Loop Header: Depth=2
	v_sub_u32_e32 v6, v5, v7
	v_lshrrev_b32_e32 v6, 1, v6
	v_add_u32_e32 v6, v6, v7
	v_not_b32_e32 v9, v6
	v_lshl_add_u32 v8, v6, 3, v56
	v_lshl_add_u32 v10, v9, 3, v50
	ds_read_b64 v[8:9], v8
	ds_read_b64 v[10:11], v10
	v_add_u32_e32 v12, 1, v6
	s_waitcnt lgkmcnt(0)
	v_cmp_lt_i64_e64 s[10:11], v[10:11], v[8:9]
	v_cndmask_b32_e64 v5, v5, v6, s[10:11]
	v_cndmask_b32_e64 v7, v12, v7, s[10:11]
	v_cmp_ge_i32_e64 s[10:11], v7, v5
	s_or_b64 s[14:15], s[10:11], s[14:15]
	s_andn2_b64 exec, exec, s[14:15]
	s_cbranch_execnz .LBB123_36
; %bb.37:                               ;   in Loop: Header=BB123_2 Depth=1
	s_or_b64 exec, exec, s[14:15]
.LBB123_38:                             ;   in Loop: Header=BB123_2 Depth=1
	s_or_b64 exec, exec, s[12:13]
	v_sub_u32_e32 v58, v49, v7
	v_lshl_add_u32 v11, v7, 3, v56
	v_lshlrev_b32_e32 v60, 3, v58
	ds_read_b64 v[5:6], v11
	ds_read_b64 v[9:10], v60
	v_add_u32_e32 v59, v7, v17
	v_cmp_le_i32_e64 s[14:15], v29, v59
	v_cmp_gt_i32_e64 s[10:11], v30, v58
                                        ; implicit-def: $vgpr7_vgpr8
	s_waitcnt lgkmcnt(0)
	v_cmp_lt_i64_e64 s[12:13], v[9:10], v[5:6]
	s_or_b64 s[12:13], s[14:15], s[12:13]
	s_and_b64 s[10:11], s[10:11], s[12:13]
	s_xor_b64 s[12:13], s[10:11], -1
	s_and_saveexec_b64 s[14:15], s[12:13]
	s_xor_b64 s[12:13], exec, s[14:15]
; %bb.39:                               ;   in Loop: Header=BB123_2 Depth=1
	ds_read_b64 v[7:8], v11 offset:8
                                        ; implicit-def: $vgpr60
; %bb.40:                               ;   in Loop: Header=BB123_2 Depth=1
	s_or_saveexec_b64 s[12:13], s[12:13]
	v_mov_b32_e32 v12, v10
	v_mov_b32_e32 v11, v9
	s_xor_b64 exec, exec, s[12:13]
	s_cbranch_execz .LBB123_42
; %bb.41:                               ;   in Loop: Header=BB123_2 Depth=1
	ds_read_b64 v[11:12], v60 offset:8
	s_waitcnt lgkmcnt(1)
	v_mov_b32_e32 v8, v6
	v_mov_b32_e32 v7, v5
.LBB123_42:                             ;   in Loop: Header=BB123_2 Depth=1
	s_or_b64 exec, exec, s[12:13]
	v_cndmask_b32_e64 v6, v6, v10, s[10:11]
	v_add_u32_e32 v10, 1, v59
	v_cndmask_b32_e64 v5, v5, v9, s[10:11]
	v_add_u32_e32 v9, 1, v58
	v_cndmask_b32_e64 v10, v10, v59, s[10:11]
	s_waitcnt lgkmcnt(0)
	v_cmp_lt_i64_e64 s[12:13], v[11:12], v[7:8]
	v_cndmask_b32_e64 v9, v58, v9, s[10:11]
	v_cmp_ge_i32_e64 s[14:15], v10, v29
	v_cndmask_b32_e64 v58, v59, v58, s[10:11]
	v_cmp_lt_i32_e64 s[10:11], v9, v30
	s_or_b64 s[12:13], s[14:15], s[12:13]
	s_and_b64 s[10:11], s[10:11], s[12:13]
	v_cndmask_b32_e64 v9, v10, v9, s[10:11]
	; wave barrier
	ds_write2_b64 v51, v[1:2], v[3:4] offset1:1
	v_lshlrev_b32_e32 v1, 3, v58
	v_lshlrev_b32_e32 v3, 3, v9
	s_waitcnt lgkmcnt(0)
	; wave barrier
	ds_read_b64 v[1:2], v1
	ds_read_b64 v[3:4], v3
	v_cndmask_b32_e64 v8, v8, v12, s[10:11]
	v_cndmask_b32_e64 v7, v7, v11, s[10:11]
	v_mov_b32_e32 v58, v18
	s_waitcnt lgkmcnt(0)
	; wave barrier
	ds_write2_b64 v51, v[5:6], v[7:8] offset1:1
	s_waitcnt lgkmcnt(0)
	; wave barrier
	s_and_saveexec_b64 s[12:13], vcc
	s_cbranch_execz .LBB123_46
; %bb.43:                               ;   in Loop: Header=BB123_2 Depth=1
	s_mov_b64 s[14:15], 0
	v_mov_b32_e32 v58, v18
	v_mov_b32_e32 v5, v19
.LBB123_44:                             ;   Parent Loop BB123_2 Depth=1
                                        ; =>  This Inner Loop Header: Depth=2
	v_sub_u32_e32 v6, v5, v58
	v_lshrrev_b32_e32 v6, 1, v6
	v_add_u32_e32 v10, v6, v58
	v_not_b32_e32 v7, v10
	v_lshlrev_b32_e32 v6, 3, v10
	v_lshl_add_u32 v8, v7, 3, v57
	ds_read_b64 v[6:7], v6
	ds_read_b64 v[8:9], v8
	v_add_u32_e32 v11, 1, v10
	s_waitcnt lgkmcnt(0)
	v_cmp_lt_i64_e64 s[10:11], v[8:9], v[6:7]
	v_cndmask_b32_e64 v5, v5, v10, s[10:11]
	v_cndmask_b32_e64 v58, v11, v58, s[10:11]
	v_cmp_ge_i32_e64 s[10:11], v58, v5
	s_or_b64 s[14:15], s[10:11], s[14:15]
	s_andn2_b64 exec, exec, s[14:15]
	s_cbranch_execnz .LBB123_44
; %bb.45:                               ;   in Loop: Header=BB123_2 Depth=1
	s_or_b64 exec, exec, s[14:15]
.LBB123_46:                             ;   in Loop: Header=BB123_2 Depth=1
	s_or_b64 exec, exec, s[12:13]
	v_sub_u32_e32 v59, v20, v58
	v_lshlrev_b32_e32 v11, 3, v58
	v_lshlrev_b32_e32 v62, 3, v59
	ds_read_b64 v[5:6], v11
	ds_read_b64 v[7:8], v62
	v_cmp_le_i32_e64 s[14:15], 64, v58
	v_cmp_gt_i32_e64 s[10:11], s22, v59
                                        ; implicit-def: $vgpr9_vgpr10
                                        ; implicit-def: $vgpr60
	s_waitcnt lgkmcnt(0)
	v_cmp_lt_i64_e64 s[12:13], v[7:8], v[5:6]
	s_or_b64 s[12:13], s[14:15], s[12:13]
	s_and_b64 s[10:11], s[10:11], s[12:13]
	s_xor_b64 s[12:13], s[10:11], -1
	s_and_saveexec_b64 s[14:15], s[12:13]
	s_xor_b64 s[12:13], exec, s[14:15]
; %bb.47:                               ;   in Loop: Header=BB123_2 Depth=1
	ds_read_b64 v[9:10], v11 offset:8
	v_add_u32_e32 v60, 1, v58
                                        ; implicit-def: $vgpr62
; %bb.48:                               ;   in Loop: Header=BB123_2 Depth=1
	s_or_saveexec_b64 s[12:13], s[12:13]
	v_mov_b32_e32 v12, v8
	v_mov_b32_e32 v61, v58
	;; [unrolled: 1-line block ×3, first 2 shown]
	s_xor_b64 exec, exec, s[12:13]
	s_cbranch_execz .LBB123_1
; %bb.49:                               ;   in Loop: Header=BB123_2 Depth=1
	ds_read_b64 v[11:12], v62 offset:8
	s_waitcnt lgkmcnt(1)
	v_add_u32_e32 v9, 1, v59
	v_mov_b32_e32 v61, v59
	v_mov_b32_e32 v59, v9
	;; [unrolled: 1-line block ×5, first 2 shown]
	s_branch .LBB123_1
.LBB123_50:
	s_waitcnt lgkmcnt(1)
	v_add_co_u32_e32 v1, vcc, v5, v1
	v_addc_co_u32_e32 v2, vcc, v6, v2, vcc
	s_add_u32 s0, s18, s20
	s_waitcnt lgkmcnt(0)
	v_add_co_u32_e32 v3, vcc, v7, v3
	s_addc_u32 s1, s19, s21
	v_lshlrev_b32_e32 v0, 3, v0
	v_addc_co_u32_e32 v4, vcc, v8, v4, vcc
	global_store_dwordx2 v0, v[1:2], s[0:1]
	global_store_dwordx2 v0, v[3:4], s[0:1] offset:512
	s_endpgm
	.section	.rodata,"a",@progbits
	.p2align	6, 0x0
	.amdhsa_kernel _Z17sort_pairs_kernelIxLj64ELj2EN10test_utils4lessELj10EEvPKT_PS2_T2_
		.amdhsa_group_segment_fixed_size 1032
		.amdhsa_private_segment_fixed_size 0
		.amdhsa_kernarg_size 20
		.amdhsa_user_sgpr_count 6
		.amdhsa_user_sgpr_private_segment_buffer 1
		.amdhsa_user_sgpr_dispatch_ptr 0
		.amdhsa_user_sgpr_queue_ptr 0
		.amdhsa_user_sgpr_kernarg_segment_ptr 1
		.amdhsa_user_sgpr_dispatch_id 0
		.amdhsa_user_sgpr_flat_scratch_init 0
		.amdhsa_user_sgpr_private_segment_size 0
		.amdhsa_uses_dynamic_stack 0
		.amdhsa_system_sgpr_private_segment_wavefront_offset 0
		.amdhsa_system_sgpr_workgroup_id_x 1
		.amdhsa_system_sgpr_workgroup_id_y 0
		.amdhsa_system_sgpr_workgroup_id_z 0
		.amdhsa_system_sgpr_workgroup_info 0
		.amdhsa_system_vgpr_workitem_id 0
		.amdhsa_next_free_vgpr 63
		.amdhsa_next_free_sgpr 24
		.amdhsa_reserve_vcc 1
		.amdhsa_reserve_flat_scratch 0
		.amdhsa_float_round_mode_32 0
		.amdhsa_float_round_mode_16_64 0
		.amdhsa_float_denorm_mode_32 3
		.amdhsa_float_denorm_mode_16_64 3
		.amdhsa_dx10_clamp 1
		.amdhsa_ieee_mode 1
		.amdhsa_fp16_overflow 0
		.amdhsa_exception_fp_ieee_invalid_op 0
		.amdhsa_exception_fp_denorm_src 0
		.amdhsa_exception_fp_ieee_div_zero 0
		.amdhsa_exception_fp_ieee_overflow 0
		.amdhsa_exception_fp_ieee_underflow 0
		.amdhsa_exception_fp_ieee_inexact 0
		.amdhsa_exception_int_div_zero 0
	.end_amdhsa_kernel
	.section	.text._Z17sort_pairs_kernelIxLj64ELj2EN10test_utils4lessELj10EEvPKT_PS2_T2_,"axG",@progbits,_Z17sort_pairs_kernelIxLj64ELj2EN10test_utils4lessELj10EEvPKT_PS2_T2_,comdat
.Lfunc_end123:
	.size	_Z17sort_pairs_kernelIxLj64ELj2EN10test_utils4lessELj10EEvPKT_PS2_T2_, .Lfunc_end123-_Z17sort_pairs_kernelIxLj64ELj2EN10test_utils4lessELj10EEvPKT_PS2_T2_
                                        ; -- End function
	.set _Z17sort_pairs_kernelIxLj64ELj2EN10test_utils4lessELj10EEvPKT_PS2_T2_.num_vgpr, 63
	.set _Z17sort_pairs_kernelIxLj64ELj2EN10test_utils4lessELj10EEvPKT_PS2_T2_.num_agpr, 0
	.set _Z17sort_pairs_kernelIxLj64ELj2EN10test_utils4lessELj10EEvPKT_PS2_T2_.numbered_sgpr, 24
	.set _Z17sort_pairs_kernelIxLj64ELj2EN10test_utils4lessELj10EEvPKT_PS2_T2_.num_named_barrier, 0
	.set _Z17sort_pairs_kernelIxLj64ELj2EN10test_utils4lessELj10EEvPKT_PS2_T2_.private_seg_size, 0
	.set _Z17sort_pairs_kernelIxLj64ELj2EN10test_utils4lessELj10EEvPKT_PS2_T2_.uses_vcc, 1
	.set _Z17sort_pairs_kernelIxLj64ELj2EN10test_utils4lessELj10EEvPKT_PS2_T2_.uses_flat_scratch, 0
	.set _Z17sort_pairs_kernelIxLj64ELj2EN10test_utils4lessELj10EEvPKT_PS2_T2_.has_dyn_sized_stack, 0
	.set _Z17sort_pairs_kernelIxLj64ELj2EN10test_utils4lessELj10EEvPKT_PS2_T2_.has_recursion, 0
	.set _Z17sort_pairs_kernelIxLj64ELj2EN10test_utils4lessELj10EEvPKT_PS2_T2_.has_indirect_call, 0
	.section	.AMDGPU.csdata,"",@progbits
; Kernel info:
; codeLenInByte = 3220
; TotalNumSgprs: 28
; NumVgprs: 63
; ScratchSize: 0
; MemoryBound: 0
; FloatMode: 240
; IeeeMode: 1
; LDSByteSize: 1032 bytes/workgroup (compile time only)
; SGPRBlocks: 3
; VGPRBlocks: 15
; NumSGPRsForWavesPerEU: 28
; NumVGPRsForWavesPerEU: 63
; Occupancy: 4
; WaveLimiterHint : 1
; COMPUTE_PGM_RSRC2:SCRATCH_EN: 0
; COMPUTE_PGM_RSRC2:USER_SGPR: 6
; COMPUTE_PGM_RSRC2:TRAP_HANDLER: 0
; COMPUTE_PGM_RSRC2:TGID_X_EN: 1
; COMPUTE_PGM_RSRC2:TGID_Y_EN: 0
; COMPUTE_PGM_RSRC2:TGID_Z_EN: 0
; COMPUTE_PGM_RSRC2:TIDIG_COMP_CNT: 0
	.section	.text._Z16sort_keys_kernelIxLj64ELj3EN10test_utils4lessELj10EEvPKT_PS2_T2_,"axG",@progbits,_Z16sort_keys_kernelIxLj64ELj3EN10test_utils4lessELj10EEvPKT_PS2_T2_,comdat
	.protected	_Z16sort_keys_kernelIxLj64ELj3EN10test_utils4lessELj10EEvPKT_PS2_T2_ ; -- Begin function _Z16sort_keys_kernelIxLj64ELj3EN10test_utils4lessELj10EEvPKT_PS2_T2_
	.globl	_Z16sort_keys_kernelIxLj64ELj3EN10test_utils4lessELj10EEvPKT_PS2_T2_
	.p2align	8
	.type	_Z16sort_keys_kernelIxLj64ELj3EN10test_utils4lessELj10EEvPKT_PS2_T2_,@function
_Z16sort_keys_kernelIxLj64ELj3EN10test_utils4lessELj10EEvPKT_PS2_T2_: ; @_Z16sort_keys_kernelIxLj64ELj3EN10test_utils4lessELj10EEvPKT_PS2_T2_
; %bb.0:
	v_and_b32_e32 v1, 62, v0
	v_mul_u32_u24_e32 v7, 3, v1
	v_and_b32_e32 v1, 1, v0
	v_cmp_eq_u32_e32 vcc, 1, v1
	v_min_u32_e32 v1, 0xba, v7
	v_add_u32_e32 v14, 6, v1
	v_and_b32_e32 v1, 60, v0
	v_mul_u32_u24_e32 v12, 3, v1
	v_min_u32_e32 v1, 0xb4, v12
	s_load_dwordx4 s[16:19], s[4:5], 0x0
	v_add_u32_e32 v16, 12, v1
	v_and_b32_e32 v1, 56, v0
	v_mul_u32_u24_e32 v35, 3, v1
	v_min_u32_e32 v1, 0xa8, v35
	s_mul_i32 s22, s6, 0xc0
	s_mov_b32 s23, 0
	v_add_u32_e32 v18, 24, v1
	v_and_b32_e32 v1, 48, v0
	s_lshl_b64 s[20:21], s[22:23], 3
	v_mul_u32_u24_e32 v41, 3, v1
	s_waitcnt lgkmcnt(0)
	s_add_u32 s0, s16, s20
	v_min_u32_e32 v1, 0x90, v41
	s_addc_u32 s1, s17, s21
	v_lshlrev_b32_e32 v20, 3, v0
	v_add_u32_e32 v19, 48, v1
	global_load_dwordx2 v[1:2], v20, s[0:1]
	global_load_dwordx2 v[5:6], v20, s[0:1] offset:512
	global_load_dwordx2 v[3:4], v20, s[0:1] offset:1024
	v_min_u32_e32 v9, 0xbd, v7
	v_add_u32_e32 v13, 3, v9
	v_min_u32_e32 v33, 0xba, v12
	v_min_u32_e32 v23, 0xc0, v7
	v_cndmask_b32_e64 v8, 0, 3, vcc
	v_and_b32_e32 v34, 3, v0
	v_add_u32_e32 v15, 6, v33
	v_sub_u32_e32 v7, v13, v23
	v_mul_u32_u24_e32 v32, 3, v34
	v_sub_u32_e32 v30, v16, v15
	v_min_u32_e32 v39, 0xb4, v35
	v_min_i32_e32 v25, v8, v7
	v_lshlrev_b32_e32 v7, 3, v8
	v_min_u32_e32 v29, 0xc0, v12
	v_sub_u32_e32 v31, v32, v30
	v_and_b32_e32 v40, 7, v0
	v_add_u32_e32 v17, 12, v39
	v_lshl_add_u32 v26, v9, 3, v7
	v_cmp_ge_i32_e64 s[0:1], v32, v30
	v_sub_u32_e32 v7, v15, v29
	v_mul_u32_u24_e32 v38, 3, v40
	v_sub_u32_e32 v36, v18, v17
	v_min_u32_e32 v45, 0xa8, v41
	v_and_b32_e32 v21, 32, v0
	v_cndmask_b32_e64 v30, 0, v31, s[0:1]
	v_min_i32_e32 v31, v32, v7
	v_lshlrev_b32_e32 v7, 3, v32
	v_min_u32_e32 v35, 0xc0, v35
	v_sub_u32_e32 v37, v38, v36
	v_and_b32_e32 v46, 15, v0
	v_add_u32_e32 v20, 24, v45
	v_mul_u32_u24_e32 v47, 3, v21
	v_lshl_add_u32 v32, v33, 3, v7
	v_cmp_ge_i32_e64 s[2:3], v38, v36
	v_sub_u32_e32 v7, v17, v35
	v_mul_u32_u24_e32 v44, 3, v46
	v_sub_u32_e32 v42, v19, v20
	v_min_u32_e32 v21, 0x60, v47
	v_min_u32_e32 v51, 0x90, v47
	v_cndmask_b32_e64 v36, 0, v37, s[2:3]
	v_min_i32_e32 v37, v38, v7
	v_lshlrev_b32_e32 v7, 3, v38
	v_min_u32_e32 v41, 0xc0, v41
	v_sub_u32_e32 v43, v44, v42
	v_add_u32_e32 v21, 0x60, v21
	v_and_b32_e32 v52, 31, v0
	v_add_u32_e32 v22, 48, v51
	v_lshl_add_u32 v38, v39, 3, v7
	v_cmp_ge_i32_e64 s[4:5], v44, v42
	v_sub_u32_e32 v7, v20, v41
	v_sub_u32_e32 v10, v14, v13
	v_mul_u32_u24_e32 v50, 3, v52
	v_sub_u32_e32 v48, v21, v22
	v_cndmask_b32_e64 v42, 0, v43, s[4:5]
	v_min_i32_e32 v43, v44, v7
	v_lshlrev_b32_e32 v7, 3, v44
	v_min_u32_e32 v47, 0xc0, v47
	v_sub_u32_e32 v11, v8, v10
	v_sub_u32_e32 v49, v50, v48
	v_cmp_ge_i32_e32 vcc, v8, v10
	v_lshl_add_u32 v44, v45, 3, v7
	v_cmp_ge_i32_e64 s[6:7], v50, v48
	v_sub_u32_e32 v7, v22, v47
	v_mov_b32_e32 v53, 0x60
	v_mul_u32_u24_e32 v54, 3, v0
	v_cndmask_b32_e32 v24, 0, v11, vcc
	v_cndmask_b32_e64 v48, 0, v49, s[6:7]
	v_min_i32_e32 v49, v50, v7
	v_lshlrev_b32_e32 v7, 3, v50
	v_sub_u32_e64 v55, v54, v53 clamp
	v_min_i32_e32 v56, 0x60, v54
	s_movk_i32 s22, 0xc0
	v_cmp_lt_i32_e32 vcc, v24, v25
	v_add_u32_e32 v27, v9, v8
	v_add_u32_e32 v28, v13, v8
	v_cmp_lt_i32_e64 s[0:1], v30, v31
	v_mad_u32_u24 v33, v34, 3, v33
	v_mad_u32_u24 v34, v34, 3, v15
	v_cmp_lt_i32_e64 s[2:3], v36, v37
	v_mad_u32_u24 v39, v40, 3, v39
	v_mad_u32_u24 v40, v40, 3, v17
	;; [unrolled: 3-line block ×3, first 2 shown]
	v_cmp_lt_i32_e64 s[6:7], v48, v49
	v_lshl_add_u32 v50, v51, 3, v7
	v_mad_u32_u24 v51, v52, 3, v51
	v_mad_u32_u24 v52, v52, 3, v22
	v_cmp_lt_i32_e64 s[8:9], v55, v56
	v_mul_u32_u24_e32 v57, 24, v0
	v_lshlrev_b32_e32 v58, 3, v23
	v_lshlrev_b32_e32 v59, 3, v29
	;; [unrolled: 1-line block ×5, first 2 shown]
	v_mad_u32_u24 v63, v0, 3, v53
	v_lshlrev_b32_e32 v64, 3, v54
	s_branch .LBB124_2
.LBB124_1:                              ;   in Loop: Header=BB124_2 Depth=1
	s_or_b64 exec, exec, s[14:15]
	v_cndmask_b32_e64 v6, v6, v8, s[12:13]
	v_cndmask_b32_e64 v5, v5, v7, s[12:13]
	s_waitcnt lgkmcnt(0)
	v_cmp_lt_i64_e64 s[12:13], v[11:12], v[9:10]
	v_cmp_ge_i32_e64 s[14:15], v66, v53
	v_cndmask_b32_e64 v2, v2, v4, s[10:11]
	v_cndmask_b32_e64 v1, v1, v3, s[10:11]
	v_cmp_gt_i32_e64 s[10:11], s22, v65
	s_or_b64 s[12:13], s[14:15], s[12:13]
	s_and_b64 s[10:11], s[10:11], s[12:13]
	s_add_i32 s23, s23, 1
	v_cndmask_b32_e64 v4, v10, v12, s[10:11]
	s_cmp_eq_u32 s23, 10
	v_cndmask_b32_e64 v3, v9, v11, s[10:11]
	s_cbranch_scc1 .LBB124_74
.LBB124_2:                              ; =>This Loop Header: Depth=1
                                        ;     Child Loop BB124_4 Depth 2
                                        ;     Child Loop BB124_16 Depth 2
	;; [unrolled: 1-line block ×6, first 2 shown]
	s_waitcnt vmcnt(1)
	v_cmp_lt_i64_e64 s[10:11], v[5:6], v[1:2]
	v_cndmask_b32_e64 v8, v2, v6, s[10:11]
	v_cndmask_b32_e64 v7, v1, v5, s[10:11]
	;; [unrolled: 1-line block ×4, first 2 shown]
	v_cmp_gt_i64_e64 s[10:11], v[5:6], v[1:2]
	; wave barrier
	v_cndmask_b32_e64 v2, v2, v6, s[10:11]
	v_cndmask_b32_e64 v1, v1, v5, s[10:11]
	s_waitcnt vmcnt(0)
	v_cmp_lt_i64_e64 s[10:11], v[3:4], v[1:2]
	v_cndmask_b32_e64 v6, v4, v2, s[10:11]
	v_cndmask_b32_e64 v5, v3, v1, s[10:11]
	;; [unrolled: 1-line block ×6, first 2 shown]
	v_cmp_lt_i64_e64 s[10:11], v[3:4], v[7:8]
	v_cndmask_b32_e64 v2, v9, v8, s[10:11]
	v_cndmask_b32_e64 v1, v10, v7, s[10:11]
	;; [unrolled: 1-line block ×4, first 2 shown]
	ds_write2_b64 v57, v[3:4], v[1:2] offset1:1
	ds_write_b64 v57, v[5:6] offset:16
	v_mov_b32_e32 v5, v24
	s_waitcnt lgkmcnt(0)
	; wave barrier
	s_and_saveexec_b64 s[12:13], vcc
	s_cbranch_execz .LBB124_6
; %bb.3:                                ;   in Loop: Header=BB124_2 Depth=1
	s_mov_b64 s[14:15], 0
	v_mov_b32_e32 v5, v24
	v_mov_b32_e32 v1, v25
.LBB124_4:                              ;   Parent Loop BB124_2 Depth=1
                                        ; =>  This Inner Loop Header: Depth=2
	v_sub_u32_e32 v2, v1, v5
	v_lshrrev_b32_e32 v2, 1, v2
	v_add_u32_e32 v4, v2, v5
	v_not_b32_e32 v3, v4
	v_lshl_add_u32 v2, v4, 3, v58
	v_lshl_add_u32 v6, v3, 3, v26
	ds_read_b64 v[2:3], v2
	ds_read_b64 v[6:7], v6 offset:24
	v_add_u32_e32 v8, 1, v4
	s_waitcnt lgkmcnt(0)
	v_cmp_lt_i64_e64 s[10:11], v[6:7], v[2:3]
	v_cndmask_b32_e64 v1, v1, v4, s[10:11]
	v_cndmask_b32_e64 v5, v8, v5, s[10:11]
	v_cmp_ge_i32_e64 s[10:11], v5, v1
	s_or_b64 s[14:15], s[10:11], s[14:15]
	s_andn2_b64 exec, exec, s[14:15]
	s_cbranch_execnz .LBB124_4
; %bb.5:                                ;   in Loop: Header=BB124_2 Depth=1
	s_or_b64 exec, exec, s[14:15]
.LBB124_6:                              ;   in Loop: Header=BB124_2 Depth=1
	s_or_b64 exec, exec, s[12:13]
	v_lshl_add_u32 v7, v5, 3, v58
	v_sub_u32_e32 v1, v27, v5
	v_lshlrev_b32_e32 v11, 3, v1
	ds_read_b64 v[1:2], v7
	ds_read_b64 v[3:4], v11 offset:24
	v_add_u32_e32 v9, v5, v23
	v_sub_u32_e32 v10, v28, v5
	v_cmp_le_i32_e64 s[14:15], v13, v9
	v_cmp_gt_i32_e64 s[10:11], v14, v10
	s_waitcnt lgkmcnt(0)
	v_cmp_lt_i64_e64 s[12:13], v[3:4], v[1:2]
                                        ; implicit-def: $vgpr5_vgpr6
	s_or_b64 s[12:13], s[14:15], s[12:13]
	s_and_b64 s[10:11], s[10:11], s[12:13]
	s_xor_b64 s[12:13], s[10:11], -1
	s_and_saveexec_b64 s[14:15], s[12:13]
	s_xor_b64 s[12:13], exec, s[14:15]
; %bb.7:                                ;   in Loop: Header=BB124_2 Depth=1
	ds_read_b64 v[5:6], v7 offset:8
                                        ; implicit-def: $vgpr11
; %bb.8:                                ;   in Loop: Header=BB124_2 Depth=1
	s_or_saveexec_b64 s[12:13], s[12:13]
	v_mov_b32_e32 v8, v4
	v_mov_b32_e32 v7, v3
	s_xor_b64 exec, exec, s[12:13]
	s_cbranch_execz .LBB124_10
; %bb.9:                                ;   in Loop: Header=BB124_2 Depth=1
	ds_read_b64 v[7:8], v11 offset:32
	s_waitcnt lgkmcnt(1)
	v_mov_b32_e32 v6, v2
	v_mov_b32_e32 v5, v1
.LBB124_10:                             ;   in Loop: Header=BB124_2 Depth=1
	s_or_b64 exec, exec, s[12:13]
	v_add_u32_e32 v12, 1, v9
	v_add_u32_e32 v11, 1, v10
	v_cndmask_b32_e64 v66, v12, v9, s[10:11]
	s_waitcnt lgkmcnt(0)
	v_cmp_lt_i64_e64 s[14:15], v[7:8], v[5:6]
	v_cndmask_b32_e64 v65, v10, v11, s[10:11]
	v_cmp_ge_i32_e64 s[16:17], v66, v13
	v_cmp_lt_i32_e64 s[12:13], v65, v14
	s_or_b64 s[14:15], s[16:17], s[14:15]
	s_and_b64 s[12:13], s[12:13], s[14:15]
	s_xor_b64 s[14:15], s[12:13], -1
                                        ; implicit-def: $vgpr9_vgpr10
	s_and_saveexec_b64 s[16:17], s[14:15]
	s_xor_b64 s[14:15], exec, s[16:17]
; %bb.11:                               ;   in Loop: Header=BB124_2 Depth=1
	v_lshlrev_b32_e32 v9, 3, v66
	ds_read_b64 v[9:10], v9 offset:8
; %bb.12:                               ;   in Loop: Header=BB124_2 Depth=1
	s_or_saveexec_b64 s[14:15], s[14:15]
	v_mov_b32_e32 v12, v8
	v_mov_b32_e32 v11, v7
	s_xor_b64 exec, exec, s[14:15]
	s_cbranch_execz .LBB124_14
; %bb.13:                               ;   in Loop: Header=BB124_2 Depth=1
	s_waitcnt lgkmcnt(0)
	v_lshlrev_b32_e32 v9, 3, v65
	ds_read_b64 v[11:12], v9 offset:8
	v_mov_b32_e32 v10, v6
	v_mov_b32_e32 v9, v5
.LBB124_14:                             ;   in Loop: Header=BB124_2 Depth=1
	s_or_b64 exec, exec, s[14:15]
	v_cndmask_b32_e64 v6, v6, v8, s[12:13]
	v_cndmask_b32_e64 v5, v5, v7, s[12:13]
	v_add_u32_e32 v7, 1, v65
	v_add_u32_e32 v8, 1, v66
	v_cndmask_b32_e64 v7, v65, v7, s[12:13]
	v_cndmask_b32_e64 v8, v8, v66, s[12:13]
	s_waitcnt lgkmcnt(0)
	v_cmp_lt_i64_e64 s[12:13], v[11:12], v[9:10]
	v_cmp_ge_i32_e64 s[14:15], v8, v13
	v_cndmask_b32_e64 v2, v2, v4, s[10:11]
	v_cndmask_b32_e64 v1, v1, v3, s[10:11]
	v_cmp_lt_i32_e64 s[10:11], v7, v14
	s_or_b64 s[12:13], s[14:15], s[12:13]
	s_and_b64 s[10:11], s[10:11], s[12:13]
	v_cndmask_b32_e64 v4, v10, v12, s[10:11]
	v_cndmask_b32_e64 v3, v9, v11, s[10:11]
	; wave barrier
	ds_write2_b64 v57, v[1:2], v[5:6] offset1:1
	ds_write_b64 v57, v[3:4] offset:16
	v_mov_b32_e32 v5, v30
	s_waitcnt lgkmcnt(0)
	; wave barrier
	s_and_saveexec_b64 s[12:13], s[0:1]
	s_cbranch_execz .LBB124_18
; %bb.15:                               ;   in Loop: Header=BB124_2 Depth=1
	s_mov_b64 s[14:15], 0
	v_mov_b32_e32 v5, v30
	v_mov_b32_e32 v1, v31
.LBB124_16:                             ;   Parent Loop BB124_2 Depth=1
                                        ; =>  This Inner Loop Header: Depth=2
	v_sub_u32_e32 v2, v1, v5
	v_lshrrev_b32_e32 v2, 1, v2
	v_add_u32_e32 v4, v2, v5
	v_not_b32_e32 v3, v4
	v_lshl_add_u32 v2, v4, 3, v59
	v_lshl_add_u32 v6, v3, 3, v32
	ds_read_b64 v[2:3], v2
	ds_read_b64 v[6:7], v6 offset:48
	v_add_u32_e32 v8, 1, v4
	s_waitcnt lgkmcnt(0)
	v_cmp_lt_i64_e64 s[10:11], v[6:7], v[2:3]
	v_cndmask_b32_e64 v1, v1, v4, s[10:11]
	v_cndmask_b32_e64 v5, v8, v5, s[10:11]
	v_cmp_ge_i32_e64 s[10:11], v5, v1
	s_or_b64 s[14:15], s[10:11], s[14:15]
	s_andn2_b64 exec, exec, s[14:15]
	s_cbranch_execnz .LBB124_16
; %bb.17:                               ;   in Loop: Header=BB124_2 Depth=1
	s_or_b64 exec, exec, s[14:15]
.LBB124_18:                             ;   in Loop: Header=BB124_2 Depth=1
	s_or_b64 exec, exec, s[12:13]
	v_lshl_add_u32 v7, v5, 3, v59
	v_sub_u32_e32 v1, v33, v5
	v_lshlrev_b32_e32 v11, 3, v1
	ds_read_b64 v[1:2], v7
	ds_read_b64 v[3:4], v11 offset:48
	v_add_u32_e32 v9, v5, v29
	v_sub_u32_e32 v10, v34, v5
	v_cmp_le_i32_e64 s[14:15], v15, v9
	v_cmp_gt_i32_e64 s[10:11], v16, v10
	s_waitcnt lgkmcnt(0)
	v_cmp_lt_i64_e64 s[12:13], v[3:4], v[1:2]
                                        ; implicit-def: $vgpr5_vgpr6
	s_or_b64 s[12:13], s[14:15], s[12:13]
	s_and_b64 s[10:11], s[10:11], s[12:13]
	s_xor_b64 s[12:13], s[10:11], -1
	s_and_saveexec_b64 s[14:15], s[12:13]
	s_xor_b64 s[12:13], exec, s[14:15]
; %bb.19:                               ;   in Loop: Header=BB124_2 Depth=1
	ds_read_b64 v[5:6], v7 offset:8
                                        ; implicit-def: $vgpr11
; %bb.20:                               ;   in Loop: Header=BB124_2 Depth=1
	s_or_saveexec_b64 s[12:13], s[12:13]
	v_mov_b32_e32 v8, v4
	v_mov_b32_e32 v7, v3
	s_xor_b64 exec, exec, s[12:13]
	s_cbranch_execz .LBB124_22
; %bb.21:                               ;   in Loop: Header=BB124_2 Depth=1
	ds_read_b64 v[7:8], v11 offset:56
	s_waitcnt lgkmcnt(1)
	v_mov_b32_e32 v6, v2
	v_mov_b32_e32 v5, v1
.LBB124_22:                             ;   in Loop: Header=BB124_2 Depth=1
	s_or_b64 exec, exec, s[12:13]
	v_add_u32_e32 v12, 1, v9
	v_add_u32_e32 v11, 1, v10
	v_cndmask_b32_e64 v66, v12, v9, s[10:11]
	s_waitcnt lgkmcnt(0)
	v_cmp_lt_i64_e64 s[14:15], v[7:8], v[5:6]
	v_cndmask_b32_e64 v65, v10, v11, s[10:11]
	v_cmp_ge_i32_e64 s[16:17], v66, v15
	v_cmp_lt_i32_e64 s[12:13], v65, v16
	s_or_b64 s[14:15], s[16:17], s[14:15]
	s_and_b64 s[12:13], s[12:13], s[14:15]
	s_xor_b64 s[14:15], s[12:13], -1
                                        ; implicit-def: $vgpr9_vgpr10
	s_and_saveexec_b64 s[16:17], s[14:15]
	s_xor_b64 s[14:15], exec, s[16:17]
; %bb.23:                               ;   in Loop: Header=BB124_2 Depth=1
	v_lshlrev_b32_e32 v9, 3, v66
	ds_read_b64 v[9:10], v9 offset:8
; %bb.24:                               ;   in Loop: Header=BB124_2 Depth=1
	s_or_saveexec_b64 s[14:15], s[14:15]
	v_mov_b32_e32 v12, v8
	v_mov_b32_e32 v11, v7
	s_xor_b64 exec, exec, s[14:15]
	s_cbranch_execz .LBB124_26
; %bb.25:                               ;   in Loop: Header=BB124_2 Depth=1
	s_waitcnt lgkmcnt(0)
	v_lshlrev_b32_e32 v9, 3, v65
	ds_read_b64 v[11:12], v9 offset:8
	v_mov_b32_e32 v10, v6
	v_mov_b32_e32 v9, v5
.LBB124_26:                             ;   in Loop: Header=BB124_2 Depth=1
	s_or_b64 exec, exec, s[14:15]
	v_cndmask_b32_e64 v6, v6, v8, s[12:13]
	v_cndmask_b32_e64 v5, v5, v7, s[12:13]
	v_add_u32_e32 v7, 1, v65
	v_add_u32_e32 v8, 1, v66
	v_cndmask_b32_e64 v7, v65, v7, s[12:13]
	v_cndmask_b32_e64 v8, v8, v66, s[12:13]
	s_waitcnt lgkmcnt(0)
	v_cmp_lt_i64_e64 s[12:13], v[11:12], v[9:10]
	v_cmp_ge_i32_e64 s[14:15], v8, v15
	v_cndmask_b32_e64 v2, v2, v4, s[10:11]
	v_cndmask_b32_e64 v1, v1, v3, s[10:11]
	v_cmp_lt_i32_e64 s[10:11], v7, v16
	s_or_b64 s[12:13], s[14:15], s[12:13]
	s_and_b64 s[10:11], s[10:11], s[12:13]
	v_cndmask_b32_e64 v4, v10, v12, s[10:11]
	v_cndmask_b32_e64 v3, v9, v11, s[10:11]
	; wave barrier
	ds_write2_b64 v57, v[1:2], v[5:6] offset1:1
	ds_write_b64 v57, v[3:4] offset:16
	v_mov_b32_e32 v5, v36
	s_waitcnt lgkmcnt(0)
	; wave barrier
	s_and_saveexec_b64 s[12:13], s[2:3]
	s_cbranch_execz .LBB124_30
; %bb.27:                               ;   in Loop: Header=BB124_2 Depth=1
	s_mov_b64 s[14:15], 0
	v_mov_b32_e32 v5, v36
	v_mov_b32_e32 v1, v37
.LBB124_28:                             ;   Parent Loop BB124_2 Depth=1
                                        ; =>  This Inner Loop Header: Depth=2
	v_sub_u32_e32 v2, v1, v5
	v_lshrrev_b32_e32 v2, 1, v2
	v_add_u32_e32 v4, v2, v5
	v_not_b32_e32 v3, v4
	v_lshl_add_u32 v2, v4, 3, v60
	v_lshl_add_u32 v6, v3, 3, v38
	ds_read_b64 v[2:3], v2
	ds_read_b64 v[6:7], v6 offset:96
	v_add_u32_e32 v8, 1, v4
	s_waitcnt lgkmcnt(0)
	v_cmp_lt_i64_e64 s[10:11], v[6:7], v[2:3]
	v_cndmask_b32_e64 v1, v1, v4, s[10:11]
	v_cndmask_b32_e64 v5, v8, v5, s[10:11]
	v_cmp_ge_i32_e64 s[10:11], v5, v1
	s_or_b64 s[14:15], s[10:11], s[14:15]
	s_andn2_b64 exec, exec, s[14:15]
	s_cbranch_execnz .LBB124_28
; %bb.29:                               ;   in Loop: Header=BB124_2 Depth=1
	s_or_b64 exec, exec, s[14:15]
.LBB124_30:                             ;   in Loop: Header=BB124_2 Depth=1
	s_or_b64 exec, exec, s[12:13]
	v_lshl_add_u32 v7, v5, 3, v60
	v_sub_u32_e32 v1, v39, v5
	v_lshlrev_b32_e32 v11, 3, v1
	ds_read_b64 v[1:2], v7
	ds_read_b64 v[3:4], v11 offset:96
	v_add_u32_e32 v9, v5, v35
	v_sub_u32_e32 v10, v40, v5
	v_cmp_le_i32_e64 s[14:15], v17, v9
	v_cmp_gt_i32_e64 s[10:11], v18, v10
	s_waitcnt lgkmcnt(0)
	v_cmp_lt_i64_e64 s[12:13], v[3:4], v[1:2]
                                        ; implicit-def: $vgpr5_vgpr6
	s_or_b64 s[12:13], s[14:15], s[12:13]
	s_and_b64 s[10:11], s[10:11], s[12:13]
	s_xor_b64 s[12:13], s[10:11], -1
	s_and_saveexec_b64 s[14:15], s[12:13]
	s_xor_b64 s[12:13], exec, s[14:15]
; %bb.31:                               ;   in Loop: Header=BB124_2 Depth=1
	ds_read_b64 v[5:6], v7 offset:8
                                        ; implicit-def: $vgpr11
; %bb.32:                               ;   in Loop: Header=BB124_2 Depth=1
	s_or_saveexec_b64 s[12:13], s[12:13]
	v_mov_b32_e32 v8, v4
	v_mov_b32_e32 v7, v3
	s_xor_b64 exec, exec, s[12:13]
	s_cbranch_execz .LBB124_34
; %bb.33:                               ;   in Loop: Header=BB124_2 Depth=1
	ds_read_b64 v[7:8], v11 offset:104
	s_waitcnt lgkmcnt(1)
	v_mov_b32_e32 v6, v2
	v_mov_b32_e32 v5, v1
.LBB124_34:                             ;   in Loop: Header=BB124_2 Depth=1
	s_or_b64 exec, exec, s[12:13]
	v_add_u32_e32 v12, 1, v9
	v_add_u32_e32 v11, 1, v10
	v_cndmask_b32_e64 v66, v12, v9, s[10:11]
	s_waitcnt lgkmcnt(0)
	v_cmp_lt_i64_e64 s[14:15], v[7:8], v[5:6]
	v_cndmask_b32_e64 v65, v10, v11, s[10:11]
	v_cmp_ge_i32_e64 s[16:17], v66, v17
	v_cmp_lt_i32_e64 s[12:13], v65, v18
	s_or_b64 s[14:15], s[16:17], s[14:15]
	s_and_b64 s[12:13], s[12:13], s[14:15]
	s_xor_b64 s[14:15], s[12:13], -1
                                        ; implicit-def: $vgpr9_vgpr10
	s_and_saveexec_b64 s[16:17], s[14:15]
	s_xor_b64 s[14:15], exec, s[16:17]
; %bb.35:                               ;   in Loop: Header=BB124_2 Depth=1
	v_lshlrev_b32_e32 v9, 3, v66
	ds_read_b64 v[9:10], v9 offset:8
; %bb.36:                               ;   in Loop: Header=BB124_2 Depth=1
	s_or_saveexec_b64 s[14:15], s[14:15]
	v_mov_b32_e32 v12, v8
	v_mov_b32_e32 v11, v7
	s_xor_b64 exec, exec, s[14:15]
	s_cbranch_execz .LBB124_38
; %bb.37:                               ;   in Loop: Header=BB124_2 Depth=1
	s_waitcnt lgkmcnt(0)
	v_lshlrev_b32_e32 v9, 3, v65
	ds_read_b64 v[11:12], v9 offset:8
	v_mov_b32_e32 v10, v6
	v_mov_b32_e32 v9, v5
.LBB124_38:                             ;   in Loop: Header=BB124_2 Depth=1
	s_or_b64 exec, exec, s[14:15]
	v_cndmask_b32_e64 v6, v6, v8, s[12:13]
	v_cndmask_b32_e64 v5, v5, v7, s[12:13]
	v_add_u32_e32 v7, 1, v65
	v_add_u32_e32 v8, 1, v66
	v_cndmask_b32_e64 v7, v65, v7, s[12:13]
	v_cndmask_b32_e64 v8, v8, v66, s[12:13]
	s_waitcnt lgkmcnt(0)
	v_cmp_lt_i64_e64 s[12:13], v[11:12], v[9:10]
	v_cmp_ge_i32_e64 s[14:15], v8, v17
	v_cndmask_b32_e64 v2, v2, v4, s[10:11]
	v_cndmask_b32_e64 v1, v1, v3, s[10:11]
	v_cmp_lt_i32_e64 s[10:11], v7, v18
	s_or_b64 s[12:13], s[14:15], s[12:13]
	s_and_b64 s[10:11], s[10:11], s[12:13]
	v_cndmask_b32_e64 v4, v10, v12, s[10:11]
	v_cndmask_b32_e64 v3, v9, v11, s[10:11]
	; wave barrier
	ds_write2_b64 v57, v[1:2], v[5:6] offset1:1
	ds_write_b64 v57, v[3:4] offset:16
	v_mov_b32_e32 v5, v42
	s_waitcnt lgkmcnt(0)
	; wave barrier
	s_and_saveexec_b64 s[12:13], s[4:5]
	s_cbranch_execz .LBB124_42
; %bb.39:                               ;   in Loop: Header=BB124_2 Depth=1
	s_mov_b64 s[14:15], 0
	v_mov_b32_e32 v5, v42
	v_mov_b32_e32 v1, v43
.LBB124_40:                             ;   Parent Loop BB124_2 Depth=1
                                        ; =>  This Inner Loop Header: Depth=2
	v_sub_u32_e32 v2, v1, v5
	v_lshrrev_b32_e32 v2, 1, v2
	v_add_u32_e32 v4, v2, v5
	v_not_b32_e32 v3, v4
	v_lshl_add_u32 v2, v4, 3, v61
	v_lshl_add_u32 v6, v3, 3, v44
	ds_read_b64 v[2:3], v2
	ds_read_b64 v[6:7], v6 offset:192
	v_add_u32_e32 v8, 1, v4
	s_waitcnt lgkmcnt(0)
	v_cmp_lt_i64_e64 s[10:11], v[6:7], v[2:3]
	v_cndmask_b32_e64 v1, v1, v4, s[10:11]
	v_cndmask_b32_e64 v5, v8, v5, s[10:11]
	v_cmp_ge_i32_e64 s[10:11], v5, v1
	s_or_b64 s[14:15], s[10:11], s[14:15]
	s_andn2_b64 exec, exec, s[14:15]
	s_cbranch_execnz .LBB124_40
; %bb.41:                               ;   in Loop: Header=BB124_2 Depth=1
	s_or_b64 exec, exec, s[14:15]
.LBB124_42:                             ;   in Loop: Header=BB124_2 Depth=1
	s_or_b64 exec, exec, s[12:13]
	v_lshl_add_u32 v7, v5, 3, v61
	v_sub_u32_e32 v1, v45, v5
	v_lshlrev_b32_e32 v11, 3, v1
	ds_read_b64 v[1:2], v7
	ds_read_b64 v[3:4], v11 offset:192
	v_add_u32_e32 v9, v5, v41
	v_sub_u32_e32 v10, v46, v5
	v_cmp_le_i32_e64 s[14:15], v20, v9
	v_cmp_gt_i32_e64 s[10:11], v19, v10
	s_waitcnt lgkmcnt(0)
	v_cmp_lt_i64_e64 s[12:13], v[3:4], v[1:2]
                                        ; implicit-def: $vgpr5_vgpr6
	s_or_b64 s[12:13], s[14:15], s[12:13]
	s_and_b64 s[10:11], s[10:11], s[12:13]
	s_xor_b64 s[12:13], s[10:11], -1
	s_and_saveexec_b64 s[14:15], s[12:13]
	s_xor_b64 s[12:13], exec, s[14:15]
; %bb.43:                               ;   in Loop: Header=BB124_2 Depth=1
	ds_read_b64 v[5:6], v7 offset:8
                                        ; implicit-def: $vgpr11
; %bb.44:                               ;   in Loop: Header=BB124_2 Depth=1
	s_or_saveexec_b64 s[12:13], s[12:13]
	v_mov_b32_e32 v8, v4
	v_mov_b32_e32 v7, v3
	s_xor_b64 exec, exec, s[12:13]
	s_cbranch_execz .LBB124_46
; %bb.45:                               ;   in Loop: Header=BB124_2 Depth=1
	ds_read_b64 v[7:8], v11 offset:200
	s_waitcnt lgkmcnt(1)
	v_mov_b32_e32 v6, v2
	v_mov_b32_e32 v5, v1
.LBB124_46:                             ;   in Loop: Header=BB124_2 Depth=1
	s_or_b64 exec, exec, s[12:13]
	v_add_u32_e32 v12, 1, v9
	v_add_u32_e32 v11, 1, v10
	v_cndmask_b32_e64 v66, v12, v9, s[10:11]
	s_waitcnt lgkmcnt(0)
	v_cmp_lt_i64_e64 s[14:15], v[7:8], v[5:6]
	v_cndmask_b32_e64 v65, v10, v11, s[10:11]
	v_cmp_ge_i32_e64 s[16:17], v66, v20
	v_cmp_lt_i32_e64 s[12:13], v65, v19
	s_or_b64 s[14:15], s[16:17], s[14:15]
	s_and_b64 s[12:13], s[12:13], s[14:15]
	s_xor_b64 s[14:15], s[12:13], -1
                                        ; implicit-def: $vgpr9_vgpr10
	s_and_saveexec_b64 s[16:17], s[14:15]
	s_xor_b64 s[14:15], exec, s[16:17]
; %bb.47:                               ;   in Loop: Header=BB124_2 Depth=1
	v_lshlrev_b32_e32 v9, 3, v66
	ds_read_b64 v[9:10], v9 offset:8
; %bb.48:                               ;   in Loop: Header=BB124_2 Depth=1
	s_or_saveexec_b64 s[14:15], s[14:15]
	v_mov_b32_e32 v12, v8
	v_mov_b32_e32 v11, v7
	s_xor_b64 exec, exec, s[14:15]
	s_cbranch_execz .LBB124_50
; %bb.49:                               ;   in Loop: Header=BB124_2 Depth=1
	s_waitcnt lgkmcnt(0)
	v_lshlrev_b32_e32 v9, 3, v65
	ds_read_b64 v[11:12], v9 offset:8
	v_mov_b32_e32 v10, v6
	v_mov_b32_e32 v9, v5
.LBB124_50:                             ;   in Loop: Header=BB124_2 Depth=1
	s_or_b64 exec, exec, s[14:15]
	v_cndmask_b32_e64 v6, v6, v8, s[12:13]
	v_cndmask_b32_e64 v5, v5, v7, s[12:13]
	v_add_u32_e32 v7, 1, v65
	v_add_u32_e32 v8, 1, v66
	v_cndmask_b32_e64 v7, v65, v7, s[12:13]
	v_cndmask_b32_e64 v8, v8, v66, s[12:13]
	s_waitcnt lgkmcnt(0)
	v_cmp_lt_i64_e64 s[12:13], v[11:12], v[9:10]
	v_cmp_ge_i32_e64 s[14:15], v8, v20
	v_cndmask_b32_e64 v2, v2, v4, s[10:11]
	v_cndmask_b32_e64 v1, v1, v3, s[10:11]
	v_cmp_lt_i32_e64 s[10:11], v7, v19
	s_or_b64 s[12:13], s[14:15], s[12:13]
	s_and_b64 s[10:11], s[10:11], s[12:13]
	v_cndmask_b32_e64 v4, v10, v12, s[10:11]
	v_cndmask_b32_e64 v3, v9, v11, s[10:11]
	; wave barrier
	ds_write2_b64 v57, v[1:2], v[5:6] offset1:1
	ds_write_b64 v57, v[3:4] offset:16
	v_mov_b32_e32 v5, v48
	s_waitcnt lgkmcnt(0)
	; wave barrier
	s_and_saveexec_b64 s[12:13], s[6:7]
	s_cbranch_execz .LBB124_54
; %bb.51:                               ;   in Loop: Header=BB124_2 Depth=1
	s_mov_b64 s[14:15], 0
	v_mov_b32_e32 v5, v48
	v_mov_b32_e32 v1, v49
.LBB124_52:                             ;   Parent Loop BB124_2 Depth=1
                                        ; =>  This Inner Loop Header: Depth=2
	v_sub_u32_e32 v2, v1, v5
	v_lshrrev_b32_e32 v2, 1, v2
	v_add_u32_e32 v4, v2, v5
	v_not_b32_e32 v3, v4
	v_lshl_add_u32 v2, v4, 3, v62
	v_lshl_add_u32 v6, v3, 3, v50
	ds_read_b64 v[2:3], v2
	ds_read_b64 v[6:7], v6 offset:384
	v_add_u32_e32 v8, 1, v4
	s_waitcnt lgkmcnt(0)
	v_cmp_lt_i64_e64 s[10:11], v[6:7], v[2:3]
	v_cndmask_b32_e64 v1, v1, v4, s[10:11]
	v_cndmask_b32_e64 v5, v8, v5, s[10:11]
	v_cmp_ge_i32_e64 s[10:11], v5, v1
	s_or_b64 s[14:15], s[10:11], s[14:15]
	s_andn2_b64 exec, exec, s[14:15]
	s_cbranch_execnz .LBB124_52
; %bb.53:                               ;   in Loop: Header=BB124_2 Depth=1
	s_or_b64 exec, exec, s[14:15]
.LBB124_54:                             ;   in Loop: Header=BB124_2 Depth=1
	s_or_b64 exec, exec, s[12:13]
	v_lshl_add_u32 v7, v5, 3, v62
	v_sub_u32_e32 v1, v51, v5
	v_lshlrev_b32_e32 v11, 3, v1
	ds_read_b64 v[1:2], v7
	ds_read_b64 v[3:4], v11 offset:384
	v_add_u32_e32 v9, v5, v47
	v_sub_u32_e32 v10, v52, v5
	v_cmp_le_i32_e64 s[14:15], v22, v9
	v_cmp_gt_i32_e64 s[10:11], v21, v10
	s_waitcnt lgkmcnt(0)
	v_cmp_lt_i64_e64 s[12:13], v[3:4], v[1:2]
                                        ; implicit-def: $vgpr5_vgpr6
	s_or_b64 s[12:13], s[14:15], s[12:13]
	s_and_b64 s[10:11], s[10:11], s[12:13]
	s_xor_b64 s[12:13], s[10:11], -1
	s_and_saveexec_b64 s[14:15], s[12:13]
	s_xor_b64 s[12:13], exec, s[14:15]
; %bb.55:                               ;   in Loop: Header=BB124_2 Depth=1
	ds_read_b64 v[5:6], v7 offset:8
                                        ; implicit-def: $vgpr11
; %bb.56:                               ;   in Loop: Header=BB124_2 Depth=1
	s_or_saveexec_b64 s[12:13], s[12:13]
	v_mov_b32_e32 v8, v4
	v_mov_b32_e32 v7, v3
	s_xor_b64 exec, exec, s[12:13]
	s_cbranch_execz .LBB124_58
; %bb.57:                               ;   in Loop: Header=BB124_2 Depth=1
	ds_read_b64 v[7:8], v11 offset:392
	s_waitcnt lgkmcnt(1)
	v_mov_b32_e32 v6, v2
	v_mov_b32_e32 v5, v1
.LBB124_58:                             ;   in Loop: Header=BB124_2 Depth=1
	s_or_b64 exec, exec, s[12:13]
	v_add_u32_e32 v12, 1, v9
	v_add_u32_e32 v11, 1, v10
	v_cndmask_b32_e64 v66, v12, v9, s[10:11]
	s_waitcnt lgkmcnt(0)
	v_cmp_lt_i64_e64 s[14:15], v[7:8], v[5:6]
	v_cndmask_b32_e64 v65, v10, v11, s[10:11]
	v_cmp_ge_i32_e64 s[16:17], v66, v22
	v_cmp_lt_i32_e64 s[12:13], v65, v21
	s_or_b64 s[14:15], s[16:17], s[14:15]
	s_and_b64 s[12:13], s[12:13], s[14:15]
	s_xor_b64 s[14:15], s[12:13], -1
                                        ; implicit-def: $vgpr9_vgpr10
	s_and_saveexec_b64 s[16:17], s[14:15]
	s_xor_b64 s[14:15], exec, s[16:17]
; %bb.59:                               ;   in Loop: Header=BB124_2 Depth=1
	v_lshlrev_b32_e32 v9, 3, v66
	ds_read_b64 v[9:10], v9 offset:8
; %bb.60:                               ;   in Loop: Header=BB124_2 Depth=1
	s_or_saveexec_b64 s[14:15], s[14:15]
	v_mov_b32_e32 v12, v8
	v_mov_b32_e32 v11, v7
	s_xor_b64 exec, exec, s[14:15]
	s_cbranch_execz .LBB124_62
; %bb.61:                               ;   in Loop: Header=BB124_2 Depth=1
	s_waitcnt lgkmcnt(0)
	v_lshlrev_b32_e32 v9, 3, v65
	ds_read_b64 v[11:12], v9 offset:8
	v_mov_b32_e32 v10, v6
	v_mov_b32_e32 v9, v5
.LBB124_62:                             ;   in Loop: Header=BB124_2 Depth=1
	s_or_b64 exec, exec, s[14:15]
	v_cndmask_b32_e64 v6, v6, v8, s[12:13]
	v_cndmask_b32_e64 v5, v5, v7, s[12:13]
	v_add_u32_e32 v7, 1, v65
	v_add_u32_e32 v8, 1, v66
	v_cndmask_b32_e64 v7, v65, v7, s[12:13]
	v_cndmask_b32_e64 v8, v8, v66, s[12:13]
	s_waitcnt lgkmcnt(0)
	v_cmp_lt_i64_e64 s[12:13], v[11:12], v[9:10]
	v_cmp_ge_i32_e64 s[14:15], v8, v22
	v_cndmask_b32_e64 v2, v2, v4, s[10:11]
	v_cndmask_b32_e64 v1, v1, v3, s[10:11]
	v_cmp_lt_i32_e64 s[10:11], v7, v21
	s_or_b64 s[12:13], s[14:15], s[12:13]
	s_and_b64 s[10:11], s[10:11], s[12:13]
	v_cndmask_b32_e64 v3, v9, v11, s[10:11]
	v_mov_b32_e32 v9, v55
	v_cndmask_b32_e64 v4, v10, v12, s[10:11]
	; wave barrier
	ds_write2_b64 v57, v[1:2], v[5:6] offset1:1
	ds_write_b64 v57, v[3:4] offset:16
	s_waitcnt lgkmcnt(0)
	; wave barrier
	s_and_saveexec_b64 s[12:13], s[8:9]
	s_cbranch_execz .LBB124_66
; %bb.63:                               ;   in Loop: Header=BB124_2 Depth=1
	s_mov_b64 s[14:15], 0
	v_mov_b32_e32 v9, v55
	v_mov_b32_e32 v1, v56
.LBB124_64:                             ;   Parent Loop BB124_2 Depth=1
                                        ; =>  This Inner Loop Header: Depth=2
	v_sub_u32_e32 v2, v1, v9
	v_lshrrev_b32_e32 v2, 1, v2
	v_add_u32_e32 v6, v2, v9
	v_not_b32_e32 v3, v6
	v_lshlrev_b32_e32 v2, 3, v6
	v_lshl_add_u32 v4, v3, 3, v64
	ds_read_b64 v[2:3], v2
	ds_read_b64 v[4:5], v4 offset:768
	v_add_u32_e32 v7, 1, v6
	s_waitcnt lgkmcnt(0)
	v_cmp_lt_i64_e64 s[10:11], v[4:5], v[2:3]
	v_cndmask_b32_e64 v1, v1, v6, s[10:11]
	v_cndmask_b32_e64 v9, v7, v9, s[10:11]
	v_cmp_ge_i32_e64 s[10:11], v9, v1
	s_or_b64 s[14:15], s[10:11], s[14:15]
	s_andn2_b64 exec, exec, s[14:15]
	s_cbranch_execnz .LBB124_64
; %bb.65:                               ;   in Loop: Header=BB124_2 Depth=1
	s_or_b64 exec, exec, s[14:15]
.LBB124_66:                             ;   in Loop: Header=BB124_2 Depth=1
	s_or_b64 exec, exec, s[12:13]
	v_lshlrev_b32_e32 v7, 3, v9
	v_sub_u32_e32 v1, v54, v9
	v_lshlrev_b32_e32 v11, 3, v1
	ds_read_b64 v[1:2], v7
	ds_read_b64 v[3:4], v11 offset:768
	v_sub_u32_e32 v10, v63, v9
	v_cmp_le_i32_e64 s[14:15], v53, v9
	v_cmp_gt_i32_e64 s[10:11], s22, v10
                                        ; implicit-def: $vgpr5_vgpr6
	s_waitcnt lgkmcnt(0)
	v_cmp_lt_i64_e64 s[12:13], v[3:4], v[1:2]
	s_or_b64 s[12:13], s[14:15], s[12:13]
	s_and_b64 s[10:11], s[10:11], s[12:13]
	s_xor_b64 s[12:13], s[10:11], -1
	s_and_saveexec_b64 s[14:15], s[12:13]
	s_xor_b64 s[12:13], exec, s[14:15]
; %bb.67:                               ;   in Loop: Header=BB124_2 Depth=1
	ds_read_b64 v[5:6], v7 offset:8
                                        ; implicit-def: $vgpr11
; %bb.68:                               ;   in Loop: Header=BB124_2 Depth=1
	s_or_saveexec_b64 s[12:13], s[12:13]
	v_mov_b32_e32 v8, v4
	v_mov_b32_e32 v7, v3
	s_xor_b64 exec, exec, s[12:13]
	s_cbranch_execz .LBB124_70
; %bb.69:                               ;   in Loop: Header=BB124_2 Depth=1
	ds_read_b64 v[7:8], v11 offset:776
	s_waitcnt lgkmcnt(1)
	v_mov_b32_e32 v6, v2
	v_mov_b32_e32 v5, v1
.LBB124_70:                             ;   in Loop: Header=BB124_2 Depth=1
	s_or_b64 exec, exec, s[12:13]
	v_add_u32_e32 v12, 1, v9
	v_add_u32_e32 v11, 1, v10
	v_cndmask_b32_e64 v67, v12, v9, s[10:11]
	s_waitcnt lgkmcnt(0)
	v_cmp_lt_i64_e64 s[14:15], v[7:8], v[5:6]
	v_cndmask_b32_e64 v65, v10, v11, s[10:11]
	v_cmp_ge_i32_e64 s[16:17], v67, v53
	v_cmp_gt_i32_e64 s[12:13], s22, v65
	s_or_b64 s[14:15], s[16:17], s[14:15]
	s_and_b64 s[12:13], s[12:13], s[14:15]
	s_xor_b64 s[14:15], s[12:13], -1
                                        ; implicit-def: $vgpr9_vgpr10
                                        ; implicit-def: $vgpr66
	s_and_saveexec_b64 s[16:17], s[14:15]
	s_xor_b64 s[14:15], exec, s[16:17]
; %bb.71:                               ;   in Loop: Header=BB124_2 Depth=1
	v_lshlrev_b32_e32 v9, 3, v67
	ds_read_b64 v[9:10], v9 offset:8
	v_add_u32_e32 v66, 1, v67
                                        ; implicit-def: $vgpr67
; %bb.72:                               ;   in Loop: Header=BB124_2 Depth=1
	s_or_saveexec_b64 s[14:15], s[14:15]
	v_mov_b32_e32 v12, v8
	v_mov_b32_e32 v11, v7
	s_xor_b64 exec, exec, s[14:15]
	s_cbranch_execz .LBB124_1
; %bb.73:                               ;   in Loop: Header=BB124_2 Depth=1
	s_waitcnt lgkmcnt(0)
	v_lshlrev_b32_e32 v9, 3, v65
	ds_read_b64 v[11:12], v9 offset:8
	v_mov_b32_e32 v10, v6
	v_add_u32_e32 v65, 1, v65
	v_mov_b32_e32 v66, v67
	v_mov_b32_e32 v9, v5
	s_branch .LBB124_1
.LBB124_74:
	s_add_u32 s0, s18, s20
	s_addc_u32 s1, s19, s21
	v_lshlrev_b32_e32 v0, 3, v0
	global_store_dwordx2 v0, v[1:2], s[0:1]
	global_store_dwordx2 v0, v[5:6], s[0:1] offset:512
	global_store_dwordx2 v0, v[3:4], s[0:1] offset:1024
	s_endpgm
	.section	.rodata,"a",@progbits
	.p2align	6, 0x0
	.amdhsa_kernel _Z16sort_keys_kernelIxLj64ELj3EN10test_utils4lessELj10EEvPKT_PS2_T2_
		.amdhsa_group_segment_fixed_size 1544
		.amdhsa_private_segment_fixed_size 0
		.amdhsa_kernarg_size 20
		.amdhsa_user_sgpr_count 6
		.amdhsa_user_sgpr_private_segment_buffer 1
		.amdhsa_user_sgpr_dispatch_ptr 0
		.amdhsa_user_sgpr_queue_ptr 0
		.amdhsa_user_sgpr_kernarg_segment_ptr 1
		.amdhsa_user_sgpr_dispatch_id 0
		.amdhsa_user_sgpr_flat_scratch_init 0
		.amdhsa_user_sgpr_private_segment_size 0
		.amdhsa_uses_dynamic_stack 0
		.amdhsa_system_sgpr_private_segment_wavefront_offset 0
		.amdhsa_system_sgpr_workgroup_id_x 1
		.amdhsa_system_sgpr_workgroup_id_y 0
		.amdhsa_system_sgpr_workgroup_id_z 0
		.amdhsa_system_sgpr_workgroup_info 0
		.amdhsa_system_vgpr_workitem_id 0
		.amdhsa_next_free_vgpr 68
		.amdhsa_next_free_sgpr 24
		.amdhsa_reserve_vcc 1
		.amdhsa_reserve_flat_scratch 0
		.amdhsa_float_round_mode_32 0
		.amdhsa_float_round_mode_16_64 0
		.amdhsa_float_denorm_mode_32 3
		.amdhsa_float_denorm_mode_16_64 3
		.amdhsa_dx10_clamp 1
		.amdhsa_ieee_mode 1
		.amdhsa_fp16_overflow 0
		.amdhsa_exception_fp_ieee_invalid_op 0
		.amdhsa_exception_fp_denorm_src 0
		.amdhsa_exception_fp_ieee_div_zero 0
		.amdhsa_exception_fp_ieee_overflow 0
		.amdhsa_exception_fp_ieee_underflow 0
		.amdhsa_exception_fp_ieee_inexact 0
		.amdhsa_exception_int_div_zero 0
	.end_amdhsa_kernel
	.section	.text._Z16sort_keys_kernelIxLj64ELj3EN10test_utils4lessELj10EEvPKT_PS2_T2_,"axG",@progbits,_Z16sort_keys_kernelIxLj64ELj3EN10test_utils4lessELj10EEvPKT_PS2_T2_,comdat
.Lfunc_end124:
	.size	_Z16sort_keys_kernelIxLj64ELj3EN10test_utils4lessELj10EEvPKT_PS2_T2_, .Lfunc_end124-_Z16sort_keys_kernelIxLj64ELj3EN10test_utils4lessELj10EEvPKT_PS2_T2_
                                        ; -- End function
	.set _Z16sort_keys_kernelIxLj64ELj3EN10test_utils4lessELj10EEvPKT_PS2_T2_.num_vgpr, 68
	.set _Z16sort_keys_kernelIxLj64ELj3EN10test_utils4lessELj10EEvPKT_PS2_T2_.num_agpr, 0
	.set _Z16sort_keys_kernelIxLj64ELj3EN10test_utils4lessELj10EEvPKT_PS2_T2_.numbered_sgpr, 24
	.set _Z16sort_keys_kernelIxLj64ELj3EN10test_utils4lessELj10EEvPKT_PS2_T2_.num_named_barrier, 0
	.set _Z16sort_keys_kernelIxLj64ELj3EN10test_utils4lessELj10EEvPKT_PS2_T2_.private_seg_size, 0
	.set _Z16sort_keys_kernelIxLj64ELj3EN10test_utils4lessELj10EEvPKT_PS2_T2_.uses_vcc, 1
	.set _Z16sort_keys_kernelIxLj64ELj3EN10test_utils4lessELj10EEvPKT_PS2_T2_.uses_flat_scratch, 0
	.set _Z16sort_keys_kernelIxLj64ELj3EN10test_utils4lessELj10EEvPKT_PS2_T2_.has_dyn_sized_stack, 0
	.set _Z16sort_keys_kernelIxLj64ELj3EN10test_utils4lessELj10EEvPKT_PS2_T2_.has_recursion, 0
	.set _Z16sort_keys_kernelIxLj64ELj3EN10test_utils4lessELj10EEvPKT_PS2_T2_.has_indirect_call, 0
	.section	.AMDGPU.csdata,"",@progbits
; Kernel info:
; codeLenInByte = 4108
; TotalNumSgprs: 28
; NumVgprs: 68
; ScratchSize: 0
; MemoryBound: 0
; FloatMode: 240
; IeeeMode: 1
; LDSByteSize: 1544 bytes/workgroup (compile time only)
; SGPRBlocks: 3
; VGPRBlocks: 16
; NumSGPRsForWavesPerEU: 28
; NumVGPRsForWavesPerEU: 68
; Occupancy: 3
; WaveLimiterHint : 1
; COMPUTE_PGM_RSRC2:SCRATCH_EN: 0
; COMPUTE_PGM_RSRC2:USER_SGPR: 6
; COMPUTE_PGM_RSRC2:TRAP_HANDLER: 0
; COMPUTE_PGM_RSRC2:TGID_X_EN: 1
; COMPUTE_PGM_RSRC2:TGID_Y_EN: 0
; COMPUTE_PGM_RSRC2:TGID_Z_EN: 0
; COMPUTE_PGM_RSRC2:TIDIG_COMP_CNT: 0
	.section	.text._Z17sort_pairs_kernelIxLj64ELj3EN10test_utils4lessELj10EEvPKT_PS2_T2_,"axG",@progbits,_Z17sort_pairs_kernelIxLj64ELj3EN10test_utils4lessELj10EEvPKT_PS2_T2_,comdat
	.protected	_Z17sort_pairs_kernelIxLj64ELj3EN10test_utils4lessELj10EEvPKT_PS2_T2_ ; -- Begin function _Z17sort_pairs_kernelIxLj64ELj3EN10test_utils4lessELj10EEvPKT_PS2_T2_
	.globl	_Z17sort_pairs_kernelIxLj64ELj3EN10test_utils4lessELj10EEvPKT_PS2_T2_
	.p2align	8
	.type	_Z17sort_pairs_kernelIxLj64ELj3EN10test_utils4lessELj10EEvPKT_PS2_T2_,@function
_Z17sort_pairs_kernelIxLj64ELj3EN10test_utils4lessELj10EEvPKT_PS2_T2_: ; @_Z17sort_pairs_kernelIxLj64ELj3EN10test_utils4lessELj10EEvPKT_PS2_T2_
; %bb.0:
	s_load_dwordx4 s[24:27], s[4:5], 0x0
	s_mul_i32 s30, s6, 0xc0
	s_mov_b32 s31, 0
	s_lshl_b64 s[28:29], s[30:31], 3
	v_lshlrev_b32_e32 v1, 3, v0
	s_waitcnt lgkmcnt(0)
	s_add_u32 s0, s24, s28
	s_addc_u32 s1, s25, s29
	global_load_dwordx2 v[7:8], v1, s[0:1]
	global_load_dwordx2 v[11:12], v1, s[0:1] offset:512
	global_load_dwordx2 v[9:10], v1, s[0:1] offset:1024
	v_and_b32_e32 v1, 62, v0
	v_and_b32_e32 v2, 1, v0
	;; [unrolled: 1-line block ×5, first 2 shown]
	v_mul_u32_u24_e32 v1, 3, v1
	v_cmp_eq_u32_e32 vcc, 1, v2
	v_and_b32_e32 v6, 32, v0
	v_mul_u32_u24_e32 v3, 3, v3
	v_mul_u32_u24_e32 v18, 3, v4
	;; [unrolled: 1-line block ×3, first 2 shown]
	v_cndmask_b32_e64 v2, 0, 3, vcc
	v_min_u32_e32 v4, 0xbd, v1
	v_min_u32_e32 v5, 0xba, v1
	v_mul_u32_u24_e32 v53, 3, v6
	v_min_u32_e32 v6, 0xb4, v3
	v_min_u32_e32 v19, 0xc0, v1
	v_lshlrev_b32_e32 v1, 3, v2
	v_add_u32_e32 v21, 3, v4
	v_add_u32_e32 v22, 6, v5
	v_min_u32_e32 v39, 0xba, v3
	v_min_u32_e32 v20, 0xc0, v3
	v_add_u32_e32 v24, 12, v6
	v_lshl_add_u32 v32, v4, 3, v1
	v_sub_u32_e32 v1, v22, v21
	v_sub_u32_e32 v3, v21, v19
	v_add_u32_e32 v31, v4, v2
	v_sub_u32_e32 v4, v2, v1
	v_min_i32_e32 v34, v2, v3
	v_cmp_ge_i32_e32 vcc, v2, v1
	v_cndmask_b32_e32 v35, 0, v4, vcc
	v_and_b32_e32 v13, 3, v0
	v_add_u32_e32 v23, 6, v39
	v_mul_u32_u24_e32 v17, 3, v13
	v_sub_u32_e32 v36, v24, v23
	v_add_u32_e32 v33, v21, v2
	v_min_u32_e32 v45, 0xb4, v18
	v_min_u32_e32 v26, 0xa8, v18
	v_sub_u32_e32 v37, v17, v36
	v_and_b32_e32 v14, 7, v0
	v_add_u32_e32 v25, 12, v45
	v_add_u32_e32 v26, 24, v26
	v_mul_u32_u24_e32 v44, 3, v14
	v_min_u32_e32 v27, 0x90, v47
	v_min_u32_e32 v51, 0xa8, v47
	v_sub_u32_e32 v42, v26, v25
	v_min_u32_e32 v41, 0xc0, v18
	v_and_b32_e32 v15, 15, v0
	v_add_u32_e32 v27, 48, v27
	v_add_u32_e32 v28, 24, v51
	v_sub_u32_e32 v43, v44, v42
	v_mad_u32_u24 v40, v13, 3, v23
	v_cmp_ge_i32_e64 s[2:3], v44, v42
	v_mul_u32_u24_e32 v50, 3, v15
	v_min_u32_e32 v29, 0x60, v53
	v_min_u32_e32 v57, 0x90, v53
	v_sub_u32_e32 v48, v27, v28
	v_cndmask_b32_e64 v42, 0, v43, s[2:3]
	v_min_u32_e32 v47, 0xc0, v47
	v_and_b32_e32 v16, 31, v0
	v_add_u32_e32 v29, 0x60, v29
	v_add_u32_e32 v30, 48, v57
	v_sub_u32_e32 v49, v50, v48
	v_cmp_ge_i32_e64 s[4:5], v50, v48
	v_mul_u32_u24_e32 v56, 3, v16
	v_sub_u32_e32 v54, v29, v30
	v_cndmask_b32_e64 v48, 0, v49, s[4:5]
	v_min_u32_e32 v53, 0xc0, v53
	v_sub_u32_e32 v55, v56, v54
	v_cmp_ge_i32_e64 s[6:7], v56, v54
	v_mov_b32_e32 v59, 0x60
	v_mul_u32_u24_e32 v60, 3, v0
	v_cndmask_b32_e64 v54, 0, v55, s[6:7]
	v_sub_u32_e64 v61, v60, v59 clamp
	v_min_i32_e32 v62, 0x60, v60
	s_movk_i32 s24, 0xc0
	v_cmp_lt_i32_e32 vcc, v35, v34
	s_waitcnt vmcnt(2)
	v_add_co_u32_e64 v5, s[0:1], 1, v7
	v_addc_co_u32_e64 v6, s[0:1], 0, v8, s[0:1]
	s_waitcnt vmcnt(1)
	v_add_co_u32_e64 v3, s[0:1], 1, v11
	v_addc_co_u32_e64 v4, s[0:1], 0, v12, s[0:1]
	;; [unrolled: 3-line block ×3, first 2 shown]
	v_cmp_ge_i32_e64 s[0:1], v17, v36
	v_cndmask_b32_e64 v36, 0, v37, s[0:1]
	v_sub_u32_e32 v37, v23, v20
	v_min_i32_e32 v37, v17, v37
	v_lshlrev_b32_e32 v17, 3, v17
	v_lshl_add_u32 v38, v39, 3, v17
	v_mad_u32_u24 v39, v13, 3, v39
	v_sub_u32_e32 v13, v25, v41
	v_min_i32_e32 v43, v44, v13
	v_lshlrev_b32_e32 v13, 3, v44
	v_lshl_add_u32 v44, v45, 3, v13
	v_sub_u32_e32 v13, v28, v47
	v_min_i32_e32 v49, v50, v13
	v_lshlrev_b32_e32 v13, 3, v50
	v_lshl_add_u32 v50, v51, 3, v13
	v_sub_u32_e32 v13, v30, v53
	v_min_i32_e32 v55, v56, v13
	v_lshlrev_b32_e32 v13, 3, v56
	v_cmp_lt_i32_e64 s[0:1], v36, v37
	v_cmp_lt_i32_e64 s[2:3], v42, v43
	v_mad_u32_u24 v45, v14, 3, v45
	v_mad_u32_u24 v46, v14, 3, v25
	v_cmp_lt_i32_e64 s[4:5], v48, v49
	v_mad_u32_u24 v51, v15, 3, v51
	v_mad_u32_u24 v52, v15, 3, v28
	v_cmp_lt_i32_e64 s[6:7], v54, v55
	v_lshl_add_u32 v56, v57, 3, v13
	v_mad_u32_u24 v57, v16, 3, v57
	v_mad_u32_u24 v58, v16, 3, v30
	v_cmp_lt_i32_e64 s[8:9], v61, v62
	v_mul_u32_u24_e32 v63, 24, v0
	v_lshlrev_b32_e32 v64, 3, v19
	v_lshlrev_b32_e32 v65, 3, v20
	v_lshlrev_b32_e32 v66, 3, v41
	v_lshlrev_b32_e32 v67, 3, v47
	v_lshlrev_b32_e32 v68, 3, v53
	v_mad_u32_u24 v69, v0, 3, v59
	v_lshlrev_b32_e32 v70, 3, v60
	s_branch .LBB125_2
.LBB125_1:                              ;   in Loop: Header=BB125_2 Depth=1
	s_or_b64 exec, exec, s[14:15]
	s_waitcnt lgkmcnt(0)
	v_cmp_lt_i64_e64 s[14:15], v[17:18], v[15:16]
	v_cmp_ge_i32_e64 s[16:17], v75, v59
	v_cndmask_b32_e64 v8, v8, v14, s[10:11]
	v_cndmask_b32_e64 v7, v7, v13, s[10:11]
	v_cndmask_b32_e64 v13, v71, v72, s[10:11]
	v_cmp_gt_i32_e64 s[10:11], s24, v73
	s_or_b64 s[14:15], s[16:17], s[14:15]
	s_and_b64 s[10:11], s[10:11], s[14:15]
	v_cndmask_b32_e64 v14, v75, v73, s[10:11]
	; wave barrier
	ds_write2_b64 v63, v[1:2], v[5:6] offset1:1
	ds_write_b64 v63, v[3:4] offset:16
	v_lshlrev_b32_e32 v1, 3, v13
	v_lshlrev_b32_e32 v2, 3, v74
	s_waitcnt lgkmcnt(0)
	; wave barrier
	v_lshlrev_b32_e32 v13, 3, v14
	ds_read_b64 v[5:6], v1
	ds_read_b64 v[3:4], v2
	;; [unrolled: 1-line block ×3, first 2 shown]
	s_add_i32 s31, s31, 1
	v_cndmask_b32_e64 v12, v10, v12, s[12:13]
	v_cndmask_b32_e64 v10, v16, v18, s[10:11]
	;; [unrolled: 1-line block ×3, first 2 shown]
	s_cmp_eq_u32 s31, 10
	v_cndmask_b32_e64 v9, v15, v17, s[10:11]
	s_cbranch_scc1 .LBB125_74
.LBB125_2:                              ; =>This Loop Header: Depth=1
                                        ;     Child Loop BB125_4 Depth 2
                                        ;     Child Loop BB125_16 Depth 2
	;; [unrolled: 1-line block ×6, first 2 shown]
	v_cmp_lt_i64_e64 s[10:11], v[11:12], v[7:8]
	v_cmp_gt_i64_e64 s[12:13], v[11:12], v[7:8]
	v_cndmask_b32_e64 v14, v8, v12, s[10:11]
	v_cndmask_b32_e64 v13, v7, v11, s[10:11]
	;; [unrolled: 1-line block ×6, first 2 shown]
	v_cmp_lt_i64_e64 s[12:13], v[9:10], v[7:8]
	v_cndmask_b32_e64 v12, v10, v8, s[12:13]
	v_cndmask_b32_e64 v11, v9, v7, s[12:13]
	;; [unrolled: 1-line block ×4, first 2 shown]
	v_cmp_lt_i64_e64 s[14:15], v[7:8], v[13:14]
	v_cndmask_b32_e64 v16, v16, v9, s[12:13]
	v_cndmask_b32_e64 v15, v15, v10, s[12:13]
	;; [unrolled: 1-line block ×6, first 2 shown]
	; wave barrier
	ds_write2_b64 v63, v[7:8], v[9:10] offset1:1
	ds_write_b64 v63, v[11:12] offset:16
	v_mov_b32_e32 v11, v35
	s_waitcnt lgkmcnt(0)
	; wave barrier
	s_and_saveexec_b64 s[18:19], vcc
	s_cbranch_execz .LBB125_6
; %bb.3:                                ;   in Loop: Header=BB125_2 Depth=1
	s_mov_b64 s[20:21], 0
	v_mov_b32_e32 v11, v35
	v_mov_b32_e32 v7, v34
.LBB125_4:                              ;   Parent Loop BB125_2 Depth=1
                                        ; =>  This Inner Loop Header: Depth=2
	v_sub_u32_e32 v8, v7, v11
	v_lshrrev_b32_e32 v8, 1, v8
	v_add_u32_e32 v10, v8, v11
	v_not_b32_e32 v9, v10
	v_lshl_add_u32 v8, v10, 3, v64
	v_lshl_add_u32 v12, v9, 3, v32
	ds_read_b64 v[8:9], v8
	ds_read_b64 v[12:13], v12 offset:24
	v_add_u32_e32 v14, 1, v10
	s_waitcnt lgkmcnt(0)
	v_cmp_lt_i64_e64 s[16:17], v[12:13], v[8:9]
	v_cndmask_b32_e64 v7, v7, v10, s[16:17]
	v_cndmask_b32_e64 v11, v14, v11, s[16:17]
	v_cmp_ge_i32_e64 s[16:17], v11, v7
	s_or_b64 s[20:21], s[16:17], s[20:21]
	s_andn2_b64 exec, exec, s[20:21]
	s_cbranch_execnz .LBB125_4
; %bb.5:                                ;   in Loop: Header=BB125_2 Depth=1
	s_or_b64 exec, exec, s[20:21]
.LBB125_6:                              ;   in Loop: Header=BB125_2 Depth=1
	s_or_b64 exec, exec, s[18:19]
	v_lshl_add_u32 v14, v11, 3, v64
	v_sub_u32_e32 v7, v31, v11
	v_lshlrev_b32_e32 v13, 3, v7
	ds_read_b64 v[7:8], v14
	ds_read_b64 v[9:10], v13 offset:24
	v_add_u32_e32 v71, v11, v19
	v_sub_u32_e32 v72, v33, v11
	v_cmp_le_i32_e64 s[20:21], v21, v71
	v_cmp_gt_i32_e64 s[16:17], v22, v72
	s_waitcnt lgkmcnt(0)
	v_cmp_lt_i64_e64 s[18:19], v[9:10], v[7:8]
                                        ; implicit-def: $vgpr11_vgpr12
	s_or_b64 s[18:19], s[20:21], s[18:19]
	s_and_b64 s[16:17], s[16:17], s[18:19]
	s_xor_b64 s[18:19], s[16:17], -1
	s_and_saveexec_b64 s[20:21], s[18:19]
	s_xor_b64 s[18:19], exec, s[20:21]
; %bb.7:                                ;   in Loop: Header=BB125_2 Depth=1
	ds_read_b64 v[11:12], v14 offset:8
                                        ; implicit-def: $vgpr13
; %bb.8:                                ;   in Loop: Header=BB125_2 Depth=1
	s_or_saveexec_b64 s[18:19], s[18:19]
	v_mov_b32_e32 v16, v10
	v_mov_b32_e32 v15, v9
	s_xor_b64 exec, exec, s[18:19]
	s_cbranch_execz .LBB125_10
; %bb.9:                                ;   in Loop: Header=BB125_2 Depth=1
	ds_read_b64 v[15:16], v13 offset:32
	s_waitcnt lgkmcnt(1)
	v_mov_b32_e32 v12, v8
	v_mov_b32_e32 v11, v7
.LBB125_10:                             ;   in Loop: Header=BB125_2 Depth=1
	s_or_b64 exec, exec, s[18:19]
	v_add_u32_e32 v14, 1, v71
	v_add_u32_e32 v13, 1, v72
	v_cndmask_b32_e64 v74, v14, v71, s[16:17]
	s_waitcnt lgkmcnt(0)
	v_cmp_lt_i64_e64 s[20:21], v[15:16], v[11:12]
	v_cndmask_b32_e64 v73, v72, v13, s[16:17]
	v_cmp_ge_i32_e64 s[22:23], v74, v21
	v_cmp_lt_i32_e64 s[18:19], v73, v22
	s_or_b64 s[20:21], s[22:23], s[20:21]
	s_and_b64 s[18:19], s[18:19], s[20:21]
	s_xor_b64 s[20:21], s[18:19], -1
                                        ; implicit-def: $vgpr13_vgpr14
	s_and_saveexec_b64 s[22:23], s[20:21]
	s_xor_b64 s[20:21], exec, s[22:23]
; %bb.11:                               ;   in Loop: Header=BB125_2 Depth=1
	v_lshlrev_b32_e32 v13, 3, v74
	ds_read_b64 v[13:14], v13 offset:8
; %bb.12:                               ;   in Loop: Header=BB125_2 Depth=1
	s_or_saveexec_b64 s[20:21], s[20:21]
	v_mov_b32_e32 v18, v16
	v_mov_b32_e32 v17, v15
	s_xor_b64 exec, exec, s[20:21]
	s_cbranch_execz .LBB125_14
; %bb.13:                               ;   in Loop: Header=BB125_2 Depth=1
	s_waitcnt lgkmcnt(0)
	v_lshlrev_b32_e32 v13, 3, v73
	ds_read_b64 v[17:18], v13 offset:8
	v_mov_b32_e32 v14, v12
	v_mov_b32_e32 v13, v11
.LBB125_14:                             ;   in Loop: Header=BB125_2 Depth=1
	s_or_b64 exec, exec, s[20:21]
	v_cndmask_b32_e64 v12, v12, v16, s[18:19]
	v_add_u32_e32 v16, 1, v74
	v_cndmask_b32_e64 v8, v8, v10, s[16:17]
	v_cndmask_b32_e64 v7, v7, v9, s[16:17]
	;; [unrolled: 1-line block ×7, first 2 shown]
	v_add_u32_e32 v15, 1, v73
	v_cndmask_b32_e64 v16, v16, v74, s[18:19]
	v_cndmask_b32_e64 v4, v2, v6, s[12:13]
	;; [unrolled: 1-line block ×5, first 2 shown]
	s_waitcnt lgkmcnt(0)
	v_cmp_lt_i64_e64 s[12:13], v[17:18], v[13:14]
	v_cndmask_b32_e64 v15, v73, v15, s[18:19]
	v_cndmask_b32_e64 v2, v6, v10, s[14:15]
	;; [unrolled: 1-line block ×5, first 2 shown]
	v_cmp_ge_i32_e64 s[14:15], v16, v21
	v_cmp_lt_i32_e64 s[10:11], v15, v22
	s_or_b64 s[12:13], s[14:15], s[12:13]
	s_and_b64 s[10:11], s[10:11], s[12:13]
	v_cndmask_b32_e64 v73, v74, v73, s[18:19]
	v_cndmask_b32_e64 v71, v71, v72, s[16:17]
	;; [unrolled: 1-line block ×4, first 2 shown]
	; wave barrier
	ds_write2_b64 v63, v[5:6], v[1:2] offset1:1
	ds_write_b64 v63, v[3:4] offset:16
	v_lshlrev_b32_e32 v1, 3, v71
	v_lshlrev_b32_e32 v3, 3, v73
	;; [unrolled: 1-line block ×3, first 2 shown]
	s_waitcnt lgkmcnt(0)
	; wave barrier
	ds_read_b64 v[1:2], v1
	ds_read_b64 v[5:6], v3
	;; [unrolled: 1-line block ×3, first 2 shown]
	v_cndmask_b32_e64 v10, v14, v18, s[10:11]
	s_waitcnt lgkmcnt(0)
	; wave barrier
	ds_write2_b64 v63, v[7:8], v[11:12] offset1:1
	ds_write_b64 v63, v[9:10] offset:16
	v_mov_b32_e32 v11, v36
	s_waitcnt lgkmcnt(0)
	; wave barrier
	s_and_saveexec_b64 s[12:13], s[0:1]
	s_cbranch_execz .LBB125_18
; %bb.15:                               ;   in Loop: Header=BB125_2 Depth=1
	s_mov_b64 s[14:15], 0
	v_mov_b32_e32 v11, v36
	v_mov_b32_e32 v7, v37
.LBB125_16:                             ;   Parent Loop BB125_2 Depth=1
                                        ; =>  This Inner Loop Header: Depth=2
	v_sub_u32_e32 v8, v7, v11
	v_lshrrev_b32_e32 v8, 1, v8
	v_add_u32_e32 v10, v8, v11
	v_not_b32_e32 v9, v10
	v_lshl_add_u32 v8, v10, 3, v65
	v_lshl_add_u32 v12, v9, 3, v38
	ds_read_b64 v[8:9], v8
	ds_read_b64 v[12:13], v12 offset:48
	v_add_u32_e32 v14, 1, v10
	s_waitcnt lgkmcnt(0)
	v_cmp_lt_i64_e64 s[10:11], v[12:13], v[8:9]
	v_cndmask_b32_e64 v7, v7, v10, s[10:11]
	v_cndmask_b32_e64 v11, v14, v11, s[10:11]
	v_cmp_ge_i32_e64 s[10:11], v11, v7
	s_or_b64 s[14:15], s[10:11], s[14:15]
	s_andn2_b64 exec, exec, s[14:15]
	s_cbranch_execnz .LBB125_16
; %bb.17:                               ;   in Loop: Header=BB125_2 Depth=1
	s_or_b64 exec, exec, s[14:15]
.LBB125_18:                             ;   in Loop: Header=BB125_2 Depth=1
	s_or_b64 exec, exec, s[12:13]
	v_lshl_add_u32 v13, v11, 3, v65
	v_sub_u32_e32 v7, v39, v11
	v_lshlrev_b32_e32 v15, 3, v7
	ds_read_b64 v[7:8], v13
	ds_read_b64 v[9:10], v15 offset:48
	v_add_u32_e32 v71, v11, v20
	v_sub_u32_e32 v72, v40, v11
	v_cmp_le_i32_e64 s[14:15], v23, v71
	v_cmp_gt_i32_e64 s[10:11], v24, v72
	s_waitcnt lgkmcnt(0)
	v_cmp_lt_i64_e64 s[12:13], v[9:10], v[7:8]
                                        ; implicit-def: $vgpr11_vgpr12
	s_or_b64 s[12:13], s[14:15], s[12:13]
	s_and_b64 s[10:11], s[10:11], s[12:13]
	s_xor_b64 s[12:13], s[10:11], -1
	s_and_saveexec_b64 s[14:15], s[12:13]
	s_xor_b64 s[12:13], exec, s[14:15]
; %bb.19:                               ;   in Loop: Header=BB125_2 Depth=1
	ds_read_b64 v[11:12], v13 offset:8
                                        ; implicit-def: $vgpr15
; %bb.20:                               ;   in Loop: Header=BB125_2 Depth=1
	s_or_saveexec_b64 s[12:13], s[12:13]
	v_mov_b32_e32 v14, v10
	v_mov_b32_e32 v13, v9
	s_xor_b64 exec, exec, s[12:13]
	s_cbranch_execz .LBB125_22
; %bb.21:                               ;   in Loop: Header=BB125_2 Depth=1
	ds_read_b64 v[13:14], v15 offset:56
	s_waitcnt lgkmcnt(1)
	v_mov_b32_e32 v12, v8
	v_mov_b32_e32 v11, v7
.LBB125_22:                             ;   in Loop: Header=BB125_2 Depth=1
	s_or_b64 exec, exec, s[12:13]
	v_add_u32_e32 v16, 1, v71
	v_add_u32_e32 v15, 1, v72
	v_cndmask_b32_e64 v74, v16, v71, s[10:11]
	s_waitcnt lgkmcnt(0)
	v_cmp_lt_i64_e64 s[14:15], v[13:14], v[11:12]
	v_cndmask_b32_e64 v73, v72, v15, s[10:11]
	v_cmp_ge_i32_e64 s[16:17], v74, v23
	v_cmp_lt_i32_e64 s[12:13], v73, v24
	s_or_b64 s[14:15], s[16:17], s[14:15]
	s_and_b64 s[12:13], s[12:13], s[14:15]
	s_xor_b64 s[14:15], s[12:13], -1
                                        ; implicit-def: $vgpr15_vgpr16
	s_and_saveexec_b64 s[16:17], s[14:15]
	s_xor_b64 s[14:15], exec, s[16:17]
; %bb.23:                               ;   in Loop: Header=BB125_2 Depth=1
	v_lshlrev_b32_e32 v15, 3, v74
	ds_read_b64 v[15:16], v15 offset:8
; %bb.24:                               ;   in Loop: Header=BB125_2 Depth=1
	s_or_saveexec_b64 s[14:15], s[14:15]
	v_mov_b32_e32 v18, v14
	v_mov_b32_e32 v17, v13
	s_xor_b64 exec, exec, s[14:15]
	s_cbranch_execz .LBB125_26
; %bb.25:                               ;   in Loop: Header=BB125_2 Depth=1
	s_waitcnt lgkmcnt(0)
	v_lshlrev_b32_e32 v15, 3, v73
	ds_read_b64 v[17:18], v15 offset:8
	v_mov_b32_e32 v16, v12
	v_mov_b32_e32 v15, v11
.LBB125_26:                             ;   in Loop: Header=BB125_2 Depth=1
	s_or_b64 exec, exec, s[14:15]
	v_cndmask_b32_e64 v12, v12, v14, s[12:13]
	v_cndmask_b32_e64 v11, v11, v13, s[12:13]
	v_add_u32_e32 v13, 1, v73
	v_add_u32_e32 v14, 1, v74
	v_cndmask_b32_e64 v13, v73, v13, s[12:13]
	v_cndmask_b32_e64 v14, v14, v74, s[12:13]
	;; [unrolled: 1-line block ×3, first 2 shown]
	s_waitcnt lgkmcnt(0)
	v_cmp_lt_i64_e64 s[12:13], v[17:18], v[15:16]
	v_cmp_ge_i32_e64 s[14:15], v14, v23
	v_cndmask_b32_e64 v8, v8, v10, s[10:11]
	v_cndmask_b32_e64 v7, v7, v9, s[10:11]
	;; [unrolled: 1-line block ×3, first 2 shown]
	v_cmp_lt_i32_e64 s[10:11], v13, v24
	s_or_b64 s[12:13], s[14:15], s[12:13]
	s_and_b64 s[10:11], s[10:11], s[12:13]
	v_cndmask_b32_e64 v13, v14, v13, s[10:11]
	; wave barrier
	ds_write2_b64 v63, v[1:2], v[5:6] offset1:1
	ds_write_b64 v63, v[3:4] offset:16
	v_lshlrev_b32_e32 v1, 3, v71
	v_lshlrev_b32_e32 v3, 3, v73
	;; [unrolled: 1-line block ×3, first 2 shown]
	s_waitcnt lgkmcnt(0)
	; wave barrier
	ds_read_b64 v[1:2], v1
	ds_read_b64 v[5:6], v3
	ds_read_b64 v[3:4], v4
	v_cndmask_b32_e64 v10, v16, v18, s[10:11]
	v_cndmask_b32_e64 v9, v15, v17, s[10:11]
	s_waitcnt lgkmcnt(0)
	; wave barrier
	ds_write2_b64 v63, v[7:8], v[11:12] offset1:1
	ds_write_b64 v63, v[9:10] offset:16
	v_mov_b32_e32 v11, v42
	s_waitcnt lgkmcnt(0)
	; wave barrier
	s_and_saveexec_b64 s[12:13], s[2:3]
	s_cbranch_execz .LBB125_30
; %bb.27:                               ;   in Loop: Header=BB125_2 Depth=1
	s_mov_b64 s[14:15], 0
	v_mov_b32_e32 v11, v42
	v_mov_b32_e32 v7, v43
.LBB125_28:                             ;   Parent Loop BB125_2 Depth=1
                                        ; =>  This Inner Loop Header: Depth=2
	v_sub_u32_e32 v8, v7, v11
	v_lshrrev_b32_e32 v8, 1, v8
	v_add_u32_e32 v10, v8, v11
	v_not_b32_e32 v9, v10
	v_lshl_add_u32 v8, v10, 3, v66
	v_lshl_add_u32 v12, v9, 3, v44
	ds_read_b64 v[8:9], v8
	ds_read_b64 v[12:13], v12 offset:96
	v_add_u32_e32 v14, 1, v10
	s_waitcnt lgkmcnt(0)
	v_cmp_lt_i64_e64 s[10:11], v[12:13], v[8:9]
	v_cndmask_b32_e64 v7, v7, v10, s[10:11]
	v_cndmask_b32_e64 v11, v14, v11, s[10:11]
	v_cmp_ge_i32_e64 s[10:11], v11, v7
	s_or_b64 s[14:15], s[10:11], s[14:15]
	s_andn2_b64 exec, exec, s[14:15]
	s_cbranch_execnz .LBB125_28
; %bb.29:                               ;   in Loop: Header=BB125_2 Depth=1
	s_or_b64 exec, exec, s[14:15]
.LBB125_30:                             ;   in Loop: Header=BB125_2 Depth=1
	s_or_b64 exec, exec, s[12:13]
	v_lshl_add_u32 v13, v11, 3, v66
	v_sub_u32_e32 v7, v45, v11
	v_lshlrev_b32_e32 v15, 3, v7
	ds_read_b64 v[7:8], v13
	ds_read_b64 v[9:10], v15 offset:96
	v_add_u32_e32 v71, v11, v41
	v_sub_u32_e32 v72, v46, v11
	v_cmp_le_i32_e64 s[14:15], v25, v71
	v_cmp_gt_i32_e64 s[10:11], v26, v72
	s_waitcnt lgkmcnt(0)
	v_cmp_lt_i64_e64 s[12:13], v[9:10], v[7:8]
                                        ; implicit-def: $vgpr11_vgpr12
	s_or_b64 s[12:13], s[14:15], s[12:13]
	s_and_b64 s[10:11], s[10:11], s[12:13]
	s_xor_b64 s[12:13], s[10:11], -1
	s_and_saveexec_b64 s[14:15], s[12:13]
	s_xor_b64 s[12:13], exec, s[14:15]
; %bb.31:                               ;   in Loop: Header=BB125_2 Depth=1
	ds_read_b64 v[11:12], v13 offset:8
                                        ; implicit-def: $vgpr15
; %bb.32:                               ;   in Loop: Header=BB125_2 Depth=1
	s_or_saveexec_b64 s[12:13], s[12:13]
	v_mov_b32_e32 v14, v10
	v_mov_b32_e32 v13, v9
	s_xor_b64 exec, exec, s[12:13]
	s_cbranch_execz .LBB125_34
; %bb.33:                               ;   in Loop: Header=BB125_2 Depth=1
	ds_read_b64 v[13:14], v15 offset:104
	s_waitcnt lgkmcnt(1)
	v_mov_b32_e32 v12, v8
	v_mov_b32_e32 v11, v7
.LBB125_34:                             ;   in Loop: Header=BB125_2 Depth=1
	s_or_b64 exec, exec, s[12:13]
	v_add_u32_e32 v16, 1, v71
	v_add_u32_e32 v15, 1, v72
	v_cndmask_b32_e64 v74, v16, v71, s[10:11]
	s_waitcnt lgkmcnt(0)
	v_cmp_lt_i64_e64 s[14:15], v[13:14], v[11:12]
	v_cndmask_b32_e64 v73, v72, v15, s[10:11]
	v_cmp_ge_i32_e64 s[16:17], v74, v25
	v_cmp_lt_i32_e64 s[12:13], v73, v26
	s_or_b64 s[14:15], s[16:17], s[14:15]
	s_and_b64 s[12:13], s[12:13], s[14:15]
	s_xor_b64 s[14:15], s[12:13], -1
                                        ; implicit-def: $vgpr15_vgpr16
	s_and_saveexec_b64 s[16:17], s[14:15]
	s_xor_b64 s[14:15], exec, s[16:17]
; %bb.35:                               ;   in Loop: Header=BB125_2 Depth=1
	v_lshlrev_b32_e32 v15, 3, v74
	ds_read_b64 v[15:16], v15 offset:8
; %bb.36:                               ;   in Loop: Header=BB125_2 Depth=1
	s_or_saveexec_b64 s[14:15], s[14:15]
	v_mov_b32_e32 v18, v14
	v_mov_b32_e32 v17, v13
	s_xor_b64 exec, exec, s[14:15]
	s_cbranch_execz .LBB125_38
; %bb.37:                               ;   in Loop: Header=BB125_2 Depth=1
	s_waitcnt lgkmcnt(0)
	v_lshlrev_b32_e32 v15, 3, v73
	ds_read_b64 v[17:18], v15 offset:8
	v_mov_b32_e32 v16, v12
	v_mov_b32_e32 v15, v11
.LBB125_38:                             ;   in Loop: Header=BB125_2 Depth=1
	s_or_b64 exec, exec, s[14:15]
	v_cndmask_b32_e64 v12, v12, v14, s[12:13]
	v_cndmask_b32_e64 v11, v11, v13, s[12:13]
	v_add_u32_e32 v13, 1, v73
	v_add_u32_e32 v14, 1, v74
	v_cndmask_b32_e64 v13, v73, v13, s[12:13]
	v_cndmask_b32_e64 v14, v14, v74, s[12:13]
	;; [unrolled: 1-line block ×3, first 2 shown]
	s_waitcnt lgkmcnt(0)
	v_cmp_lt_i64_e64 s[12:13], v[17:18], v[15:16]
	v_cmp_ge_i32_e64 s[14:15], v14, v25
	v_cndmask_b32_e64 v8, v8, v10, s[10:11]
	v_cndmask_b32_e64 v7, v7, v9, s[10:11]
	;; [unrolled: 1-line block ×3, first 2 shown]
	v_cmp_lt_i32_e64 s[10:11], v13, v26
	s_or_b64 s[12:13], s[14:15], s[12:13]
	s_and_b64 s[10:11], s[10:11], s[12:13]
	v_cndmask_b32_e64 v13, v14, v13, s[10:11]
	; wave barrier
	ds_write2_b64 v63, v[1:2], v[5:6] offset1:1
	ds_write_b64 v63, v[3:4] offset:16
	v_lshlrev_b32_e32 v1, 3, v71
	v_lshlrev_b32_e32 v3, 3, v73
	;; [unrolled: 1-line block ×3, first 2 shown]
	s_waitcnt lgkmcnt(0)
	; wave barrier
	ds_read_b64 v[1:2], v1
	ds_read_b64 v[5:6], v3
	;; [unrolled: 1-line block ×3, first 2 shown]
	v_cndmask_b32_e64 v10, v16, v18, s[10:11]
	v_cndmask_b32_e64 v9, v15, v17, s[10:11]
	s_waitcnt lgkmcnt(0)
	; wave barrier
	ds_write2_b64 v63, v[7:8], v[11:12] offset1:1
	ds_write_b64 v63, v[9:10] offset:16
	v_mov_b32_e32 v11, v48
	s_waitcnt lgkmcnt(0)
	; wave barrier
	s_and_saveexec_b64 s[12:13], s[4:5]
	s_cbranch_execz .LBB125_42
; %bb.39:                               ;   in Loop: Header=BB125_2 Depth=1
	s_mov_b64 s[14:15], 0
	v_mov_b32_e32 v11, v48
	v_mov_b32_e32 v7, v49
.LBB125_40:                             ;   Parent Loop BB125_2 Depth=1
                                        ; =>  This Inner Loop Header: Depth=2
	v_sub_u32_e32 v8, v7, v11
	v_lshrrev_b32_e32 v8, 1, v8
	v_add_u32_e32 v10, v8, v11
	v_not_b32_e32 v9, v10
	v_lshl_add_u32 v8, v10, 3, v67
	v_lshl_add_u32 v12, v9, 3, v50
	ds_read_b64 v[8:9], v8
	ds_read_b64 v[12:13], v12 offset:192
	v_add_u32_e32 v14, 1, v10
	s_waitcnt lgkmcnt(0)
	v_cmp_lt_i64_e64 s[10:11], v[12:13], v[8:9]
	v_cndmask_b32_e64 v7, v7, v10, s[10:11]
	v_cndmask_b32_e64 v11, v14, v11, s[10:11]
	v_cmp_ge_i32_e64 s[10:11], v11, v7
	s_or_b64 s[14:15], s[10:11], s[14:15]
	s_andn2_b64 exec, exec, s[14:15]
	s_cbranch_execnz .LBB125_40
; %bb.41:                               ;   in Loop: Header=BB125_2 Depth=1
	s_or_b64 exec, exec, s[14:15]
.LBB125_42:                             ;   in Loop: Header=BB125_2 Depth=1
	s_or_b64 exec, exec, s[12:13]
	v_lshl_add_u32 v13, v11, 3, v67
	v_sub_u32_e32 v7, v51, v11
	v_lshlrev_b32_e32 v15, 3, v7
	ds_read_b64 v[7:8], v13
	ds_read_b64 v[9:10], v15 offset:192
	v_add_u32_e32 v71, v11, v47
	v_sub_u32_e32 v72, v52, v11
	v_cmp_le_i32_e64 s[14:15], v28, v71
	v_cmp_gt_i32_e64 s[10:11], v27, v72
	s_waitcnt lgkmcnt(0)
	v_cmp_lt_i64_e64 s[12:13], v[9:10], v[7:8]
                                        ; implicit-def: $vgpr11_vgpr12
	s_or_b64 s[12:13], s[14:15], s[12:13]
	s_and_b64 s[10:11], s[10:11], s[12:13]
	s_xor_b64 s[12:13], s[10:11], -1
	s_and_saveexec_b64 s[14:15], s[12:13]
	s_xor_b64 s[12:13], exec, s[14:15]
; %bb.43:                               ;   in Loop: Header=BB125_2 Depth=1
	ds_read_b64 v[11:12], v13 offset:8
                                        ; implicit-def: $vgpr15
; %bb.44:                               ;   in Loop: Header=BB125_2 Depth=1
	s_or_saveexec_b64 s[12:13], s[12:13]
	v_mov_b32_e32 v14, v10
	v_mov_b32_e32 v13, v9
	s_xor_b64 exec, exec, s[12:13]
	s_cbranch_execz .LBB125_46
; %bb.45:                               ;   in Loop: Header=BB125_2 Depth=1
	ds_read_b64 v[13:14], v15 offset:200
	s_waitcnt lgkmcnt(1)
	v_mov_b32_e32 v12, v8
	v_mov_b32_e32 v11, v7
.LBB125_46:                             ;   in Loop: Header=BB125_2 Depth=1
	s_or_b64 exec, exec, s[12:13]
	v_add_u32_e32 v16, 1, v71
	v_add_u32_e32 v15, 1, v72
	v_cndmask_b32_e64 v74, v16, v71, s[10:11]
	s_waitcnt lgkmcnt(0)
	v_cmp_lt_i64_e64 s[14:15], v[13:14], v[11:12]
	v_cndmask_b32_e64 v73, v72, v15, s[10:11]
	v_cmp_ge_i32_e64 s[16:17], v74, v28
	v_cmp_lt_i32_e64 s[12:13], v73, v27
	s_or_b64 s[14:15], s[16:17], s[14:15]
	s_and_b64 s[12:13], s[12:13], s[14:15]
	s_xor_b64 s[14:15], s[12:13], -1
                                        ; implicit-def: $vgpr15_vgpr16
	s_and_saveexec_b64 s[16:17], s[14:15]
	s_xor_b64 s[14:15], exec, s[16:17]
; %bb.47:                               ;   in Loop: Header=BB125_2 Depth=1
	v_lshlrev_b32_e32 v15, 3, v74
	ds_read_b64 v[15:16], v15 offset:8
; %bb.48:                               ;   in Loop: Header=BB125_2 Depth=1
	s_or_saveexec_b64 s[14:15], s[14:15]
	v_mov_b32_e32 v18, v14
	v_mov_b32_e32 v17, v13
	s_xor_b64 exec, exec, s[14:15]
	s_cbranch_execz .LBB125_50
; %bb.49:                               ;   in Loop: Header=BB125_2 Depth=1
	s_waitcnt lgkmcnt(0)
	v_lshlrev_b32_e32 v15, 3, v73
	ds_read_b64 v[17:18], v15 offset:8
	v_mov_b32_e32 v16, v12
	v_mov_b32_e32 v15, v11
.LBB125_50:                             ;   in Loop: Header=BB125_2 Depth=1
	s_or_b64 exec, exec, s[14:15]
	v_cndmask_b32_e64 v12, v12, v14, s[12:13]
	v_cndmask_b32_e64 v11, v11, v13, s[12:13]
	v_add_u32_e32 v13, 1, v73
	v_add_u32_e32 v14, 1, v74
	v_cndmask_b32_e64 v13, v73, v13, s[12:13]
	v_cndmask_b32_e64 v14, v14, v74, s[12:13]
	;; [unrolled: 1-line block ×3, first 2 shown]
	s_waitcnt lgkmcnt(0)
	v_cmp_lt_i64_e64 s[12:13], v[17:18], v[15:16]
	v_cmp_ge_i32_e64 s[14:15], v14, v28
	v_cndmask_b32_e64 v8, v8, v10, s[10:11]
	v_cndmask_b32_e64 v7, v7, v9, s[10:11]
	;; [unrolled: 1-line block ×3, first 2 shown]
	v_cmp_lt_i32_e64 s[10:11], v13, v27
	s_or_b64 s[12:13], s[14:15], s[12:13]
	s_and_b64 s[10:11], s[10:11], s[12:13]
	v_cndmask_b32_e64 v13, v14, v13, s[10:11]
	; wave barrier
	ds_write2_b64 v63, v[1:2], v[5:6] offset1:1
	ds_write_b64 v63, v[3:4] offset:16
	v_lshlrev_b32_e32 v1, 3, v71
	v_lshlrev_b32_e32 v3, 3, v73
	;; [unrolled: 1-line block ×3, first 2 shown]
	s_waitcnt lgkmcnt(0)
	; wave barrier
	ds_read_b64 v[1:2], v1
	ds_read_b64 v[5:6], v3
	;; [unrolled: 1-line block ×3, first 2 shown]
	v_cndmask_b32_e64 v10, v16, v18, s[10:11]
	v_cndmask_b32_e64 v9, v15, v17, s[10:11]
	s_waitcnt lgkmcnt(0)
	; wave barrier
	ds_write2_b64 v63, v[7:8], v[11:12] offset1:1
	ds_write_b64 v63, v[9:10] offset:16
	v_mov_b32_e32 v11, v54
	s_waitcnt lgkmcnt(0)
	; wave barrier
	s_and_saveexec_b64 s[12:13], s[6:7]
	s_cbranch_execz .LBB125_54
; %bb.51:                               ;   in Loop: Header=BB125_2 Depth=1
	s_mov_b64 s[14:15], 0
	v_mov_b32_e32 v11, v54
	v_mov_b32_e32 v7, v55
.LBB125_52:                             ;   Parent Loop BB125_2 Depth=1
                                        ; =>  This Inner Loop Header: Depth=2
	v_sub_u32_e32 v8, v7, v11
	v_lshrrev_b32_e32 v8, 1, v8
	v_add_u32_e32 v10, v8, v11
	v_not_b32_e32 v9, v10
	v_lshl_add_u32 v8, v10, 3, v68
	v_lshl_add_u32 v12, v9, 3, v56
	ds_read_b64 v[8:9], v8
	ds_read_b64 v[12:13], v12 offset:384
	v_add_u32_e32 v14, 1, v10
	s_waitcnt lgkmcnt(0)
	v_cmp_lt_i64_e64 s[10:11], v[12:13], v[8:9]
	v_cndmask_b32_e64 v7, v7, v10, s[10:11]
	v_cndmask_b32_e64 v11, v14, v11, s[10:11]
	v_cmp_ge_i32_e64 s[10:11], v11, v7
	s_or_b64 s[14:15], s[10:11], s[14:15]
	s_andn2_b64 exec, exec, s[14:15]
	s_cbranch_execnz .LBB125_52
; %bb.53:                               ;   in Loop: Header=BB125_2 Depth=1
	s_or_b64 exec, exec, s[14:15]
.LBB125_54:                             ;   in Loop: Header=BB125_2 Depth=1
	s_or_b64 exec, exec, s[12:13]
	v_lshl_add_u32 v13, v11, 3, v68
	v_sub_u32_e32 v7, v57, v11
	v_lshlrev_b32_e32 v15, 3, v7
	ds_read_b64 v[7:8], v13
	ds_read_b64 v[9:10], v15 offset:384
	v_add_u32_e32 v71, v11, v53
	v_sub_u32_e32 v72, v58, v11
	v_cmp_le_i32_e64 s[14:15], v30, v71
	v_cmp_gt_i32_e64 s[10:11], v29, v72
	s_waitcnt lgkmcnt(0)
	v_cmp_lt_i64_e64 s[12:13], v[9:10], v[7:8]
                                        ; implicit-def: $vgpr11_vgpr12
	s_or_b64 s[12:13], s[14:15], s[12:13]
	s_and_b64 s[10:11], s[10:11], s[12:13]
	s_xor_b64 s[12:13], s[10:11], -1
	s_and_saveexec_b64 s[14:15], s[12:13]
	s_xor_b64 s[12:13], exec, s[14:15]
; %bb.55:                               ;   in Loop: Header=BB125_2 Depth=1
	ds_read_b64 v[11:12], v13 offset:8
                                        ; implicit-def: $vgpr15
; %bb.56:                               ;   in Loop: Header=BB125_2 Depth=1
	s_or_saveexec_b64 s[12:13], s[12:13]
	v_mov_b32_e32 v14, v10
	v_mov_b32_e32 v13, v9
	s_xor_b64 exec, exec, s[12:13]
	s_cbranch_execz .LBB125_58
; %bb.57:                               ;   in Loop: Header=BB125_2 Depth=1
	ds_read_b64 v[13:14], v15 offset:392
	s_waitcnt lgkmcnt(1)
	v_mov_b32_e32 v12, v8
	v_mov_b32_e32 v11, v7
.LBB125_58:                             ;   in Loop: Header=BB125_2 Depth=1
	s_or_b64 exec, exec, s[12:13]
	v_add_u32_e32 v16, 1, v71
	v_add_u32_e32 v15, 1, v72
	v_cndmask_b32_e64 v74, v16, v71, s[10:11]
	s_waitcnt lgkmcnt(0)
	v_cmp_lt_i64_e64 s[14:15], v[13:14], v[11:12]
	v_cndmask_b32_e64 v73, v72, v15, s[10:11]
	v_cmp_ge_i32_e64 s[16:17], v74, v30
	v_cmp_lt_i32_e64 s[12:13], v73, v29
	s_or_b64 s[14:15], s[16:17], s[14:15]
	s_and_b64 s[12:13], s[12:13], s[14:15]
	s_xor_b64 s[14:15], s[12:13], -1
                                        ; implicit-def: $vgpr15_vgpr16
	s_and_saveexec_b64 s[16:17], s[14:15]
	s_xor_b64 s[14:15], exec, s[16:17]
; %bb.59:                               ;   in Loop: Header=BB125_2 Depth=1
	v_lshlrev_b32_e32 v15, 3, v74
	ds_read_b64 v[15:16], v15 offset:8
; %bb.60:                               ;   in Loop: Header=BB125_2 Depth=1
	s_or_saveexec_b64 s[14:15], s[14:15]
	v_mov_b32_e32 v18, v14
	v_mov_b32_e32 v17, v13
	s_xor_b64 exec, exec, s[14:15]
	s_cbranch_execz .LBB125_62
; %bb.61:                               ;   in Loop: Header=BB125_2 Depth=1
	s_waitcnt lgkmcnt(0)
	v_lshlrev_b32_e32 v15, 3, v73
	ds_read_b64 v[17:18], v15 offset:8
	v_mov_b32_e32 v16, v12
	v_mov_b32_e32 v15, v11
.LBB125_62:                             ;   in Loop: Header=BB125_2 Depth=1
	s_or_b64 exec, exec, s[14:15]
	v_cndmask_b32_e64 v12, v12, v14, s[12:13]
	v_cndmask_b32_e64 v11, v11, v13, s[12:13]
	v_add_u32_e32 v13, 1, v73
	v_add_u32_e32 v14, 1, v74
	v_cndmask_b32_e64 v13, v73, v13, s[12:13]
	v_cndmask_b32_e64 v14, v14, v74, s[12:13]
	;; [unrolled: 1-line block ×3, first 2 shown]
	s_waitcnt lgkmcnt(0)
	v_cmp_lt_i64_e64 s[12:13], v[17:18], v[15:16]
	v_cmp_ge_i32_e64 s[14:15], v14, v30
	v_cndmask_b32_e64 v8, v8, v10, s[10:11]
	v_cndmask_b32_e64 v7, v7, v9, s[10:11]
	;; [unrolled: 1-line block ×3, first 2 shown]
	v_cmp_lt_i32_e64 s[10:11], v13, v29
	s_or_b64 s[12:13], s[14:15], s[12:13]
	s_and_b64 s[10:11], s[10:11], s[12:13]
	v_cndmask_b32_e64 v13, v14, v13, s[10:11]
	; wave barrier
	ds_write2_b64 v63, v[1:2], v[5:6] offset1:1
	ds_write_b64 v63, v[3:4] offset:16
	v_lshlrev_b32_e32 v1, 3, v71
	v_lshlrev_b32_e32 v3, 3, v73
	;; [unrolled: 1-line block ×3, first 2 shown]
	s_waitcnt lgkmcnt(0)
	; wave barrier
	ds_read_b64 v[1:2], v1
	ds_read_b64 v[5:6], v3
	;; [unrolled: 1-line block ×3, first 2 shown]
	v_mov_b32_e32 v71, v61
	v_cndmask_b32_e64 v10, v16, v18, s[10:11]
	v_cndmask_b32_e64 v9, v15, v17, s[10:11]
	s_waitcnt lgkmcnt(0)
	; wave barrier
	ds_write2_b64 v63, v[7:8], v[11:12] offset1:1
	ds_write_b64 v63, v[9:10] offset:16
	s_waitcnt lgkmcnt(0)
	; wave barrier
	s_and_saveexec_b64 s[12:13], s[8:9]
	s_cbranch_execz .LBB125_66
; %bb.63:                               ;   in Loop: Header=BB125_2 Depth=1
	s_mov_b64 s[14:15], 0
	v_mov_b32_e32 v71, v61
	v_mov_b32_e32 v7, v62
.LBB125_64:                             ;   Parent Loop BB125_2 Depth=1
                                        ; =>  This Inner Loop Header: Depth=2
	v_sub_u32_e32 v8, v7, v71
	v_lshrrev_b32_e32 v8, 1, v8
	v_add_u32_e32 v12, v8, v71
	v_not_b32_e32 v9, v12
	v_lshlrev_b32_e32 v8, 3, v12
	v_lshl_add_u32 v10, v9, 3, v70
	ds_read_b64 v[8:9], v8
	ds_read_b64 v[10:11], v10 offset:768
	v_add_u32_e32 v13, 1, v12
	s_waitcnt lgkmcnt(0)
	v_cmp_lt_i64_e64 s[10:11], v[10:11], v[8:9]
	v_cndmask_b32_e64 v7, v7, v12, s[10:11]
	v_cndmask_b32_e64 v71, v13, v71, s[10:11]
	v_cmp_ge_i32_e64 s[10:11], v71, v7
	s_or_b64 s[14:15], s[10:11], s[14:15]
	s_andn2_b64 exec, exec, s[14:15]
	s_cbranch_execnz .LBB125_64
; %bb.65:                               ;   in Loop: Header=BB125_2 Depth=1
	s_or_b64 exec, exec, s[14:15]
.LBB125_66:                             ;   in Loop: Header=BB125_2 Depth=1
	s_or_b64 exec, exec, s[12:13]
	v_lshlrev_b32_e32 v11, 3, v71
	v_sub_u32_e32 v7, v60, v71
	v_lshlrev_b32_e32 v15, 3, v7
	ds_read_b64 v[7:8], v11
	ds_read_b64 v[13:14], v15 offset:768
	v_sub_u32_e32 v72, v69, v71
	v_cmp_le_i32_e64 s[14:15], v59, v71
	v_cmp_gt_i32_e64 s[10:11], s24, v72
                                        ; implicit-def: $vgpr9_vgpr10
	s_waitcnt lgkmcnt(0)
	v_cmp_lt_i64_e64 s[12:13], v[13:14], v[7:8]
	s_or_b64 s[12:13], s[14:15], s[12:13]
	s_and_b64 s[10:11], s[10:11], s[12:13]
	s_xor_b64 s[12:13], s[10:11], -1
	s_and_saveexec_b64 s[14:15], s[12:13]
	s_xor_b64 s[12:13], exec, s[14:15]
; %bb.67:                               ;   in Loop: Header=BB125_2 Depth=1
	ds_read_b64 v[9:10], v11 offset:8
                                        ; implicit-def: $vgpr15
; %bb.68:                               ;   in Loop: Header=BB125_2 Depth=1
	s_or_saveexec_b64 s[12:13], s[12:13]
	v_mov_b32_e32 v11, v13
	v_mov_b32_e32 v12, v14
	s_xor_b64 exec, exec, s[12:13]
	s_cbranch_execz .LBB125_70
; %bb.69:                               ;   in Loop: Header=BB125_2 Depth=1
	ds_read_b64 v[11:12], v15 offset:776
	s_waitcnt lgkmcnt(1)
	v_mov_b32_e32 v10, v8
	v_mov_b32_e32 v9, v7
.LBB125_70:                             ;   in Loop: Header=BB125_2 Depth=1
	s_or_b64 exec, exec, s[12:13]
	v_add_u32_e32 v16, 1, v71
	v_add_u32_e32 v15, 1, v72
	v_cndmask_b32_e64 v76, v16, v71, s[10:11]
	s_waitcnt lgkmcnt(0)
	v_cmp_lt_i64_e64 s[14:15], v[11:12], v[9:10]
	v_cndmask_b32_e64 v73, v72, v15, s[10:11]
	v_cmp_ge_i32_e64 s[16:17], v76, v59
	v_cmp_gt_i32_e64 s[12:13], s24, v73
	s_or_b64 s[14:15], s[16:17], s[14:15]
	s_and_b64 s[12:13], s[12:13], s[14:15]
	s_xor_b64 s[14:15], s[12:13], -1
                                        ; implicit-def: $vgpr15_vgpr16
                                        ; implicit-def: $vgpr75
	s_and_saveexec_b64 s[16:17], s[14:15]
	s_xor_b64 s[14:15], exec, s[16:17]
; %bb.71:                               ;   in Loop: Header=BB125_2 Depth=1
	v_lshlrev_b32_e32 v15, 3, v76
	ds_read_b64 v[15:16], v15 offset:8
	v_add_u32_e32 v75, 1, v76
; %bb.72:                               ;   in Loop: Header=BB125_2 Depth=1
	s_or_saveexec_b64 s[14:15], s[14:15]
	v_mov_b32_e32 v18, v12
	v_mov_b32_e32 v74, v76
	;; [unrolled: 1-line block ×3, first 2 shown]
	s_xor_b64 exec, exec, s[14:15]
	s_cbranch_execz .LBB125_1
; %bb.73:                               ;   in Loop: Header=BB125_2 Depth=1
	s_waitcnt lgkmcnt(0)
	v_lshlrev_b32_e32 v16, 3, v73
	ds_read_b64 v[17:18], v16 offset:8
	v_add_u32_e32 v15, 1, v73
	v_mov_b32_e32 v74, v73
	v_mov_b32_e32 v73, v15
	;; [unrolled: 1-line block ×5, first 2 shown]
	s_branch .LBB125_1
.LBB125_74:
	s_waitcnt lgkmcnt(2)
	v_add_co_u32_e32 v5, vcc, v7, v5
	v_addc_co_u32_e32 v6, vcc, v8, v6, vcc
	s_waitcnt lgkmcnt(1)
	v_add_co_u32_e32 v3, vcc, v11, v3
	v_addc_co_u32_e32 v4, vcc, v12, v4, vcc
	s_add_u32 s0, s26, s28
	s_waitcnt lgkmcnt(0)
	v_add_co_u32_e32 v1, vcc, v9, v1
	s_addc_u32 s1, s27, s29
	v_lshlrev_b32_e32 v0, 3, v0
	v_addc_co_u32_e32 v2, vcc, v10, v2, vcc
	global_store_dwordx2 v0, v[5:6], s[0:1]
	global_store_dwordx2 v0, v[3:4], s[0:1] offset:512
	global_store_dwordx2 v0, v[1:2], s[0:1] offset:1024
	s_endpgm
	.section	.rodata,"a",@progbits
	.p2align	6, 0x0
	.amdhsa_kernel _Z17sort_pairs_kernelIxLj64ELj3EN10test_utils4lessELj10EEvPKT_PS2_T2_
		.amdhsa_group_segment_fixed_size 1544
		.amdhsa_private_segment_fixed_size 0
		.amdhsa_kernarg_size 20
		.amdhsa_user_sgpr_count 6
		.amdhsa_user_sgpr_private_segment_buffer 1
		.amdhsa_user_sgpr_dispatch_ptr 0
		.amdhsa_user_sgpr_queue_ptr 0
		.amdhsa_user_sgpr_kernarg_segment_ptr 1
		.amdhsa_user_sgpr_dispatch_id 0
		.amdhsa_user_sgpr_flat_scratch_init 0
		.amdhsa_user_sgpr_private_segment_size 0
		.amdhsa_uses_dynamic_stack 0
		.amdhsa_system_sgpr_private_segment_wavefront_offset 0
		.amdhsa_system_sgpr_workgroup_id_x 1
		.amdhsa_system_sgpr_workgroup_id_y 0
		.amdhsa_system_sgpr_workgroup_id_z 0
		.amdhsa_system_sgpr_workgroup_info 0
		.amdhsa_system_vgpr_workitem_id 0
		.amdhsa_next_free_vgpr 77
		.amdhsa_next_free_sgpr 32
		.amdhsa_reserve_vcc 1
		.amdhsa_reserve_flat_scratch 0
		.amdhsa_float_round_mode_32 0
		.amdhsa_float_round_mode_16_64 0
		.amdhsa_float_denorm_mode_32 3
		.amdhsa_float_denorm_mode_16_64 3
		.amdhsa_dx10_clamp 1
		.amdhsa_ieee_mode 1
		.amdhsa_fp16_overflow 0
		.amdhsa_exception_fp_ieee_invalid_op 0
		.amdhsa_exception_fp_denorm_src 0
		.amdhsa_exception_fp_ieee_div_zero 0
		.amdhsa_exception_fp_ieee_overflow 0
		.amdhsa_exception_fp_ieee_underflow 0
		.amdhsa_exception_fp_ieee_inexact 0
		.amdhsa_exception_int_div_zero 0
	.end_amdhsa_kernel
	.section	.text._Z17sort_pairs_kernelIxLj64ELj3EN10test_utils4lessELj10EEvPKT_PS2_T2_,"axG",@progbits,_Z17sort_pairs_kernelIxLj64ELj3EN10test_utils4lessELj10EEvPKT_PS2_T2_,comdat
.Lfunc_end125:
	.size	_Z17sort_pairs_kernelIxLj64ELj3EN10test_utils4lessELj10EEvPKT_PS2_T2_, .Lfunc_end125-_Z17sort_pairs_kernelIxLj64ELj3EN10test_utils4lessELj10EEvPKT_PS2_T2_
                                        ; -- End function
	.set _Z17sort_pairs_kernelIxLj64ELj3EN10test_utils4lessELj10EEvPKT_PS2_T2_.num_vgpr, 77
	.set _Z17sort_pairs_kernelIxLj64ELj3EN10test_utils4lessELj10EEvPKT_PS2_T2_.num_agpr, 0
	.set _Z17sort_pairs_kernelIxLj64ELj3EN10test_utils4lessELj10EEvPKT_PS2_T2_.numbered_sgpr, 32
	.set _Z17sort_pairs_kernelIxLj64ELj3EN10test_utils4lessELj10EEvPKT_PS2_T2_.num_named_barrier, 0
	.set _Z17sort_pairs_kernelIxLj64ELj3EN10test_utils4lessELj10EEvPKT_PS2_T2_.private_seg_size, 0
	.set _Z17sort_pairs_kernelIxLj64ELj3EN10test_utils4lessELj10EEvPKT_PS2_T2_.uses_vcc, 1
	.set _Z17sort_pairs_kernelIxLj64ELj3EN10test_utils4lessELj10EEvPKT_PS2_T2_.uses_flat_scratch, 0
	.set _Z17sort_pairs_kernelIxLj64ELj3EN10test_utils4lessELj10EEvPKT_PS2_T2_.has_dyn_sized_stack, 0
	.set _Z17sort_pairs_kernelIxLj64ELj3EN10test_utils4lessELj10EEvPKT_PS2_T2_.has_recursion, 0
	.set _Z17sort_pairs_kernelIxLj64ELj3EN10test_utils4lessELj10EEvPKT_PS2_T2_.has_indirect_call, 0
	.section	.AMDGPU.csdata,"",@progbits
; Kernel info:
; codeLenInByte = 4796
; TotalNumSgprs: 36
; NumVgprs: 77
; ScratchSize: 0
; MemoryBound: 0
; FloatMode: 240
; IeeeMode: 1
; LDSByteSize: 1544 bytes/workgroup (compile time only)
; SGPRBlocks: 4
; VGPRBlocks: 19
; NumSGPRsForWavesPerEU: 36
; NumVGPRsForWavesPerEU: 77
; Occupancy: 3
; WaveLimiterHint : 1
; COMPUTE_PGM_RSRC2:SCRATCH_EN: 0
; COMPUTE_PGM_RSRC2:USER_SGPR: 6
; COMPUTE_PGM_RSRC2:TRAP_HANDLER: 0
; COMPUTE_PGM_RSRC2:TGID_X_EN: 1
; COMPUTE_PGM_RSRC2:TGID_Y_EN: 0
; COMPUTE_PGM_RSRC2:TGID_Z_EN: 0
; COMPUTE_PGM_RSRC2:TIDIG_COMP_CNT: 0
	.section	.text._Z16sort_keys_kernelIxLj64ELj4EN10test_utils4lessELj10EEvPKT_PS2_T2_,"axG",@progbits,_Z16sort_keys_kernelIxLj64ELj4EN10test_utils4lessELj10EEvPKT_PS2_T2_,comdat
	.protected	_Z16sort_keys_kernelIxLj64ELj4EN10test_utils4lessELj10EEvPKT_PS2_T2_ ; -- Begin function _Z16sort_keys_kernelIxLj64ELj4EN10test_utils4lessELj10EEvPKT_PS2_T2_
	.globl	_Z16sort_keys_kernelIxLj64ELj4EN10test_utils4lessELj10EEvPKT_PS2_T2_
	.p2align	8
	.type	_Z16sort_keys_kernelIxLj64ELj4EN10test_utils4lessELj10EEvPKT_PS2_T2_,@function
_Z16sort_keys_kernelIxLj64ELj4EN10test_utils4lessELj10EEvPKT_PS2_T2_: ; @_Z16sort_keys_kernelIxLj64ELj4EN10test_utils4lessELj10EEvPKT_PS2_T2_
; %bb.0:
	s_load_dwordx4 s[20:23], s[4:5], 0x0
	s_lshl_b32 s24, s6, 8
	s_mov_b32 s25, 0
	s_lshl_b64 s[26:27], s[24:25], 3
	v_lshlrev_b32_e32 v11, 3, v0
	s_waitcnt lgkmcnt(0)
	s_add_u32 s0, s20, s26
	s_addc_u32 s1, s21, s27
	global_load_dwordx2 v[3:4], v11, s[0:1]
	global_load_dwordx2 v[5:6], v11, s[0:1] offset:512
	global_load_dwordx2 v[1:2], v11, s[0:1] offset:1024
	;; [unrolled: 1-line block ×3, first 2 shown]
	v_lshlrev_b32_e32 v9, 2, v0
	v_and_b32_e32 v17, 0xf8, v9
	v_or_b32_e32 v18, 4, v17
	v_add_u32_e32 v19, 8, v17
	v_and_b32_e32 v20, 0xf0, v9
	v_and_b32_e32 v23, 0xe0, v9
	;; [unrolled: 1-line block ×3, first 2 shown]
	v_sub_u32_e32 v11, v19, v18
	v_or_b32_e32 v21, 8, v20
	v_or_b32_e32 v24, 16, v23
	v_add_u32_e32 v25, 32, v23
	v_and_b32_e32 v26, 0xc0, v9
	v_mov_b32_e32 v42, 0x80
	v_sub_u32_e32 v12, v10, v11
	v_and_b32_e32 v13, 12, v9
	v_and_b32_e32 v16, 28, v9
	v_sub_u32_e32 v36, v25, v24
	v_and_b32_e32 v53, 60, v9
	v_or_b32_e32 v27, 32, v26
	v_add_u32_e32 v28, 64, v26
	v_and_b32_e32 v29, 0x80, v9
	v_and_b32_e32 v55, 0x7c, v9
	v_cmp_ge_i32_e32 vcc, v10, v11
	v_sub_u32_e32 v11, v21, v20
	v_sub_u32_e64 v43, v9, v42 clamp
	v_min_i32_e32 v44, 0x80, v9
	v_add_u32_e32 v45, 0x80, v9
	v_lshlrev_b32_e32 v9, 3, v10
	v_add_u32_e32 v22, 16, v20
	v_sub_u32_e32 v37, v16, v36
	v_sub_u32_e32 v38, v28, v27
	v_or_b32_e32 v30, 64, v29
	v_add_u32_e32 v31, 0x80, v29
	v_min_i32_e32 v35, v13, v11
	v_cmp_ge_i32_e64 s[2:3], v16, v36
	v_sub_u32_e32 v11, v24, v23
	v_lshl_add_u32 v47, v18, 3, v9
	v_lshlrev_b32_e32 v9, 3, v13
	v_sub_u32_e32 v14, v22, v21
	v_sub_u32_e32 v39, v53, v38
	;; [unrolled: 1-line block ×3, first 2 shown]
	v_cndmask_b32_e64 v36, 0, v37, s[2:3]
	v_min_i32_e32 v37, v16, v11
	v_cmp_ge_i32_e64 s[4:5], v53, v38
	v_sub_u32_e32 v11, v27, v26
	v_lshl_add_u32 v49, v21, 3, v9
	v_lshlrev_b32_e32 v9, 3, v16
	v_sub_u32_e32 v15, v13, v14
	v_sub_u32_e32 v41, v55, v40
	;; [unrolled: 1-line block ×3, first 2 shown]
	v_cmp_ge_i32_e64 s[0:1], v13, v14
	v_cndmask_b32_e64 v38, 0, v39, s[4:5]
	v_min_i32_e32 v39, v53, v11
	v_cmp_ge_i32_e64 s[6:7], v55, v40
	v_sub_u32_e32 v11, v30, v29
	v_lshl_add_u32 v51, v24, 3, v9
	v_lshlrev_b32_e32 v9, 3, v53
	v_cndmask_b32_e32 v32, 0, v12, vcc
	v_min_i32_e32 v33, v10, v33
	v_cndmask_b32_e64 v34, 0, v15, s[0:1]
	v_cndmask_b32_e64 v40, 0, v41, s[6:7]
	v_min_i32_e32 v41, v55, v11
	v_add_u32_e32 v52, v27, v53
	v_lshl_add_u32 v53, v27, 3, v9
	v_lshlrev_b32_e32 v9, 3, v55
	v_lshlrev_b32_e32 v56, 5, v0
	v_cmp_lt_i32_e32 vcc, v32, v33
	v_cmp_lt_i32_e64 s[0:1], v34, v35
	v_cmp_lt_i32_e64 s[2:3], v36, v37
	;; [unrolled: 1-line block ×5, first 2 shown]
	v_add_u32_e32 v46, v18, v10
	v_add_u32_e32 v48, v21, v13
	;; [unrolled: 1-line block ×4, first 2 shown]
	v_lshl_add_u32 v55, v30, 3, v9
	s_movk_i32 s20, 0x100
	v_lshlrev_b32_e32 v57, 3, v17
	v_lshlrev_b32_e32 v58, 3, v20
	;; [unrolled: 1-line block ×5, first 2 shown]
	v_add_u32_e32 v62, 0x400, v56
	s_branch .LBB126_2
.LBB126_1:                              ;   in Loop: Header=BB126_2 Depth=1
	s_or_b64 exec, exec, s[16:17]
	v_cndmask_b32_e64 v6, v6, v8, s[12:13]
	v_cndmask_b32_e64 v5, v5, v7, s[12:13]
	s_waitcnt lgkmcnt(0)
	v_cmp_lt_i64_e64 s[12:13], v[15:16], v[13:14]
	v_cndmask_b32_e64 v4, v2, v4, s[10:11]
	v_cndmask_b32_e64 v3, v1, v3, s[10:11]
	;; [unrolled: 1-line block ×4, first 2 shown]
	v_cmp_ge_i32_e64 s[14:15], v64, v42
	v_cmp_gt_i32_e64 s[10:11], s20, v63
	s_or_b64 s[12:13], s[14:15], s[12:13]
	s_and_b64 s[10:11], s[10:11], s[12:13]
	s_add_i32 s25, s25, 1
	v_cndmask_b32_e64 v8, v14, v16, s[10:11]
	s_cmp_eq_u32 s25, 10
	v_cndmask_b32_e64 v7, v13, v15, s[10:11]
	s_cbranch_scc1 .LBB126_98
.LBB126_2:                              ; =>This Loop Header: Depth=1
                                        ;     Child Loop BB126_4 Depth 2
                                        ;     Child Loop BB126_20 Depth 2
	;; [unrolled: 1-line block ×6, first 2 shown]
	s_waitcnt vmcnt(2)
	v_cmp_lt_i64_e64 s[10:11], v[5:6], v[3:4]
	v_cmp_gt_i64_e64 s[12:13], v[5:6], v[3:4]
	v_cndmask_b32_e64 v10, v4, v6, s[10:11]
	v_cndmask_b32_e64 v9, v3, v5, s[10:11]
	;; [unrolled: 1-line block ×4, first 2 shown]
	s_waitcnt vmcnt(0)
	v_cmp_lt_i64_e64 s[10:11], v[7:8], v[1:2]
	v_cndmask_b32_e64 v4, v4, v6, s[12:13]
	v_cndmask_b32_e64 v3, v3, v5, s[12:13]
	v_cmp_gt_i64_e64 s[12:13], v[7:8], v[1:2]
	v_cndmask_b32_e64 v6, v2, v8, s[10:11]
	v_cndmask_b32_e64 v5, v1, v7, s[10:11]
	;; [unrolled: 1-line block ×5, first 2 shown]
	v_cmp_lt_i64_e64 s[10:11], v[5:6], v[3:4]
	v_cndmask_b32_e64 v1, v1, v7, s[12:13]
	v_cmp_gt_i64_e64 s[12:13], v[5:6], v[3:4]
	v_cndmask_b32_e64 v15, v6, v4, s[10:11]
	v_cndmask_b32_e64 v16, v5, v3, s[10:11]
	;; [unrolled: 1-line block ×7, first 2 shown]
	v_cmp_lt_i64_e64 s[12:13], v[5:6], v[9:10]
	v_cndmask_b32_e64 v64, v4, v6, s[10:11]
	v_cmp_gt_i64_e64 s[10:11], v[3:4], v[1:2]
	v_cndmask_b32_e64 v6, v10, v64, s[12:13]
	v_cndmask_b32_e64 v5, v9, v63, s[12:13]
	;; [unrolled: 1-line block ×8, first 2 shown]
	v_cmp_lt_i64_e64 s[12:13], v[9:10], v[7:8]
	v_cndmask_b32_e64 v3, v13, v11, s[10:11]
	v_cndmask_b32_e64 v13, v16, v1, s[10:11]
	;; [unrolled: 1-line block ×8, first 2 shown]
	; wave barrier
	ds_write2_b64 v56, v[5:6], v[7:8] offset1:1
	ds_write2_b64 v56, v[1:2], v[3:4] offset0:2 offset1:3
	v_mov_b32_e32 v5, v32
	s_waitcnt lgkmcnt(0)
	; wave barrier
	s_and_saveexec_b64 s[12:13], vcc
	s_cbranch_execz .LBB126_6
; %bb.3:                                ;   in Loop: Header=BB126_2 Depth=1
	s_mov_b64 s[14:15], 0
	v_mov_b32_e32 v5, v32
	v_mov_b32_e32 v1, v33
.LBB126_4:                              ;   Parent Loop BB126_2 Depth=1
                                        ; =>  This Inner Loop Header: Depth=2
	v_sub_u32_e32 v2, v1, v5
	v_lshrrev_b32_e32 v2, 1, v2
	v_add_u32_e32 v4, v2, v5
	v_not_b32_e32 v3, v4
	v_lshl_add_u32 v2, v4, 3, v57
	v_lshl_add_u32 v6, v3, 3, v47
	ds_read_b64 v[2:3], v2
	ds_read_b64 v[6:7], v6
	v_add_u32_e32 v8, 1, v4
	s_waitcnt lgkmcnt(0)
	v_cmp_lt_i64_e64 s[10:11], v[6:7], v[2:3]
	v_cndmask_b32_e64 v1, v1, v4, s[10:11]
	v_cndmask_b32_e64 v5, v8, v5, s[10:11]
	v_cmp_ge_i32_e64 s[10:11], v5, v1
	s_or_b64 s[14:15], s[10:11], s[14:15]
	s_andn2_b64 exec, exec, s[14:15]
	s_cbranch_execnz .LBB126_4
; %bb.5:                                ;   in Loop: Header=BB126_2 Depth=1
	s_or_b64 exec, exec, s[14:15]
.LBB126_6:                              ;   in Loop: Header=BB126_2 Depth=1
	s_or_b64 exec, exec, s[12:13]
	v_sub_u32_e32 v9, v46, v5
	v_lshl_add_u32 v7, v5, 3, v57
	v_lshlrev_b32_e32 v11, 3, v9
	ds_read_b64 v[1:2], v7
	ds_read_b64 v[3:4], v11
	v_add_u32_e32 v10, v5, v17
	v_cmp_le_i32_e64 s[14:15], v18, v10
	v_cmp_gt_i32_e64 s[10:11], v19, v9
                                        ; implicit-def: $vgpr5_vgpr6
	s_waitcnt lgkmcnt(0)
	v_cmp_lt_i64_e64 s[12:13], v[3:4], v[1:2]
	s_or_b64 s[12:13], s[14:15], s[12:13]
	s_and_b64 s[10:11], s[10:11], s[12:13]
	s_xor_b64 s[12:13], s[10:11], -1
	s_and_saveexec_b64 s[14:15], s[12:13]
	s_xor_b64 s[12:13], exec, s[14:15]
; %bb.7:                                ;   in Loop: Header=BB126_2 Depth=1
	ds_read_b64 v[5:6], v7 offset:8
                                        ; implicit-def: $vgpr11
; %bb.8:                                ;   in Loop: Header=BB126_2 Depth=1
	s_or_saveexec_b64 s[12:13], s[12:13]
	v_mov_b32_e32 v8, v4
	v_mov_b32_e32 v7, v3
	s_xor_b64 exec, exec, s[12:13]
	s_cbranch_execz .LBB126_10
; %bb.9:                                ;   in Loop: Header=BB126_2 Depth=1
	ds_read_b64 v[7:8], v11 offset:8
	s_waitcnt lgkmcnt(1)
	v_mov_b32_e32 v6, v2
	v_mov_b32_e32 v5, v1
.LBB126_10:                             ;   in Loop: Header=BB126_2 Depth=1
	s_or_b64 exec, exec, s[12:13]
	v_add_u32_e32 v12, 1, v10
	v_add_u32_e32 v11, 1, v9
	v_cndmask_b32_e64 v14, v12, v10, s[10:11]
	s_waitcnt lgkmcnt(0)
	v_cmp_lt_i64_e64 s[14:15], v[7:8], v[5:6]
	v_cndmask_b32_e64 v13, v9, v11, s[10:11]
	v_cmp_ge_i32_e64 s[16:17], v14, v18
	v_cmp_lt_i32_e64 s[12:13], v13, v19
	s_or_b64 s[14:15], s[16:17], s[14:15]
	s_and_b64 s[12:13], s[12:13], s[14:15]
	s_xor_b64 s[14:15], s[12:13], -1
                                        ; implicit-def: $vgpr9_vgpr10
	s_and_saveexec_b64 s[16:17], s[14:15]
	s_xor_b64 s[14:15], exec, s[16:17]
; %bb.11:                               ;   in Loop: Header=BB126_2 Depth=1
	v_lshlrev_b32_e32 v9, 3, v14
	ds_read_b64 v[9:10], v9 offset:8
; %bb.12:                               ;   in Loop: Header=BB126_2 Depth=1
	s_or_saveexec_b64 s[14:15], s[14:15]
	v_mov_b32_e32 v12, v8
	v_mov_b32_e32 v11, v7
	s_xor_b64 exec, exec, s[14:15]
	s_cbranch_execz .LBB126_14
; %bb.13:                               ;   in Loop: Header=BB126_2 Depth=1
	s_waitcnt lgkmcnt(0)
	v_lshlrev_b32_e32 v9, 3, v13
	ds_read_b64 v[11:12], v9 offset:8
	v_mov_b32_e32 v10, v6
	v_mov_b32_e32 v9, v5
.LBB126_14:                             ;   in Loop: Header=BB126_2 Depth=1
	s_or_b64 exec, exec, s[14:15]
	v_add_u32_e32 v16, 1, v14
	v_add_u32_e32 v15, 1, v13
	v_cndmask_b32_e64 v64, v16, v14, s[12:13]
	s_waitcnt lgkmcnt(0)
	v_cmp_lt_i64_e64 s[16:17], v[11:12], v[9:10]
	v_cndmask_b32_e64 v63, v13, v15, s[12:13]
	v_cmp_ge_i32_e64 s[18:19], v64, v18
	v_cmp_lt_i32_e64 s[14:15], v63, v19
	s_or_b64 s[16:17], s[18:19], s[16:17]
	s_and_b64 s[14:15], s[14:15], s[16:17]
	s_xor_b64 s[16:17], s[14:15], -1
                                        ; implicit-def: $vgpr13_vgpr14
	s_and_saveexec_b64 s[18:19], s[16:17]
	s_xor_b64 s[16:17], exec, s[18:19]
; %bb.15:                               ;   in Loop: Header=BB126_2 Depth=1
	v_lshlrev_b32_e32 v13, 3, v64
	ds_read_b64 v[13:14], v13 offset:8
; %bb.16:                               ;   in Loop: Header=BB126_2 Depth=1
	s_or_saveexec_b64 s[16:17], s[16:17]
	v_mov_b32_e32 v16, v12
	v_mov_b32_e32 v15, v11
	s_xor_b64 exec, exec, s[16:17]
	s_cbranch_execz .LBB126_18
; %bb.17:                               ;   in Loop: Header=BB126_2 Depth=1
	s_waitcnt lgkmcnt(0)
	v_lshlrev_b32_e32 v13, 3, v63
	ds_read_b64 v[15:16], v13 offset:8
	v_mov_b32_e32 v14, v10
	v_mov_b32_e32 v13, v9
.LBB126_18:                             ;   in Loop: Header=BB126_2 Depth=1
	s_or_b64 exec, exec, s[16:17]
	v_cndmask_b32_e64 v10, v10, v12, s[14:15]
	v_add_u32_e32 v12, 1, v64
	v_cndmask_b32_e64 v9, v9, v11, s[14:15]
	v_add_u32_e32 v11, 1, v63
	v_cndmask_b32_e64 v12, v12, v64, s[14:15]
	v_cndmask_b32_e64 v6, v6, v8, s[12:13]
	;; [unrolled: 1-line block ×3, first 2 shown]
	s_waitcnt lgkmcnt(0)
	v_cmp_lt_i64_e64 s[12:13], v[15:16], v[13:14]
	v_cndmask_b32_e64 v11, v63, v11, s[14:15]
	v_cmp_ge_i32_e64 s[14:15], v12, v18
	v_cndmask_b32_e64 v2, v2, v4, s[10:11]
	v_cndmask_b32_e64 v1, v1, v3, s[10:11]
	v_cmp_lt_i32_e64 s[10:11], v11, v19
	s_or_b64 s[12:13], s[14:15], s[12:13]
	s_and_b64 s[10:11], s[10:11], s[12:13]
	v_cndmask_b32_e64 v4, v14, v16, s[10:11]
	v_cndmask_b32_e64 v3, v13, v15, s[10:11]
	; wave barrier
	ds_write2_b64 v56, v[1:2], v[5:6] offset1:1
	ds_write2_b64 v56, v[9:10], v[3:4] offset0:2 offset1:3
	v_mov_b32_e32 v5, v34
	s_waitcnt lgkmcnt(0)
	; wave barrier
	s_and_saveexec_b64 s[12:13], s[0:1]
	s_cbranch_execz .LBB126_22
; %bb.19:                               ;   in Loop: Header=BB126_2 Depth=1
	s_mov_b64 s[14:15], 0
	v_mov_b32_e32 v5, v34
	v_mov_b32_e32 v1, v35
.LBB126_20:                             ;   Parent Loop BB126_2 Depth=1
                                        ; =>  This Inner Loop Header: Depth=2
	v_sub_u32_e32 v2, v1, v5
	v_lshrrev_b32_e32 v2, 1, v2
	v_add_u32_e32 v4, v2, v5
	v_not_b32_e32 v3, v4
	v_lshl_add_u32 v2, v4, 3, v58
	v_lshl_add_u32 v6, v3, 3, v49
	ds_read_b64 v[2:3], v2
	ds_read_b64 v[6:7], v6
	v_add_u32_e32 v8, 1, v4
	s_waitcnt lgkmcnt(0)
	v_cmp_lt_i64_e64 s[10:11], v[6:7], v[2:3]
	v_cndmask_b32_e64 v1, v1, v4, s[10:11]
	v_cndmask_b32_e64 v5, v8, v5, s[10:11]
	v_cmp_ge_i32_e64 s[10:11], v5, v1
	s_or_b64 s[14:15], s[10:11], s[14:15]
	s_andn2_b64 exec, exec, s[14:15]
	s_cbranch_execnz .LBB126_20
; %bb.21:                               ;   in Loop: Header=BB126_2 Depth=1
	s_or_b64 exec, exec, s[14:15]
.LBB126_22:                             ;   in Loop: Header=BB126_2 Depth=1
	s_or_b64 exec, exec, s[12:13]
	v_sub_u32_e32 v9, v48, v5
	v_lshl_add_u32 v7, v5, 3, v58
	v_lshlrev_b32_e32 v11, 3, v9
	ds_read_b64 v[1:2], v7
	ds_read_b64 v[3:4], v11
	v_add_u32_e32 v10, v5, v20
	v_cmp_le_i32_e64 s[14:15], v21, v10
	v_cmp_gt_i32_e64 s[10:11], v22, v9
                                        ; implicit-def: $vgpr5_vgpr6
	s_waitcnt lgkmcnt(0)
	v_cmp_lt_i64_e64 s[12:13], v[3:4], v[1:2]
	s_or_b64 s[12:13], s[14:15], s[12:13]
	s_and_b64 s[10:11], s[10:11], s[12:13]
	s_xor_b64 s[12:13], s[10:11], -1
	s_and_saveexec_b64 s[14:15], s[12:13]
	s_xor_b64 s[12:13], exec, s[14:15]
; %bb.23:                               ;   in Loop: Header=BB126_2 Depth=1
	ds_read_b64 v[5:6], v7 offset:8
                                        ; implicit-def: $vgpr11
; %bb.24:                               ;   in Loop: Header=BB126_2 Depth=1
	s_or_saveexec_b64 s[12:13], s[12:13]
	v_mov_b32_e32 v8, v4
	v_mov_b32_e32 v7, v3
	s_xor_b64 exec, exec, s[12:13]
	s_cbranch_execz .LBB126_26
; %bb.25:                               ;   in Loop: Header=BB126_2 Depth=1
	ds_read_b64 v[7:8], v11 offset:8
	s_waitcnt lgkmcnt(1)
	v_mov_b32_e32 v6, v2
	v_mov_b32_e32 v5, v1
.LBB126_26:                             ;   in Loop: Header=BB126_2 Depth=1
	s_or_b64 exec, exec, s[12:13]
	v_add_u32_e32 v12, 1, v10
	v_add_u32_e32 v11, 1, v9
	v_cndmask_b32_e64 v14, v12, v10, s[10:11]
	s_waitcnt lgkmcnt(0)
	v_cmp_lt_i64_e64 s[14:15], v[7:8], v[5:6]
	v_cndmask_b32_e64 v13, v9, v11, s[10:11]
	v_cmp_ge_i32_e64 s[16:17], v14, v21
	v_cmp_lt_i32_e64 s[12:13], v13, v22
	s_or_b64 s[14:15], s[16:17], s[14:15]
	s_and_b64 s[12:13], s[12:13], s[14:15]
	s_xor_b64 s[14:15], s[12:13], -1
                                        ; implicit-def: $vgpr9_vgpr10
	s_and_saveexec_b64 s[16:17], s[14:15]
	s_xor_b64 s[14:15], exec, s[16:17]
; %bb.27:                               ;   in Loop: Header=BB126_2 Depth=1
	v_lshlrev_b32_e32 v9, 3, v14
	ds_read_b64 v[9:10], v9 offset:8
; %bb.28:                               ;   in Loop: Header=BB126_2 Depth=1
	s_or_saveexec_b64 s[14:15], s[14:15]
	v_mov_b32_e32 v12, v8
	v_mov_b32_e32 v11, v7
	s_xor_b64 exec, exec, s[14:15]
	s_cbranch_execz .LBB126_30
; %bb.29:                               ;   in Loop: Header=BB126_2 Depth=1
	s_waitcnt lgkmcnt(0)
	v_lshlrev_b32_e32 v9, 3, v13
	ds_read_b64 v[11:12], v9 offset:8
	v_mov_b32_e32 v10, v6
	v_mov_b32_e32 v9, v5
.LBB126_30:                             ;   in Loop: Header=BB126_2 Depth=1
	s_or_b64 exec, exec, s[14:15]
	v_add_u32_e32 v16, 1, v14
	v_add_u32_e32 v15, 1, v13
	v_cndmask_b32_e64 v64, v16, v14, s[12:13]
	s_waitcnt lgkmcnt(0)
	v_cmp_lt_i64_e64 s[16:17], v[11:12], v[9:10]
	v_cndmask_b32_e64 v63, v13, v15, s[12:13]
	v_cmp_ge_i32_e64 s[18:19], v64, v21
	v_cmp_lt_i32_e64 s[14:15], v63, v22
	s_or_b64 s[16:17], s[18:19], s[16:17]
	s_and_b64 s[14:15], s[14:15], s[16:17]
	s_xor_b64 s[16:17], s[14:15], -1
                                        ; implicit-def: $vgpr13_vgpr14
	s_and_saveexec_b64 s[18:19], s[16:17]
	s_xor_b64 s[16:17], exec, s[18:19]
; %bb.31:                               ;   in Loop: Header=BB126_2 Depth=1
	v_lshlrev_b32_e32 v13, 3, v64
	ds_read_b64 v[13:14], v13 offset:8
; %bb.32:                               ;   in Loop: Header=BB126_2 Depth=1
	s_or_saveexec_b64 s[16:17], s[16:17]
	v_mov_b32_e32 v16, v12
	v_mov_b32_e32 v15, v11
	s_xor_b64 exec, exec, s[16:17]
	s_cbranch_execz .LBB126_34
; %bb.33:                               ;   in Loop: Header=BB126_2 Depth=1
	s_waitcnt lgkmcnt(0)
	v_lshlrev_b32_e32 v13, 3, v63
	ds_read_b64 v[15:16], v13 offset:8
	v_mov_b32_e32 v14, v10
	v_mov_b32_e32 v13, v9
.LBB126_34:                             ;   in Loop: Header=BB126_2 Depth=1
	s_or_b64 exec, exec, s[16:17]
	v_cndmask_b32_e64 v10, v10, v12, s[14:15]
	v_add_u32_e32 v12, 1, v64
	v_cndmask_b32_e64 v9, v9, v11, s[14:15]
	v_add_u32_e32 v11, 1, v63
	v_cndmask_b32_e64 v12, v12, v64, s[14:15]
	v_cndmask_b32_e64 v6, v6, v8, s[12:13]
	;; [unrolled: 1-line block ×3, first 2 shown]
	s_waitcnt lgkmcnt(0)
	v_cmp_lt_i64_e64 s[12:13], v[15:16], v[13:14]
	v_cndmask_b32_e64 v11, v63, v11, s[14:15]
	v_cmp_ge_i32_e64 s[14:15], v12, v21
	v_cndmask_b32_e64 v2, v2, v4, s[10:11]
	v_cndmask_b32_e64 v1, v1, v3, s[10:11]
	v_cmp_lt_i32_e64 s[10:11], v11, v22
	s_or_b64 s[12:13], s[14:15], s[12:13]
	s_and_b64 s[10:11], s[10:11], s[12:13]
	v_cndmask_b32_e64 v4, v14, v16, s[10:11]
	v_cndmask_b32_e64 v3, v13, v15, s[10:11]
	; wave barrier
	ds_write2_b64 v56, v[1:2], v[5:6] offset1:1
	ds_write2_b64 v56, v[9:10], v[3:4] offset0:2 offset1:3
	v_mov_b32_e32 v5, v36
	s_waitcnt lgkmcnt(0)
	; wave barrier
	s_and_saveexec_b64 s[12:13], s[2:3]
	s_cbranch_execz .LBB126_38
; %bb.35:                               ;   in Loop: Header=BB126_2 Depth=1
	s_mov_b64 s[14:15], 0
	v_mov_b32_e32 v5, v36
	v_mov_b32_e32 v1, v37
.LBB126_36:                             ;   Parent Loop BB126_2 Depth=1
                                        ; =>  This Inner Loop Header: Depth=2
	v_sub_u32_e32 v2, v1, v5
	v_lshrrev_b32_e32 v2, 1, v2
	v_add_u32_e32 v4, v2, v5
	v_not_b32_e32 v3, v4
	v_lshl_add_u32 v2, v4, 3, v59
	v_lshl_add_u32 v6, v3, 3, v51
	ds_read_b64 v[2:3], v2
	ds_read_b64 v[6:7], v6
	v_add_u32_e32 v8, 1, v4
	s_waitcnt lgkmcnt(0)
	v_cmp_lt_i64_e64 s[10:11], v[6:7], v[2:3]
	v_cndmask_b32_e64 v1, v1, v4, s[10:11]
	v_cndmask_b32_e64 v5, v8, v5, s[10:11]
	v_cmp_ge_i32_e64 s[10:11], v5, v1
	s_or_b64 s[14:15], s[10:11], s[14:15]
	s_andn2_b64 exec, exec, s[14:15]
	s_cbranch_execnz .LBB126_36
; %bb.37:                               ;   in Loop: Header=BB126_2 Depth=1
	s_or_b64 exec, exec, s[14:15]
.LBB126_38:                             ;   in Loop: Header=BB126_2 Depth=1
	s_or_b64 exec, exec, s[12:13]
	v_sub_u32_e32 v9, v50, v5
	v_lshl_add_u32 v7, v5, 3, v59
	v_lshlrev_b32_e32 v11, 3, v9
	ds_read_b64 v[1:2], v7
	ds_read_b64 v[3:4], v11
	v_add_u32_e32 v10, v5, v23
	v_cmp_le_i32_e64 s[14:15], v24, v10
	v_cmp_gt_i32_e64 s[10:11], v25, v9
                                        ; implicit-def: $vgpr5_vgpr6
	s_waitcnt lgkmcnt(0)
	v_cmp_lt_i64_e64 s[12:13], v[3:4], v[1:2]
	s_or_b64 s[12:13], s[14:15], s[12:13]
	s_and_b64 s[10:11], s[10:11], s[12:13]
	s_xor_b64 s[12:13], s[10:11], -1
	s_and_saveexec_b64 s[14:15], s[12:13]
	s_xor_b64 s[12:13], exec, s[14:15]
; %bb.39:                               ;   in Loop: Header=BB126_2 Depth=1
	ds_read_b64 v[5:6], v7 offset:8
                                        ; implicit-def: $vgpr11
; %bb.40:                               ;   in Loop: Header=BB126_2 Depth=1
	s_or_saveexec_b64 s[12:13], s[12:13]
	v_mov_b32_e32 v8, v4
	v_mov_b32_e32 v7, v3
	s_xor_b64 exec, exec, s[12:13]
	s_cbranch_execz .LBB126_42
; %bb.41:                               ;   in Loop: Header=BB126_2 Depth=1
	ds_read_b64 v[7:8], v11 offset:8
	s_waitcnt lgkmcnt(1)
	v_mov_b32_e32 v6, v2
	v_mov_b32_e32 v5, v1
.LBB126_42:                             ;   in Loop: Header=BB126_2 Depth=1
	s_or_b64 exec, exec, s[12:13]
	v_add_u32_e32 v12, 1, v10
	v_add_u32_e32 v11, 1, v9
	v_cndmask_b32_e64 v14, v12, v10, s[10:11]
	s_waitcnt lgkmcnt(0)
	v_cmp_lt_i64_e64 s[14:15], v[7:8], v[5:6]
	v_cndmask_b32_e64 v13, v9, v11, s[10:11]
	v_cmp_ge_i32_e64 s[16:17], v14, v24
	v_cmp_lt_i32_e64 s[12:13], v13, v25
	s_or_b64 s[14:15], s[16:17], s[14:15]
	s_and_b64 s[12:13], s[12:13], s[14:15]
	s_xor_b64 s[14:15], s[12:13], -1
                                        ; implicit-def: $vgpr9_vgpr10
	s_and_saveexec_b64 s[16:17], s[14:15]
	s_xor_b64 s[14:15], exec, s[16:17]
; %bb.43:                               ;   in Loop: Header=BB126_2 Depth=1
	v_lshlrev_b32_e32 v9, 3, v14
	ds_read_b64 v[9:10], v9 offset:8
; %bb.44:                               ;   in Loop: Header=BB126_2 Depth=1
	s_or_saveexec_b64 s[14:15], s[14:15]
	v_mov_b32_e32 v12, v8
	v_mov_b32_e32 v11, v7
	s_xor_b64 exec, exec, s[14:15]
	s_cbranch_execz .LBB126_46
; %bb.45:                               ;   in Loop: Header=BB126_2 Depth=1
	s_waitcnt lgkmcnt(0)
	v_lshlrev_b32_e32 v9, 3, v13
	ds_read_b64 v[11:12], v9 offset:8
	v_mov_b32_e32 v10, v6
	v_mov_b32_e32 v9, v5
.LBB126_46:                             ;   in Loop: Header=BB126_2 Depth=1
	s_or_b64 exec, exec, s[14:15]
	v_add_u32_e32 v16, 1, v14
	v_add_u32_e32 v15, 1, v13
	v_cndmask_b32_e64 v64, v16, v14, s[12:13]
	s_waitcnt lgkmcnt(0)
	v_cmp_lt_i64_e64 s[16:17], v[11:12], v[9:10]
	v_cndmask_b32_e64 v63, v13, v15, s[12:13]
	v_cmp_ge_i32_e64 s[18:19], v64, v24
	v_cmp_lt_i32_e64 s[14:15], v63, v25
	s_or_b64 s[16:17], s[18:19], s[16:17]
	s_and_b64 s[14:15], s[14:15], s[16:17]
	s_xor_b64 s[16:17], s[14:15], -1
                                        ; implicit-def: $vgpr13_vgpr14
	s_and_saveexec_b64 s[18:19], s[16:17]
	s_xor_b64 s[16:17], exec, s[18:19]
; %bb.47:                               ;   in Loop: Header=BB126_2 Depth=1
	v_lshlrev_b32_e32 v13, 3, v64
	ds_read_b64 v[13:14], v13 offset:8
; %bb.48:                               ;   in Loop: Header=BB126_2 Depth=1
	s_or_saveexec_b64 s[16:17], s[16:17]
	v_mov_b32_e32 v16, v12
	v_mov_b32_e32 v15, v11
	s_xor_b64 exec, exec, s[16:17]
	s_cbranch_execz .LBB126_50
; %bb.49:                               ;   in Loop: Header=BB126_2 Depth=1
	s_waitcnt lgkmcnt(0)
	v_lshlrev_b32_e32 v13, 3, v63
	ds_read_b64 v[15:16], v13 offset:8
	v_mov_b32_e32 v14, v10
	v_mov_b32_e32 v13, v9
.LBB126_50:                             ;   in Loop: Header=BB126_2 Depth=1
	s_or_b64 exec, exec, s[16:17]
	v_cndmask_b32_e64 v10, v10, v12, s[14:15]
	v_add_u32_e32 v12, 1, v64
	v_cndmask_b32_e64 v9, v9, v11, s[14:15]
	v_add_u32_e32 v11, 1, v63
	v_cndmask_b32_e64 v12, v12, v64, s[14:15]
	v_cndmask_b32_e64 v6, v6, v8, s[12:13]
	;; [unrolled: 1-line block ×3, first 2 shown]
	s_waitcnt lgkmcnt(0)
	v_cmp_lt_i64_e64 s[12:13], v[15:16], v[13:14]
	v_cndmask_b32_e64 v11, v63, v11, s[14:15]
	v_cmp_ge_i32_e64 s[14:15], v12, v24
	v_cndmask_b32_e64 v2, v2, v4, s[10:11]
	v_cndmask_b32_e64 v1, v1, v3, s[10:11]
	v_cmp_lt_i32_e64 s[10:11], v11, v25
	s_or_b64 s[12:13], s[14:15], s[12:13]
	s_and_b64 s[10:11], s[10:11], s[12:13]
	v_cndmask_b32_e64 v4, v14, v16, s[10:11]
	v_cndmask_b32_e64 v3, v13, v15, s[10:11]
	; wave barrier
	ds_write2_b64 v56, v[1:2], v[5:6] offset1:1
	ds_write2_b64 v56, v[9:10], v[3:4] offset0:2 offset1:3
	v_mov_b32_e32 v5, v38
	s_waitcnt lgkmcnt(0)
	; wave barrier
	s_and_saveexec_b64 s[12:13], s[4:5]
	s_cbranch_execz .LBB126_54
; %bb.51:                               ;   in Loop: Header=BB126_2 Depth=1
	s_mov_b64 s[14:15], 0
	v_mov_b32_e32 v5, v38
	v_mov_b32_e32 v1, v39
.LBB126_52:                             ;   Parent Loop BB126_2 Depth=1
                                        ; =>  This Inner Loop Header: Depth=2
	v_sub_u32_e32 v2, v1, v5
	v_lshrrev_b32_e32 v2, 1, v2
	v_add_u32_e32 v4, v2, v5
	v_not_b32_e32 v3, v4
	v_lshl_add_u32 v2, v4, 3, v60
	v_lshl_add_u32 v6, v3, 3, v53
	ds_read_b64 v[2:3], v2
	ds_read_b64 v[6:7], v6
	v_add_u32_e32 v8, 1, v4
	s_waitcnt lgkmcnt(0)
	v_cmp_lt_i64_e64 s[10:11], v[6:7], v[2:3]
	v_cndmask_b32_e64 v1, v1, v4, s[10:11]
	v_cndmask_b32_e64 v5, v8, v5, s[10:11]
	v_cmp_ge_i32_e64 s[10:11], v5, v1
	s_or_b64 s[14:15], s[10:11], s[14:15]
	s_andn2_b64 exec, exec, s[14:15]
	s_cbranch_execnz .LBB126_52
; %bb.53:                               ;   in Loop: Header=BB126_2 Depth=1
	s_or_b64 exec, exec, s[14:15]
.LBB126_54:                             ;   in Loop: Header=BB126_2 Depth=1
	s_or_b64 exec, exec, s[12:13]
	v_sub_u32_e32 v9, v52, v5
	v_lshl_add_u32 v7, v5, 3, v60
	v_lshlrev_b32_e32 v11, 3, v9
	ds_read_b64 v[1:2], v7
	ds_read_b64 v[3:4], v11
	v_add_u32_e32 v10, v5, v26
	v_cmp_le_i32_e64 s[14:15], v27, v10
	v_cmp_gt_i32_e64 s[10:11], v28, v9
                                        ; implicit-def: $vgpr5_vgpr6
	s_waitcnt lgkmcnt(0)
	v_cmp_lt_i64_e64 s[12:13], v[3:4], v[1:2]
	s_or_b64 s[12:13], s[14:15], s[12:13]
	s_and_b64 s[10:11], s[10:11], s[12:13]
	s_xor_b64 s[12:13], s[10:11], -1
	s_and_saveexec_b64 s[14:15], s[12:13]
	s_xor_b64 s[12:13], exec, s[14:15]
; %bb.55:                               ;   in Loop: Header=BB126_2 Depth=1
	ds_read_b64 v[5:6], v7 offset:8
                                        ; implicit-def: $vgpr11
; %bb.56:                               ;   in Loop: Header=BB126_2 Depth=1
	s_or_saveexec_b64 s[12:13], s[12:13]
	v_mov_b32_e32 v8, v4
	v_mov_b32_e32 v7, v3
	s_xor_b64 exec, exec, s[12:13]
	s_cbranch_execz .LBB126_58
; %bb.57:                               ;   in Loop: Header=BB126_2 Depth=1
	ds_read_b64 v[7:8], v11 offset:8
	s_waitcnt lgkmcnt(1)
	v_mov_b32_e32 v6, v2
	v_mov_b32_e32 v5, v1
.LBB126_58:                             ;   in Loop: Header=BB126_2 Depth=1
	s_or_b64 exec, exec, s[12:13]
	v_add_u32_e32 v12, 1, v10
	v_add_u32_e32 v11, 1, v9
	v_cndmask_b32_e64 v14, v12, v10, s[10:11]
	s_waitcnt lgkmcnt(0)
	v_cmp_lt_i64_e64 s[14:15], v[7:8], v[5:6]
	v_cndmask_b32_e64 v13, v9, v11, s[10:11]
	v_cmp_ge_i32_e64 s[16:17], v14, v27
	v_cmp_lt_i32_e64 s[12:13], v13, v28
	s_or_b64 s[14:15], s[16:17], s[14:15]
	s_and_b64 s[12:13], s[12:13], s[14:15]
	s_xor_b64 s[14:15], s[12:13], -1
                                        ; implicit-def: $vgpr9_vgpr10
	s_and_saveexec_b64 s[16:17], s[14:15]
	s_xor_b64 s[14:15], exec, s[16:17]
; %bb.59:                               ;   in Loop: Header=BB126_2 Depth=1
	v_lshlrev_b32_e32 v9, 3, v14
	ds_read_b64 v[9:10], v9 offset:8
; %bb.60:                               ;   in Loop: Header=BB126_2 Depth=1
	s_or_saveexec_b64 s[14:15], s[14:15]
	v_mov_b32_e32 v12, v8
	v_mov_b32_e32 v11, v7
	s_xor_b64 exec, exec, s[14:15]
	s_cbranch_execz .LBB126_62
; %bb.61:                               ;   in Loop: Header=BB126_2 Depth=1
	s_waitcnt lgkmcnt(0)
	v_lshlrev_b32_e32 v9, 3, v13
	ds_read_b64 v[11:12], v9 offset:8
	v_mov_b32_e32 v10, v6
	v_mov_b32_e32 v9, v5
.LBB126_62:                             ;   in Loop: Header=BB126_2 Depth=1
	s_or_b64 exec, exec, s[14:15]
	v_add_u32_e32 v16, 1, v14
	v_add_u32_e32 v15, 1, v13
	v_cndmask_b32_e64 v64, v16, v14, s[12:13]
	s_waitcnt lgkmcnt(0)
	v_cmp_lt_i64_e64 s[16:17], v[11:12], v[9:10]
	v_cndmask_b32_e64 v63, v13, v15, s[12:13]
	v_cmp_ge_i32_e64 s[18:19], v64, v27
	v_cmp_lt_i32_e64 s[14:15], v63, v28
	s_or_b64 s[16:17], s[18:19], s[16:17]
	s_and_b64 s[14:15], s[14:15], s[16:17]
	s_xor_b64 s[16:17], s[14:15], -1
                                        ; implicit-def: $vgpr13_vgpr14
	s_and_saveexec_b64 s[18:19], s[16:17]
	s_xor_b64 s[16:17], exec, s[18:19]
; %bb.63:                               ;   in Loop: Header=BB126_2 Depth=1
	v_lshlrev_b32_e32 v13, 3, v64
	ds_read_b64 v[13:14], v13 offset:8
; %bb.64:                               ;   in Loop: Header=BB126_2 Depth=1
	s_or_saveexec_b64 s[16:17], s[16:17]
	v_mov_b32_e32 v16, v12
	v_mov_b32_e32 v15, v11
	s_xor_b64 exec, exec, s[16:17]
	s_cbranch_execz .LBB126_66
; %bb.65:                               ;   in Loop: Header=BB126_2 Depth=1
	s_waitcnt lgkmcnt(0)
	v_lshlrev_b32_e32 v13, 3, v63
	ds_read_b64 v[15:16], v13 offset:8
	v_mov_b32_e32 v14, v10
	v_mov_b32_e32 v13, v9
.LBB126_66:                             ;   in Loop: Header=BB126_2 Depth=1
	s_or_b64 exec, exec, s[16:17]
	v_cndmask_b32_e64 v10, v10, v12, s[14:15]
	v_add_u32_e32 v12, 1, v64
	v_cndmask_b32_e64 v9, v9, v11, s[14:15]
	v_add_u32_e32 v11, 1, v63
	v_cndmask_b32_e64 v12, v12, v64, s[14:15]
	v_cndmask_b32_e64 v6, v6, v8, s[12:13]
	;; [unrolled: 1-line block ×3, first 2 shown]
	s_waitcnt lgkmcnt(0)
	v_cmp_lt_i64_e64 s[12:13], v[15:16], v[13:14]
	v_cndmask_b32_e64 v11, v63, v11, s[14:15]
	v_cmp_ge_i32_e64 s[14:15], v12, v27
	v_cndmask_b32_e64 v2, v2, v4, s[10:11]
	v_cndmask_b32_e64 v1, v1, v3, s[10:11]
	v_cmp_lt_i32_e64 s[10:11], v11, v28
	s_or_b64 s[12:13], s[14:15], s[12:13]
	s_and_b64 s[10:11], s[10:11], s[12:13]
	v_cndmask_b32_e64 v4, v14, v16, s[10:11]
	v_cndmask_b32_e64 v3, v13, v15, s[10:11]
	; wave barrier
	ds_write2_b64 v56, v[1:2], v[5:6] offset1:1
	ds_write2_b64 v56, v[9:10], v[3:4] offset0:2 offset1:3
	v_mov_b32_e32 v5, v40
	s_waitcnt lgkmcnt(0)
	; wave barrier
	s_and_saveexec_b64 s[12:13], s[6:7]
	s_cbranch_execz .LBB126_70
; %bb.67:                               ;   in Loop: Header=BB126_2 Depth=1
	s_mov_b64 s[14:15], 0
	v_mov_b32_e32 v5, v40
	v_mov_b32_e32 v1, v41
.LBB126_68:                             ;   Parent Loop BB126_2 Depth=1
                                        ; =>  This Inner Loop Header: Depth=2
	v_sub_u32_e32 v2, v1, v5
	v_lshrrev_b32_e32 v2, 1, v2
	v_add_u32_e32 v4, v2, v5
	v_not_b32_e32 v3, v4
	v_lshl_add_u32 v2, v4, 3, v61
	v_lshl_add_u32 v6, v3, 3, v55
	ds_read_b64 v[2:3], v2
	ds_read_b64 v[6:7], v6
	v_add_u32_e32 v8, 1, v4
	s_waitcnt lgkmcnt(0)
	v_cmp_lt_i64_e64 s[10:11], v[6:7], v[2:3]
	v_cndmask_b32_e64 v1, v1, v4, s[10:11]
	v_cndmask_b32_e64 v5, v8, v5, s[10:11]
	v_cmp_ge_i32_e64 s[10:11], v5, v1
	s_or_b64 s[14:15], s[10:11], s[14:15]
	s_andn2_b64 exec, exec, s[14:15]
	s_cbranch_execnz .LBB126_68
; %bb.69:                               ;   in Loop: Header=BB126_2 Depth=1
	s_or_b64 exec, exec, s[14:15]
.LBB126_70:                             ;   in Loop: Header=BB126_2 Depth=1
	s_or_b64 exec, exec, s[12:13]
	v_sub_u32_e32 v9, v54, v5
	v_lshl_add_u32 v7, v5, 3, v61
	v_lshlrev_b32_e32 v11, 3, v9
	ds_read_b64 v[1:2], v7
	ds_read_b64 v[3:4], v11
	v_add_u32_e32 v10, v5, v29
	v_cmp_le_i32_e64 s[14:15], v30, v10
	v_cmp_gt_i32_e64 s[10:11], v31, v9
                                        ; implicit-def: $vgpr5_vgpr6
	s_waitcnt lgkmcnt(0)
	v_cmp_lt_i64_e64 s[12:13], v[3:4], v[1:2]
	s_or_b64 s[12:13], s[14:15], s[12:13]
	s_and_b64 s[10:11], s[10:11], s[12:13]
	s_xor_b64 s[12:13], s[10:11], -1
	s_and_saveexec_b64 s[14:15], s[12:13]
	s_xor_b64 s[12:13], exec, s[14:15]
; %bb.71:                               ;   in Loop: Header=BB126_2 Depth=1
	ds_read_b64 v[5:6], v7 offset:8
                                        ; implicit-def: $vgpr11
; %bb.72:                               ;   in Loop: Header=BB126_2 Depth=1
	s_or_saveexec_b64 s[12:13], s[12:13]
	v_mov_b32_e32 v8, v4
	v_mov_b32_e32 v7, v3
	s_xor_b64 exec, exec, s[12:13]
	s_cbranch_execz .LBB126_74
; %bb.73:                               ;   in Loop: Header=BB126_2 Depth=1
	ds_read_b64 v[7:8], v11 offset:8
	s_waitcnt lgkmcnt(1)
	v_mov_b32_e32 v6, v2
	v_mov_b32_e32 v5, v1
.LBB126_74:                             ;   in Loop: Header=BB126_2 Depth=1
	s_or_b64 exec, exec, s[12:13]
	v_add_u32_e32 v12, 1, v10
	v_add_u32_e32 v11, 1, v9
	v_cndmask_b32_e64 v14, v12, v10, s[10:11]
	s_waitcnt lgkmcnt(0)
	v_cmp_lt_i64_e64 s[14:15], v[7:8], v[5:6]
	v_cndmask_b32_e64 v13, v9, v11, s[10:11]
	v_cmp_ge_i32_e64 s[16:17], v14, v30
	v_cmp_lt_i32_e64 s[12:13], v13, v31
	s_or_b64 s[14:15], s[16:17], s[14:15]
	s_and_b64 s[12:13], s[12:13], s[14:15]
	s_xor_b64 s[14:15], s[12:13], -1
                                        ; implicit-def: $vgpr9_vgpr10
	s_and_saveexec_b64 s[16:17], s[14:15]
	s_xor_b64 s[14:15], exec, s[16:17]
; %bb.75:                               ;   in Loop: Header=BB126_2 Depth=1
	v_lshlrev_b32_e32 v9, 3, v14
	ds_read_b64 v[9:10], v9 offset:8
; %bb.76:                               ;   in Loop: Header=BB126_2 Depth=1
	s_or_saveexec_b64 s[14:15], s[14:15]
	v_mov_b32_e32 v12, v8
	v_mov_b32_e32 v11, v7
	s_xor_b64 exec, exec, s[14:15]
	s_cbranch_execz .LBB126_78
; %bb.77:                               ;   in Loop: Header=BB126_2 Depth=1
	s_waitcnt lgkmcnt(0)
	v_lshlrev_b32_e32 v9, 3, v13
	ds_read_b64 v[11:12], v9 offset:8
	v_mov_b32_e32 v10, v6
	v_mov_b32_e32 v9, v5
.LBB126_78:                             ;   in Loop: Header=BB126_2 Depth=1
	s_or_b64 exec, exec, s[14:15]
	v_add_u32_e32 v16, 1, v14
	v_add_u32_e32 v15, 1, v13
	v_cndmask_b32_e64 v64, v16, v14, s[12:13]
	s_waitcnt lgkmcnt(0)
	v_cmp_lt_i64_e64 s[16:17], v[11:12], v[9:10]
	v_cndmask_b32_e64 v63, v13, v15, s[12:13]
	v_cmp_ge_i32_e64 s[18:19], v64, v30
	v_cmp_lt_i32_e64 s[14:15], v63, v31
	s_or_b64 s[16:17], s[18:19], s[16:17]
	s_and_b64 s[14:15], s[14:15], s[16:17]
	s_xor_b64 s[16:17], s[14:15], -1
                                        ; implicit-def: $vgpr13_vgpr14
	s_and_saveexec_b64 s[18:19], s[16:17]
	s_xor_b64 s[16:17], exec, s[18:19]
; %bb.79:                               ;   in Loop: Header=BB126_2 Depth=1
	v_lshlrev_b32_e32 v13, 3, v64
	ds_read_b64 v[13:14], v13 offset:8
; %bb.80:                               ;   in Loop: Header=BB126_2 Depth=1
	s_or_saveexec_b64 s[16:17], s[16:17]
	v_mov_b32_e32 v16, v12
	v_mov_b32_e32 v15, v11
	s_xor_b64 exec, exec, s[16:17]
	s_cbranch_execz .LBB126_82
; %bb.81:                               ;   in Loop: Header=BB126_2 Depth=1
	s_waitcnt lgkmcnt(0)
	v_lshlrev_b32_e32 v13, 3, v63
	ds_read_b64 v[15:16], v13 offset:8
	v_mov_b32_e32 v14, v10
	v_mov_b32_e32 v13, v9
.LBB126_82:                             ;   in Loop: Header=BB126_2 Depth=1
	s_or_b64 exec, exec, s[16:17]
	v_cndmask_b32_e64 v10, v10, v12, s[14:15]
	v_add_u32_e32 v12, 1, v64
	v_cndmask_b32_e64 v9, v9, v11, s[14:15]
	v_add_u32_e32 v11, 1, v63
	v_cndmask_b32_e64 v12, v12, v64, s[14:15]
	v_cndmask_b32_e64 v6, v6, v8, s[12:13]
	;; [unrolled: 1-line block ×3, first 2 shown]
	s_waitcnt lgkmcnt(0)
	v_cmp_lt_i64_e64 s[12:13], v[15:16], v[13:14]
	v_cndmask_b32_e64 v11, v63, v11, s[14:15]
	v_cmp_ge_i32_e64 s[14:15], v12, v30
	v_cndmask_b32_e64 v2, v2, v4, s[10:11]
	v_cndmask_b32_e64 v1, v1, v3, s[10:11]
	v_cmp_lt_i32_e64 s[10:11], v11, v31
	s_or_b64 s[12:13], s[14:15], s[12:13]
	s_and_b64 s[10:11], s[10:11], s[12:13]
	v_cndmask_b32_e64 v4, v14, v16, s[10:11]
	v_cndmask_b32_e64 v3, v13, v15, s[10:11]
	; wave barrier
	ds_write2_b64 v56, v[1:2], v[5:6] offset1:1
	ds_write2_b64 v56, v[9:10], v[3:4] offset0:2 offset1:3
	v_mov_b32_e32 v9, v43
	s_waitcnt lgkmcnt(0)
	; wave barrier
	s_and_saveexec_b64 s[12:13], s[8:9]
	s_cbranch_execz .LBB126_86
; %bb.83:                               ;   in Loop: Header=BB126_2 Depth=1
	s_mov_b64 s[14:15], 0
	v_mov_b32_e32 v9, v43
	v_mov_b32_e32 v1, v44
.LBB126_84:                             ;   Parent Loop BB126_2 Depth=1
                                        ; =>  This Inner Loop Header: Depth=2
	v_sub_u32_e32 v2, v1, v9
	v_lshrrev_b32_e32 v2, 1, v2
	v_add_u32_e32 v6, v2, v9
	v_not_b32_e32 v3, v6
	v_lshlrev_b32_e32 v2, 3, v6
	v_lshl_add_u32 v4, v3, 3, v62
	ds_read_b64 v[2:3], v2
	ds_read_b64 v[4:5], v4
	v_add_u32_e32 v7, 1, v6
	s_waitcnt lgkmcnt(0)
	v_cmp_lt_i64_e64 s[10:11], v[4:5], v[2:3]
	v_cndmask_b32_e64 v1, v1, v6, s[10:11]
	v_cndmask_b32_e64 v9, v7, v9, s[10:11]
	v_cmp_ge_i32_e64 s[10:11], v9, v1
	s_or_b64 s[14:15], s[10:11], s[14:15]
	s_andn2_b64 exec, exec, s[14:15]
	s_cbranch_execnz .LBB126_84
; %bb.85:                               ;   in Loop: Header=BB126_2 Depth=1
	s_or_b64 exec, exec, s[14:15]
.LBB126_86:                             ;   in Loop: Header=BB126_2 Depth=1
	s_or_b64 exec, exec, s[12:13]
	v_sub_u32_e32 v10, v45, v9
	v_lshlrev_b32_e32 v7, 3, v9
	v_lshlrev_b32_e32 v11, 3, v10
	ds_read_b64 v[1:2], v7
	ds_read_b64 v[3:4], v11
	v_cmp_le_i32_e64 s[14:15], v42, v9
	v_cmp_gt_i32_e64 s[10:11], s20, v10
                                        ; implicit-def: $vgpr5_vgpr6
	s_waitcnt lgkmcnt(0)
	v_cmp_lt_i64_e64 s[12:13], v[3:4], v[1:2]
	s_or_b64 s[12:13], s[14:15], s[12:13]
	s_and_b64 s[10:11], s[10:11], s[12:13]
	s_xor_b64 s[12:13], s[10:11], -1
	s_and_saveexec_b64 s[14:15], s[12:13]
	s_xor_b64 s[12:13], exec, s[14:15]
; %bb.87:                               ;   in Loop: Header=BB126_2 Depth=1
	ds_read_b64 v[5:6], v7 offset:8
                                        ; implicit-def: $vgpr11
; %bb.88:                               ;   in Loop: Header=BB126_2 Depth=1
	s_or_saveexec_b64 s[12:13], s[12:13]
	v_mov_b32_e32 v8, v4
	v_mov_b32_e32 v7, v3
	s_xor_b64 exec, exec, s[12:13]
	s_cbranch_execz .LBB126_90
; %bb.89:                               ;   in Loop: Header=BB126_2 Depth=1
	ds_read_b64 v[7:8], v11 offset:8
	s_waitcnt lgkmcnt(1)
	v_mov_b32_e32 v6, v2
	v_mov_b32_e32 v5, v1
.LBB126_90:                             ;   in Loop: Header=BB126_2 Depth=1
	s_or_b64 exec, exec, s[12:13]
	v_add_u32_e32 v12, 1, v9
	v_add_u32_e32 v11, 1, v10
	v_cndmask_b32_e64 v14, v12, v9, s[10:11]
	s_waitcnt lgkmcnt(0)
	v_cmp_lt_i64_e64 s[14:15], v[7:8], v[5:6]
	v_cndmask_b32_e64 v13, v10, v11, s[10:11]
	v_cmp_ge_i32_e64 s[16:17], v14, v42
	v_cmp_gt_i32_e64 s[12:13], s20, v13
	s_or_b64 s[14:15], s[16:17], s[14:15]
	s_and_b64 s[12:13], s[12:13], s[14:15]
	s_xor_b64 s[14:15], s[12:13], -1
                                        ; implicit-def: $vgpr9_vgpr10
	s_and_saveexec_b64 s[16:17], s[14:15]
	s_xor_b64 s[14:15], exec, s[16:17]
; %bb.91:                               ;   in Loop: Header=BB126_2 Depth=1
	v_lshlrev_b32_e32 v9, 3, v14
	ds_read_b64 v[9:10], v9 offset:8
; %bb.92:                               ;   in Loop: Header=BB126_2 Depth=1
	s_or_saveexec_b64 s[14:15], s[14:15]
	v_mov_b32_e32 v12, v8
	v_mov_b32_e32 v11, v7
	s_xor_b64 exec, exec, s[14:15]
	s_cbranch_execz .LBB126_94
; %bb.93:                               ;   in Loop: Header=BB126_2 Depth=1
	s_waitcnt lgkmcnt(0)
	v_lshlrev_b32_e32 v9, 3, v13
	ds_read_b64 v[11:12], v9 offset:8
	v_mov_b32_e32 v10, v6
	v_mov_b32_e32 v9, v5
.LBB126_94:                             ;   in Loop: Header=BB126_2 Depth=1
	s_or_b64 exec, exec, s[14:15]
	v_add_u32_e32 v16, 1, v14
	v_add_u32_e32 v15, 1, v13
	v_cndmask_b32_e64 v65, v16, v14, s[12:13]
	s_waitcnt lgkmcnt(0)
	v_cmp_lt_i64_e64 s[16:17], v[11:12], v[9:10]
	v_cndmask_b32_e64 v63, v13, v15, s[12:13]
	v_cmp_ge_i32_e64 s[18:19], v65, v42
	v_cmp_gt_i32_e64 s[14:15], s20, v63
	s_or_b64 s[16:17], s[18:19], s[16:17]
	s_and_b64 s[14:15], s[14:15], s[16:17]
	s_xor_b64 s[16:17], s[14:15], -1
                                        ; implicit-def: $vgpr13_vgpr14
                                        ; implicit-def: $vgpr64
	s_and_saveexec_b64 s[18:19], s[16:17]
	s_xor_b64 s[16:17], exec, s[18:19]
; %bb.95:                               ;   in Loop: Header=BB126_2 Depth=1
	v_lshlrev_b32_e32 v13, 3, v65
	ds_read_b64 v[13:14], v13 offset:8
	v_add_u32_e32 v64, 1, v65
                                        ; implicit-def: $vgpr65
; %bb.96:                               ;   in Loop: Header=BB126_2 Depth=1
	s_or_saveexec_b64 s[16:17], s[16:17]
	v_mov_b32_e32 v16, v12
	v_mov_b32_e32 v15, v11
	s_xor_b64 exec, exec, s[16:17]
	s_cbranch_execz .LBB126_1
; %bb.97:                               ;   in Loop: Header=BB126_2 Depth=1
	s_waitcnt lgkmcnt(0)
	v_lshlrev_b32_e32 v13, 3, v63
	ds_read_b64 v[15:16], v13 offset:8
	v_mov_b32_e32 v14, v10
	v_add_u32_e32 v63, 1, v63
	v_mov_b32_e32 v64, v65
	v_mov_b32_e32 v13, v9
	s_branch .LBB126_1
.LBB126_98:
	s_add_u32 s0, s22, s26
	s_addc_u32 s1, s23, s27
	v_lshlrev_b32_e32 v0, 3, v0
	global_store_dwordx2 v0, v[3:4], s[0:1]
	global_store_dwordx2 v0, v[5:6], s[0:1] offset:512
	global_store_dwordx2 v0, v[1:2], s[0:1] offset:1024
	;; [unrolled: 1-line block ×3, first 2 shown]
	s_endpgm
	.section	.rodata,"a",@progbits
	.p2align	6, 0x0
	.amdhsa_kernel _Z16sort_keys_kernelIxLj64ELj4EN10test_utils4lessELj10EEvPKT_PS2_T2_
		.amdhsa_group_segment_fixed_size 2056
		.amdhsa_private_segment_fixed_size 0
		.amdhsa_kernarg_size 20
		.amdhsa_user_sgpr_count 6
		.amdhsa_user_sgpr_private_segment_buffer 1
		.amdhsa_user_sgpr_dispatch_ptr 0
		.amdhsa_user_sgpr_queue_ptr 0
		.amdhsa_user_sgpr_kernarg_segment_ptr 1
		.amdhsa_user_sgpr_dispatch_id 0
		.amdhsa_user_sgpr_flat_scratch_init 0
		.amdhsa_user_sgpr_private_segment_size 0
		.amdhsa_uses_dynamic_stack 0
		.amdhsa_system_sgpr_private_segment_wavefront_offset 0
		.amdhsa_system_sgpr_workgroup_id_x 1
		.amdhsa_system_sgpr_workgroup_id_y 0
		.amdhsa_system_sgpr_workgroup_id_z 0
		.amdhsa_system_sgpr_workgroup_info 0
		.amdhsa_system_vgpr_workitem_id 0
		.amdhsa_next_free_vgpr 67
		.amdhsa_next_free_sgpr 61
		.amdhsa_reserve_vcc 1
		.amdhsa_reserve_flat_scratch 0
		.amdhsa_float_round_mode_32 0
		.amdhsa_float_round_mode_16_64 0
		.amdhsa_float_denorm_mode_32 3
		.amdhsa_float_denorm_mode_16_64 3
		.amdhsa_dx10_clamp 1
		.amdhsa_ieee_mode 1
		.amdhsa_fp16_overflow 0
		.amdhsa_exception_fp_ieee_invalid_op 0
		.amdhsa_exception_fp_denorm_src 0
		.amdhsa_exception_fp_ieee_div_zero 0
		.amdhsa_exception_fp_ieee_overflow 0
		.amdhsa_exception_fp_ieee_underflow 0
		.amdhsa_exception_fp_ieee_inexact 0
		.amdhsa_exception_int_div_zero 0
	.end_amdhsa_kernel
	.section	.text._Z16sort_keys_kernelIxLj64ELj4EN10test_utils4lessELj10EEvPKT_PS2_T2_,"axG",@progbits,_Z16sort_keys_kernelIxLj64ELj4EN10test_utils4lessELj10EEvPKT_PS2_T2_,comdat
.Lfunc_end126:
	.size	_Z16sort_keys_kernelIxLj64ELj4EN10test_utils4lessELj10EEvPKT_PS2_T2_, .Lfunc_end126-_Z16sort_keys_kernelIxLj64ELj4EN10test_utils4lessELj10EEvPKT_PS2_T2_
                                        ; -- End function
	.set _Z16sort_keys_kernelIxLj64ELj4EN10test_utils4lessELj10EEvPKT_PS2_T2_.num_vgpr, 67
	.set _Z16sort_keys_kernelIxLj64ELj4EN10test_utils4lessELj10EEvPKT_PS2_T2_.num_agpr, 0
	.set _Z16sort_keys_kernelIxLj64ELj4EN10test_utils4lessELj10EEvPKT_PS2_T2_.numbered_sgpr, 28
	.set _Z16sort_keys_kernelIxLj64ELj4EN10test_utils4lessELj10EEvPKT_PS2_T2_.num_named_barrier, 0
	.set _Z16sort_keys_kernelIxLj64ELj4EN10test_utils4lessELj10EEvPKT_PS2_T2_.private_seg_size, 0
	.set _Z16sort_keys_kernelIxLj64ELj4EN10test_utils4lessELj10EEvPKT_PS2_T2_.uses_vcc, 1
	.set _Z16sort_keys_kernelIxLj64ELj4EN10test_utils4lessELj10EEvPKT_PS2_T2_.uses_flat_scratch, 0
	.set _Z16sort_keys_kernelIxLj64ELj4EN10test_utils4lessELj10EEvPKT_PS2_T2_.has_dyn_sized_stack, 0
	.set _Z16sort_keys_kernelIxLj64ELj4EN10test_utils4lessELj10EEvPKT_PS2_T2_.has_recursion, 0
	.set _Z16sort_keys_kernelIxLj64ELj4EN10test_utils4lessELj10EEvPKT_PS2_T2_.has_indirect_call, 0
	.section	.AMDGPU.csdata,"",@progbits
; Kernel info:
; codeLenInByte = 4992
; TotalNumSgprs: 32
; NumVgprs: 67
; ScratchSize: 0
; MemoryBound: 0
; FloatMode: 240
; IeeeMode: 1
; LDSByteSize: 2056 bytes/workgroup (compile time only)
; SGPRBlocks: 8
; VGPRBlocks: 16
; NumSGPRsForWavesPerEU: 65
; NumVGPRsForWavesPerEU: 67
; Occupancy: 3
; WaveLimiterHint : 1
; COMPUTE_PGM_RSRC2:SCRATCH_EN: 0
; COMPUTE_PGM_RSRC2:USER_SGPR: 6
; COMPUTE_PGM_RSRC2:TRAP_HANDLER: 0
; COMPUTE_PGM_RSRC2:TGID_X_EN: 1
; COMPUTE_PGM_RSRC2:TGID_Y_EN: 0
; COMPUTE_PGM_RSRC2:TGID_Z_EN: 0
; COMPUTE_PGM_RSRC2:TIDIG_COMP_CNT: 0
	.section	.text._Z17sort_pairs_kernelIxLj64ELj4EN10test_utils4lessELj10EEvPKT_PS2_T2_,"axG",@progbits,_Z17sort_pairs_kernelIxLj64ELj4EN10test_utils4lessELj10EEvPKT_PS2_T2_,comdat
	.protected	_Z17sort_pairs_kernelIxLj64ELj4EN10test_utils4lessELj10EEvPKT_PS2_T2_ ; -- Begin function _Z17sort_pairs_kernelIxLj64ELj4EN10test_utils4lessELj10EEvPKT_PS2_T2_
	.globl	_Z17sort_pairs_kernelIxLj64ELj4EN10test_utils4lessELj10EEvPKT_PS2_T2_
	.p2align	8
	.type	_Z17sort_pairs_kernelIxLj64ELj4EN10test_utils4lessELj10EEvPKT_PS2_T2_,@function
_Z17sort_pairs_kernelIxLj64ELj4EN10test_utils4lessELj10EEvPKT_PS2_T2_: ; @_Z17sort_pairs_kernelIxLj64ELj4EN10test_utils4lessELj10EEvPKT_PS2_T2_
; %bb.0:
	s_load_dwordx4 s[36:39], s[4:5], 0x0
	s_lshl_b32 s40, s6, 8
	s_mov_b32 s41, 0
	s_lshl_b64 s[34:35], s[40:41], 3
	v_lshlrev_b32_e32 v1, 3, v0
	s_waitcnt lgkmcnt(0)
	s_add_u32 s0, s36, s34
	s_addc_u32 s1, s37, s35
	global_load_dwordx2 v[11:12], v1, s[0:1]
	global_load_dwordx2 v[13:14], v1, s[0:1] offset:512
	global_load_dwordx2 v[9:10], v1, s[0:1] offset:1024
	;; [unrolled: 1-line block ×3, first 2 shown]
	v_lshlrev_b32_e32 v17, 2, v0
	v_and_b32_e32 v26, 0xf8, v17
	v_and_b32_e32 v27, 0xf0, v17
	v_or_b32_e32 v33, 4, v26
	v_add_u32_e32 v34, 8, v26
	v_and_b32_e32 v18, 4, v17
	v_and_b32_e32 v28, 0xe0, v17
	v_or_b32_e32 v35, 8, v27
	v_add_u32_e32 v36, 16, v27
	v_sub_u32_e32 v1, v34, v33
	v_and_b32_e32 v19, 12, v17
	v_and_b32_e32 v29, 0xc0, v17
	v_or_b32_e32 v37, 16, v28
	v_add_u32_e32 v38, 32, v28
	v_sub_u32_e32 v2, v36, v35
	v_sub_u32_e32 v48, v18, v1
	v_cmp_ge_i32_e32 vcc, v18, v1
	v_and_b32_e32 v20, 28, v17
	v_and_b32_e32 v30, 0x80, v17
	v_or_b32_e32 v39, 32, v29
	v_add_u32_e32 v40, 64, v29
	v_sub_u32_e32 v3, v38, v37
	v_sub_u32_e32 v7, v35, v27
	;; [unrolled: 1-line block ×3, first 2 shown]
	v_cndmask_b32_e32 v48, 0, v48, vcc
	v_cmp_ge_i32_e32 vcc, v19, v2
	v_and_b32_e32 v21, 60, v17
	v_or_b32_e32 v41, 64, v30
	v_add_u32_e32 v42, 0x80, v30
	v_sub_u32_e32 v4, v40, v39
	v_sub_u32_e32 v8, v37, v28
	;; [unrolled: 1-line block ×3, first 2 shown]
	v_min_i32_e32 v44, v19, v7
	v_cndmask_b32_e32 v49, 0, v49, vcc
	v_cmp_ge_i32_e32 vcc, v20, v3
	v_and_b32_e32 v22, 0x7c, v17
	v_sub_u32_e32 v5, v42, v41
	v_sub_u32_e32 v51, v21, v4
	v_min_i32_e32 v45, v20, v8
	v_cndmask_b32_e32 v50, 0, v50, vcc
	v_cmp_ge_i32_e32 vcc, v21, v4
	v_mov_b32_e32 v25, 0x80
	v_sub_u32_e32 v6, v33, v26
	v_sub_u32_e32 v52, v22, v5
	v_cndmask_b32_e32 v51, 0, v51, vcc
	v_cmp_ge_i32_e32 vcc, v22, v5
	v_sub_u32_e64 v31, v17, v25 clamp
	v_min_i32_e32 v32, 0x80, v17
	v_min_i32_e32 v43, v18, v6
	v_add_u32_e32 v53, 0x80, v17
	v_lshlrev_b32_e32 v17, 3, v18
	v_lshl_add_u32 v55, v33, 3, v17
	v_lshlrev_b32_e32 v17, 3, v19
	v_lshl_add_u32 v57, v35, 3, v17
	v_lshlrev_b32_e32 v17, 3, v20
	v_sub_u32_e32 v23, v39, v29
	v_sub_u32_e32 v24, v41, v30
	v_lshl_add_u32 v59, v37, 3, v17
	v_lshlrev_b32_e32 v17, 3, v21
	v_min_i32_e32 v46, v21, v23
	v_min_i32_e32 v47, v22, v24
	v_cndmask_b32_e32 v52, 0, v52, vcc
	v_lshl_add_u32 v61, v39, 3, v17
	v_lshlrev_b32_e32 v17, 3, v22
	v_lshlrev_b32_e32 v64, 5, v0
	v_cmp_lt_i32_e32 vcc, v48, v43
	v_cmp_lt_i32_e64 s[0:1], v49, v44
	v_cmp_lt_i32_e64 s[2:3], v50, v45
	;; [unrolled: 1-line block ×4, first 2 shown]
	v_add_u32_e32 v54, v33, v18
	v_add_u32_e32 v56, v35, v19
	;; [unrolled: 1-line block ×5, first 2 shown]
	v_lshl_add_u32 v63, v41, 3, v17
	s_waitcnt vmcnt(3)
	v_add_co_u32_e64 v7, s[8:9], 1, v11
	v_addc_co_u32_e64 v8, s[8:9], 0, v12, s[8:9]
	s_waitcnt vmcnt(2)
	v_add_co_u32_e64 v5, s[8:9], 1, v13
	v_addc_co_u32_e64 v6, s[8:9], 0, v14, s[8:9]
	;; [unrolled: 3-line block ×4, first 2 shown]
	v_cmp_lt_i32_e64 s[8:9], v31, v32
	s_movk_i32 s33, 0x100
	v_lshlrev_b32_e32 v65, 3, v26
	v_lshlrev_b32_e32 v66, 3, v27
	;; [unrolled: 1-line block ×5, first 2 shown]
	v_add_u32_e32 v70, 0x400, v64
	s_branch .LBB127_2
.LBB127_1:                              ;   in Loop: Header=BB127_2 Depth=1
	s_or_b64 exec, exec, s[16:17]
	v_cndmask_b32_e64 v11, v9, v11, s[10:11]
	v_cndmask_b32_e64 v14, v14, v20, s[12:13]
	;; [unrolled: 1-line block ×4, first 2 shown]
	s_waitcnt lgkmcnt(0)
	v_cmp_lt_i64_e64 s[12:13], v[23:24], v[21:22]
	v_cmp_ge_i32_e64 s[16:17], v77, v25
	v_cndmask_b32_e64 v12, v10, v12, s[10:11]
	v_cndmask_b32_e64 v10, v16, v18, s[14:15]
	;; [unrolled: 1-line block ×3, first 2 shown]
	v_cmp_gt_i32_e64 s[10:11], s33, v75
	s_or_b64 s[12:13], s[16:17], s[12:13]
	s_and_b64 s[10:11], s[10:11], s[12:13]
	v_cndmask_b32_e64 v19, v77, v75, s[10:11]
	; wave barrier
	ds_write2_b64 v64, v[5:6], v[7:8] offset1:1
	ds_write2_b64 v64, v[1:2], v[3:4] offset0:2 offset1:3
	v_lshlrev_b32_e32 v1, 3, v18
	v_lshlrev_b32_e32 v2, 3, v9
	;; [unrolled: 1-line block ×3, first 2 shown]
	s_waitcnt lgkmcnt(0)
	; wave barrier
	v_lshlrev_b32_e32 v9, 3, v19
	ds_read_b64 v[7:8], v1
	ds_read_b64 v[5:6], v2
	;; [unrolled: 1-line block ×4, first 2 shown]
	s_add_i32 s41, s41, 1
	v_cndmask_b32_e64 v16, v22, v24, s[10:11]
	v_cndmask_b32_e64 v9, v15, v17, s[14:15]
	s_cmp_eq_u32 s41, 10
	v_cndmask_b32_e64 v15, v21, v23, s[10:11]
	s_cbranch_scc1 .LBB127_98
.LBB127_2:                              ; =>This Loop Header: Depth=1
                                        ;     Child Loop BB127_4 Depth 2
                                        ;     Child Loop BB127_20 Depth 2
	;; [unrolled: 1-line block ×6, first 2 shown]
	v_cmp_lt_i64_e64 s[10:11], v[13:14], v[11:12]
	v_cmp_lt_i64_e64 s[12:13], v[15:16], v[9:10]
	v_cndmask_b32_e64 v18, v12, v14, s[10:11]
	v_cndmask_b32_e64 v17, v11, v13, s[10:11]
	;; [unrolled: 1-line block ×6, first 2 shown]
	v_cmp_lt_i64_e64 s[14:15], v[19:20], v[11:12]
	v_cndmask_b32_e64 v14, v16, v10, s[12:13]
	v_cndmask_b32_e64 v13, v15, v9, s[12:13]
	;; [unrolled: 1-line block ×6, first 2 shown]
	v_cmp_lt_i64_e64 s[16:17], v[15:16], v[17:18]
	v_cmp_lt_i64_e64 s[18:19], v[13:14], v[9:10]
	v_cndmask_b32_e64 v12, v16, v18, s[16:17]
	v_cndmask_b32_e64 v11, v15, v17, s[16:17]
	;; [unrolled: 1-line block ×4, first 2 shown]
	v_cmp_lt_i64_e64 s[20:21], v[19:20], v[11:12]
	v_cndmask_b32_e64 v16, v18, v16, s[16:17]
	v_cndmask_b32_e64 v15, v17, v15, s[16:17]
	;; [unrolled: 1-line block ×8, first 2 shown]
	v_mov_b32_e32 v13, v48
	; wave barrier
	ds_write2_b64 v64, v[15:16], v[11:12] offset1:1
	ds_write2_b64 v64, v[9:10], v[17:18] offset0:2 offset1:3
	s_waitcnt lgkmcnt(0)
	; wave barrier
	s_and_saveexec_b64 s[24:25], vcc
	s_cbranch_execz .LBB127_6
; %bb.3:                                ;   in Loop: Header=BB127_2 Depth=1
	s_mov_b64 s[26:27], 0
	v_mov_b32_e32 v13, v48
	v_mov_b32_e32 v9, v43
.LBB127_4:                              ;   Parent Loop BB127_2 Depth=1
                                        ; =>  This Inner Loop Header: Depth=2
	v_sub_u32_e32 v10, v9, v13
	v_lshrrev_b32_e32 v10, 1, v10
	v_add_u32_e32 v12, v10, v13
	v_not_b32_e32 v11, v12
	v_lshl_add_u32 v10, v12, 3, v65
	v_lshl_add_u32 v14, v11, 3, v55
	ds_read_b64 v[10:11], v10
	ds_read_b64 v[14:15], v14
	v_add_u32_e32 v16, 1, v12
	s_waitcnt lgkmcnt(0)
	v_cmp_lt_i64_e64 s[22:23], v[14:15], v[10:11]
	v_cndmask_b32_e64 v9, v9, v12, s[22:23]
	v_cndmask_b32_e64 v13, v16, v13, s[22:23]
	v_cmp_ge_i32_e64 s[22:23], v13, v9
	s_or_b64 s[26:27], s[22:23], s[26:27]
	s_andn2_b64 exec, exec, s[26:27]
	s_cbranch_execnz .LBB127_4
; %bb.5:                                ;   in Loop: Header=BB127_2 Depth=1
	s_or_b64 exec, exec, s[26:27]
.LBB127_6:                              ;   in Loop: Header=BB127_2 Depth=1
	s_or_b64 exec, exec, s[24:25]
	v_sub_u32_e32 v71, v54, v13
	v_lshl_add_u32 v15, v13, 3, v65
	v_lshlrev_b32_e32 v17, 3, v71
	ds_read_b64 v[9:10], v15
	ds_read_b64 v[11:12], v17
	v_add_u32_e32 v72, v13, v26
	v_cmp_le_i32_e64 s[26:27], v33, v72
	v_cmp_gt_i32_e64 s[22:23], v34, v71
                                        ; implicit-def: $vgpr13_vgpr14
	s_waitcnt lgkmcnt(0)
	v_cmp_lt_i64_e64 s[24:25], v[11:12], v[9:10]
	s_or_b64 s[24:25], s[26:27], s[24:25]
	s_and_b64 s[22:23], s[22:23], s[24:25]
	s_xor_b64 s[24:25], s[22:23], -1
	s_and_saveexec_b64 s[26:27], s[24:25]
	s_xor_b64 s[24:25], exec, s[26:27]
; %bb.7:                                ;   in Loop: Header=BB127_2 Depth=1
	ds_read_b64 v[13:14], v15 offset:8
                                        ; implicit-def: $vgpr17
; %bb.8:                                ;   in Loop: Header=BB127_2 Depth=1
	s_or_saveexec_b64 s[24:25], s[24:25]
	v_mov_b32_e32 v16, v12
	v_mov_b32_e32 v15, v11
	s_xor_b64 exec, exec, s[24:25]
	s_cbranch_execz .LBB127_10
; %bb.9:                                ;   in Loop: Header=BB127_2 Depth=1
	ds_read_b64 v[15:16], v17 offset:8
	s_waitcnt lgkmcnt(1)
	v_mov_b32_e32 v14, v10
	v_mov_b32_e32 v13, v9
.LBB127_10:                             ;   in Loop: Header=BB127_2 Depth=1
	s_or_b64 exec, exec, s[24:25]
	v_add_u32_e32 v18, 1, v72
	v_add_u32_e32 v17, 1, v71
	v_cndmask_b32_e64 v74, v18, v72, s[22:23]
	s_waitcnt lgkmcnt(0)
	v_cmp_lt_i64_e64 s[26:27], v[15:16], v[13:14]
	v_cndmask_b32_e64 v73, v71, v17, s[22:23]
	v_cmp_ge_i32_e64 s[28:29], v74, v33
	v_cmp_lt_i32_e64 s[24:25], v73, v34
	s_or_b64 s[26:27], s[28:29], s[26:27]
	s_and_b64 s[24:25], s[24:25], s[26:27]
	s_xor_b64 s[26:27], s[24:25], -1
                                        ; implicit-def: $vgpr19_vgpr20
	s_and_saveexec_b64 s[28:29], s[26:27]
	s_xor_b64 s[26:27], exec, s[28:29]
; %bb.11:                               ;   in Loop: Header=BB127_2 Depth=1
	v_lshlrev_b32_e32 v17, 3, v74
	ds_read_b64 v[19:20], v17 offset:8
; %bb.12:                               ;   in Loop: Header=BB127_2 Depth=1
	s_or_saveexec_b64 s[26:27], s[26:27]
	v_mov_b32_e32 v24, v16
	v_mov_b32_e32 v23, v15
	s_xor_b64 exec, exec, s[26:27]
	s_cbranch_execz .LBB127_14
; %bb.13:                               ;   in Loop: Header=BB127_2 Depth=1
	v_lshlrev_b32_e32 v17, 3, v73
	ds_read_b64 v[23:24], v17 offset:8
	s_waitcnt lgkmcnt(1)
	v_mov_b32_e32 v20, v14
	v_mov_b32_e32 v19, v13
.LBB127_14:                             ;   in Loop: Header=BB127_2 Depth=1
	s_or_b64 exec, exec, s[26:27]
	v_add_u32_e32 v18, 1, v74
	v_add_u32_e32 v17, 1, v73
	v_cndmask_b32_e64 v76, v18, v74, s[24:25]
	s_waitcnt lgkmcnt(0)
	v_cmp_lt_i64_e64 s[28:29], v[23:24], v[19:20]
	v_cndmask_b32_e64 v75, v73, v17, s[24:25]
	v_cmp_ge_i32_e64 s[30:31], v76, v33
	v_cmp_lt_i32_e64 s[26:27], v75, v34
	s_or_b64 s[28:29], s[30:31], s[28:29]
	s_and_b64 s[26:27], s[26:27], s[28:29]
	s_xor_b64 s[28:29], s[26:27], -1
                                        ; implicit-def: $vgpr17_vgpr18
	s_and_saveexec_b64 s[30:31], s[28:29]
	s_xor_b64 s[28:29], exec, s[30:31]
; %bb.15:                               ;   in Loop: Header=BB127_2 Depth=1
	v_lshlrev_b32_e32 v17, 3, v76
	ds_read_b64 v[17:18], v17 offset:8
; %bb.16:                               ;   in Loop: Header=BB127_2 Depth=1
	s_or_saveexec_b64 s[28:29], s[28:29]
	v_mov_b32_e32 v21, v23
	v_mov_b32_e32 v22, v24
	s_xor_b64 exec, exec, s[28:29]
	s_cbranch_execz .LBB127_18
; %bb.17:                               ;   in Loop: Header=BB127_2 Depth=1
	s_waitcnt lgkmcnt(0)
	v_lshlrev_b32_e32 v17, 3, v75
	ds_read_b64 v[21:22], v17 offset:8
	v_mov_b32_e32 v17, v19
	v_mov_b32_e32 v18, v20
.LBB127_18:                             ;   in Loop: Header=BB127_2 Depth=1
	s_or_b64 exec, exec, s[28:29]
	v_cndmask_b32_e64 v20, v20, v24, s[26:27]
	v_add_u32_e32 v24, 1, v76
	v_cndmask_b32_e64 v19, v19, v23, s[26:27]
	v_add_u32_e32 v23, 1, v75
	v_cndmask_b32_e64 v24, v24, v76, s[26:27]
	v_cndmask_b32_e64 v10, v10, v12, s[22:23]
	v_cndmask_b32_e64 v9, v9, v11, s[22:23]
	v_cndmask_b32_e64 v11, v7, v5, s[10:11]
	v_cndmask_b32_e64 v12, v8, v6, s[10:11]
	v_cndmask_b32_e64 v6, v6, v8, s[10:11]
	v_cndmask_b32_e64 v5, v5, v7, s[10:11]
	v_cndmask_b32_e64 v7, v1, v3, s[12:13]
	v_cndmask_b32_e64 v8, v2, v4, s[12:13]
	v_cndmask_b32_e64 v2, v4, v2, s[12:13]
	v_cndmask_b32_e64 v1, v3, v1, s[12:13]
	s_waitcnt lgkmcnt(0)
	v_cmp_lt_i64_e64 s[12:13], v[21:22], v[17:18]
	v_cndmask_b32_e64 v23, v75, v23, s[26:27]
	v_cndmask_b32_e64 v14, v14, v16, s[24:25]
	;; [unrolled: 1-line block ×7, first 2 shown]
	v_cmp_ge_i32_e64 s[14:15], v24, v33
	v_cmp_lt_i32_e64 s[10:11], v23, v34
	s_or_b64 s[12:13], s[14:15], s[12:13]
	v_cndmask_b32_e64 v2, v12, v4, s[16:17]
	v_cndmask_b32_e64 v1, v11, v3, s[16:17]
	;; [unrolled: 1-line block ×8, first 2 shown]
	s_and_b64 s[10:11], s[10:11], s[12:13]
	v_cndmask_b32_e64 v75, v76, v75, s[26:27]
	v_cndmask_b32_e64 v13, v13, v15, s[24:25]
	;; [unrolled: 1-line block ×9, first 2 shown]
	; wave barrier
	ds_write2_b64 v64, v[1:2], v[7:8] offset1:1
	ds_write2_b64 v64, v[5:6], v[3:4] offset0:2 offset1:3
	v_lshlrev_b32_e32 v1, 3, v16
	v_lshlrev_b32_e32 v2, 3, v15
	;; [unrolled: 1-line block ×4, first 2 shown]
	s_waitcnt lgkmcnt(0)
	; wave barrier
	ds_read_b64 v[5:6], v1
	ds_read_b64 v[7:8], v2
	;; [unrolled: 1-line block ×4, first 2 shown]
	v_cndmask_b32_e64 v12, v18, v22, s[10:11]
	s_waitcnt lgkmcnt(0)
	; wave barrier
	ds_write2_b64 v64, v[9:10], v[13:14] offset1:1
	ds_write2_b64 v64, v[19:20], v[11:12] offset0:2 offset1:3
	v_mov_b32_e32 v13, v49
	s_waitcnt lgkmcnt(0)
	; wave barrier
	s_and_saveexec_b64 s[12:13], s[0:1]
	s_cbranch_execz .LBB127_22
; %bb.19:                               ;   in Loop: Header=BB127_2 Depth=1
	s_mov_b64 s[14:15], 0
	v_mov_b32_e32 v13, v49
	v_mov_b32_e32 v9, v44
.LBB127_20:                             ;   Parent Loop BB127_2 Depth=1
                                        ; =>  This Inner Loop Header: Depth=2
	v_sub_u32_e32 v10, v9, v13
	v_lshrrev_b32_e32 v10, 1, v10
	v_add_u32_e32 v12, v10, v13
	v_not_b32_e32 v11, v12
	v_lshl_add_u32 v10, v12, 3, v66
	v_lshl_add_u32 v14, v11, 3, v57
	ds_read_b64 v[10:11], v10
	ds_read_b64 v[14:15], v14
	v_add_u32_e32 v16, 1, v12
	s_waitcnt lgkmcnt(0)
	v_cmp_lt_i64_e64 s[10:11], v[14:15], v[10:11]
	v_cndmask_b32_e64 v9, v9, v12, s[10:11]
	v_cndmask_b32_e64 v13, v16, v13, s[10:11]
	v_cmp_ge_i32_e64 s[10:11], v13, v9
	s_or_b64 s[14:15], s[10:11], s[14:15]
	s_andn2_b64 exec, exec, s[14:15]
	s_cbranch_execnz .LBB127_20
; %bb.21:                               ;   in Loop: Header=BB127_2 Depth=1
	s_or_b64 exec, exec, s[14:15]
.LBB127_22:                             ;   in Loop: Header=BB127_2 Depth=1
	s_or_b64 exec, exec, s[12:13]
	v_sub_u32_e32 v71, v56, v13
	v_lshl_add_u32 v15, v13, 3, v66
	v_lshlrev_b32_e32 v17, 3, v71
	ds_read_b64 v[9:10], v15
	ds_read_b64 v[11:12], v17
	v_add_u32_e32 v72, v13, v27
	v_cmp_le_i32_e64 s[14:15], v35, v72
	v_cmp_gt_i32_e64 s[10:11], v36, v71
                                        ; implicit-def: $vgpr13_vgpr14
	s_waitcnt lgkmcnt(0)
	v_cmp_lt_i64_e64 s[12:13], v[11:12], v[9:10]
	s_or_b64 s[12:13], s[14:15], s[12:13]
	s_and_b64 s[10:11], s[10:11], s[12:13]
	s_xor_b64 s[12:13], s[10:11], -1
	s_and_saveexec_b64 s[14:15], s[12:13]
	s_xor_b64 s[12:13], exec, s[14:15]
; %bb.23:                               ;   in Loop: Header=BB127_2 Depth=1
	ds_read_b64 v[13:14], v15 offset:8
                                        ; implicit-def: $vgpr17
; %bb.24:                               ;   in Loop: Header=BB127_2 Depth=1
	s_or_saveexec_b64 s[12:13], s[12:13]
	v_mov_b32_e32 v16, v12
	v_mov_b32_e32 v15, v11
	s_xor_b64 exec, exec, s[12:13]
	s_cbranch_execz .LBB127_26
; %bb.25:                               ;   in Loop: Header=BB127_2 Depth=1
	ds_read_b64 v[15:16], v17 offset:8
	s_waitcnt lgkmcnt(1)
	v_mov_b32_e32 v14, v10
	v_mov_b32_e32 v13, v9
.LBB127_26:                             ;   in Loop: Header=BB127_2 Depth=1
	s_or_b64 exec, exec, s[12:13]
	v_add_u32_e32 v18, 1, v72
	v_add_u32_e32 v17, 1, v71
	v_cndmask_b32_e64 v74, v18, v72, s[10:11]
	s_waitcnt lgkmcnt(0)
	v_cmp_lt_i64_e64 s[14:15], v[15:16], v[13:14]
	v_cndmask_b32_e64 v73, v71, v17, s[10:11]
	v_cmp_ge_i32_e64 s[16:17], v74, v35
	v_cmp_lt_i32_e64 s[12:13], v73, v36
	s_or_b64 s[14:15], s[16:17], s[14:15]
	s_and_b64 s[12:13], s[12:13], s[14:15]
	s_xor_b64 s[14:15], s[12:13], -1
                                        ; implicit-def: $vgpr17_vgpr18
	s_and_saveexec_b64 s[16:17], s[14:15]
	s_xor_b64 s[14:15], exec, s[16:17]
; %bb.27:                               ;   in Loop: Header=BB127_2 Depth=1
	v_lshlrev_b32_e32 v17, 3, v74
	ds_read_b64 v[17:18], v17 offset:8
; %bb.28:                               ;   in Loop: Header=BB127_2 Depth=1
	s_or_saveexec_b64 s[14:15], s[14:15]
	v_mov_b32_e32 v20, v16
	v_mov_b32_e32 v19, v15
	s_xor_b64 exec, exec, s[14:15]
	s_cbranch_execz .LBB127_30
; %bb.29:                               ;   in Loop: Header=BB127_2 Depth=1
	s_waitcnt lgkmcnt(0)
	v_lshlrev_b32_e32 v17, 3, v73
	ds_read_b64 v[19:20], v17 offset:8
	v_mov_b32_e32 v18, v14
	v_mov_b32_e32 v17, v13
.LBB127_30:                             ;   in Loop: Header=BB127_2 Depth=1
	s_or_b64 exec, exec, s[14:15]
	v_add_u32_e32 v22, 1, v74
	v_add_u32_e32 v21, 1, v73
	v_cndmask_b32_e64 v76, v22, v74, s[12:13]
	s_waitcnt lgkmcnt(0)
	v_cmp_lt_i64_e64 s[16:17], v[19:20], v[17:18]
	v_cndmask_b32_e64 v75, v73, v21, s[12:13]
	v_cmp_ge_i32_e64 s[18:19], v76, v35
	v_cmp_lt_i32_e64 s[14:15], v75, v36
	s_or_b64 s[16:17], s[18:19], s[16:17]
	s_and_b64 s[14:15], s[14:15], s[16:17]
	s_xor_b64 s[16:17], s[14:15], -1
                                        ; implicit-def: $vgpr21_vgpr22
	s_and_saveexec_b64 s[18:19], s[16:17]
	s_xor_b64 s[16:17], exec, s[18:19]
; %bb.31:                               ;   in Loop: Header=BB127_2 Depth=1
	v_lshlrev_b32_e32 v21, 3, v76
	ds_read_b64 v[21:22], v21 offset:8
; %bb.32:                               ;   in Loop: Header=BB127_2 Depth=1
	s_or_saveexec_b64 s[16:17], s[16:17]
	v_mov_b32_e32 v24, v20
	v_mov_b32_e32 v23, v19
	s_xor_b64 exec, exec, s[16:17]
	s_cbranch_execz .LBB127_34
; %bb.33:                               ;   in Loop: Header=BB127_2 Depth=1
	s_waitcnt lgkmcnt(0)
	v_lshlrev_b32_e32 v21, 3, v75
	ds_read_b64 v[23:24], v21 offset:8
	v_mov_b32_e32 v22, v18
	v_mov_b32_e32 v21, v17
.LBB127_34:                             ;   in Loop: Header=BB127_2 Depth=1
	s_or_b64 exec, exec, s[16:17]
	v_cndmask_b32_e64 v18, v18, v20, s[14:15]
	v_add_u32_e32 v20, 1, v76
	v_cndmask_b32_e64 v17, v17, v19, s[14:15]
	v_add_u32_e32 v19, 1, v75
	v_cndmask_b32_e64 v20, v20, v76, s[14:15]
	v_cndmask_b32_e64 v14, v14, v16, s[12:13]
	;; [unrolled: 1-line block ×4, first 2 shown]
	s_waitcnt lgkmcnt(0)
	v_cmp_lt_i64_e64 s[12:13], v[23:24], v[21:22]
	v_cndmask_b32_e64 v19, v75, v19, s[14:15]
	v_cndmask_b32_e64 v75, v76, v75, s[14:15]
	v_cmp_ge_i32_e64 s[14:15], v20, v35
	v_cndmask_b32_e64 v10, v10, v12, s[10:11]
	v_cndmask_b32_e64 v9, v9, v11, s[10:11]
	;; [unrolled: 1-line block ×3, first 2 shown]
	v_cmp_lt_i32_e64 s[10:11], v19, v36
	s_or_b64 s[12:13], s[14:15], s[12:13]
	s_and_b64 s[10:11], s[10:11], s[12:13]
	v_cndmask_b32_e64 v19, v20, v19, s[10:11]
	; wave barrier
	ds_write2_b64 v64, v[5:6], v[7:8] offset1:1
	ds_write2_b64 v64, v[1:2], v[3:4] offset0:2 offset1:3
	v_lshlrev_b32_e32 v1, 3, v16
	v_lshlrev_b32_e32 v2, 3, v15
	;; [unrolled: 1-line block ×4, first 2 shown]
	s_waitcnt lgkmcnt(0)
	; wave barrier
	ds_read_b64 v[5:6], v1
	ds_read_b64 v[7:8], v2
	;; [unrolled: 1-line block ×4, first 2 shown]
	v_cndmask_b32_e64 v12, v22, v24, s[10:11]
	v_cndmask_b32_e64 v11, v21, v23, s[10:11]
	s_waitcnt lgkmcnt(0)
	; wave barrier
	ds_write2_b64 v64, v[9:10], v[13:14] offset1:1
	ds_write2_b64 v64, v[17:18], v[11:12] offset0:2 offset1:3
	v_mov_b32_e32 v13, v50
	s_waitcnt lgkmcnt(0)
	; wave barrier
	s_and_saveexec_b64 s[12:13], s[2:3]
	s_cbranch_execz .LBB127_38
; %bb.35:                               ;   in Loop: Header=BB127_2 Depth=1
	s_mov_b64 s[14:15], 0
	v_mov_b32_e32 v13, v50
	v_mov_b32_e32 v9, v45
.LBB127_36:                             ;   Parent Loop BB127_2 Depth=1
                                        ; =>  This Inner Loop Header: Depth=2
	v_sub_u32_e32 v10, v9, v13
	v_lshrrev_b32_e32 v10, 1, v10
	v_add_u32_e32 v12, v10, v13
	v_not_b32_e32 v11, v12
	v_lshl_add_u32 v10, v12, 3, v67
	v_lshl_add_u32 v14, v11, 3, v59
	ds_read_b64 v[10:11], v10
	ds_read_b64 v[14:15], v14
	v_add_u32_e32 v16, 1, v12
	s_waitcnt lgkmcnt(0)
	v_cmp_lt_i64_e64 s[10:11], v[14:15], v[10:11]
	v_cndmask_b32_e64 v9, v9, v12, s[10:11]
	v_cndmask_b32_e64 v13, v16, v13, s[10:11]
	v_cmp_ge_i32_e64 s[10:11], v13, v9
	s_or_b64 s[14:15], s[10:11], s[14:15]
	s_andn2_b64 exec, exec, s[14:15]
	s_cbranch_execnz .LBB127_36
; %bb.37:                               ;   in Loop: Header=BB127_2 Depth=1
	s_or_b64 exec, exec, s[14:15]
.LBB127_38:                             ;   in Loop: Header=BB127_2 Depth=1
	s_or_b64 exec, exec, s[12:13]
	v_sub_u32_e32 v71, v58, v13
	v_lshl_add_u32 v15, v13, 3, v67
	v_lshlrev_b32_e32 v17, 3, v71
	ds_read_b64 v[9:10], v15
	ds_read_b64 v[11:12], v17
	v_add_u32_e32 v72, v13, v28
	v_cmp_le_i32_e64 s[14:15], v37, v72
	v_cmp_gt_i32_e64 s[10:11], v38, v71
                                        ; implicit-def: $vgpr13_vgpr14
	s_waitcnt lgkmcnt(0)
	v_cmp_lt_i64_e64 s[12:13], v[11:12], v[9:10]
	s_or_b64 s[12:13], s[14:15], s[12:13]
	s_and_b64 s[10:11], s[10:11], s[12:13]
	s_xor_b64 s[12:13], s[10:11], -1
	s_and_saveexec_b64 s[14:15], s[12:13]
	s_xor_b64 s[12:13], exec, s[14:15]
; %bb.39:                               ;   in Loop: Header=BB127_2 Depth=1
	ds_read_b64 v[13:14], v15 offset:8
                                        ; implicit-def: $vgpr17
; %bb.40:                               ;   in Loop: Header=BB127_2 Depth=1
	s_or_saveexec_b64 s[12:13], s[12:13]
	v_mov_b32_e32 v16, v12
	v_mov_b32_e32 v15, v11
	s_xor_b64 exec, exec, s[12:13]
	s_cbranch_execz .LBB127_42
; %bb.41:                               ;   in Loop: Header=BB127_2 Depth=1
	ds_read_b64 v[15:16], v17 offset:8
	s_waitcnt lgkmcnt(1)
	v_mov_b32_e32 v14, v10
	v_mov_b32_e32 v13, v9
.LBB127_42:                             ;   in Loop: Header=BB127_2 Depth=1
	s_or_b64 exec, exec, s[12:13]
	v_add_u32_e32 v18, 1, v72
	v_add_u32_e32 v17, 1, v71
	v_cndmask_b32_e64 v74, v18, v72, s[10:11]
	s_waitcnt lgkmcnt(0)
	v_cmp_lt_i64_e64 s[14:15], v[15:16], v[13:14]
	v_cndmask_b32_e64 v73, v71, v17, s[10:11]
	v_cmp_ge_i32_e64 s[16:17], v74, v37
	v_cmp_lt_i32_e64 s[12:13], v73, v38
	s_or_b64 s[14:15], s[16:17], s[14:15]
	s_and_b64 s[12:13], s[12:13], s[14:15]
	s_xor_b64 s[14:15], s[12:13], -1
                                        ; implicit-def: $vgpr17_vgpr18
	s_and_saveexec_b64 s[16:17], s[14:15]
	s_xor_b64 s[14:15], exec, s[16:17]
; %bb.43:                               ;   in Loop: Header=BB127_2 Depth=1
	v_lshlrev_b32_e32 v17, 3, v74
	ds_read_b64 v[17:18], v17 offset:8
; %bb.44:                               ;   in Loop: Header=BB127_2 Depth=1
	s_or_saveexec_b64 s[14:15], s[14:15]
	v_mov_b32_e32 v20, v16
	v_mov_b32_e32 v19, v15
	s_xor_b64 exec, exec, s[14:15]
	s_cbranch_execz .LBB127_46
; %bb.45:                               ;   in Loop: Header=BB127_2 Depth=1
	s_waitcnt lgkmcnt(0)
	v_lshlrev_b32_e32 v17, 3, v73
	ds_read_b64 v[19:20], v17 offset:8
	v_mov_b32_e32 v18, v14
	v_mov_b32_e32 v17, v13
.LBB127_46:                             ;   in Loop: Header=BB127_2 Depth=1
	s_or_b64 exec, exec, s[14:15]
	v_add_u32_e32 v22, 1, v74
	v_add_u32_e32 v21, 1, v73
	v_cndmask_b32_e64 v76, v22, v74, s[12:13]
	s_waitcnt lgkmcnt(0)
	v_cmp_lt_i64_e64 s[16:17], v[19:20], v[17:18]
	v_cndmask_b32_e64 v75, v73, v21, s[12:13]
	v_cmp_ge_i32_e64 s[18:19], v76, v37
	v_cmp_lt_i32_e64 s[14:15], v75, v38
	s_or_b64 s[16:17], s[18:19], s[16:17]
	s_and_b64 s[14:15], s[14:15], s[16:17]
	s_xor_b64 s[16:17], s[14:15], -1
                                        ; implicit-def: $vgpr21_vgpr22
	s_and_saveexec_b64 s[18:19], s[16:17]
	s_xor_b64 s[16:17], exec, s[18:19]
; %bb.47:                               ;   in Loop: Header=BB127_2 Depth=1
	v_lshlrev_b32_e32 v21, 3, v76
	ds_read_b64 v[21:22], v21 offset:8
; %bb.48:                               ;   in Loop: Header=BB127_2 Depth=1
	s_or_saveexec_b64 s[16:17], s[16:17]
	v_mov_b32_e32 v24, v20
	v_mov_b32_e32 v23, v19
	s_xor_b64 exec, exec, s[16:17]
	s_cbranch_execz .LBB127_50
; %bb.49:                               ;   in Loop: Header=BB127_2 Depth=1
	s_waitcnt lgkmcnt(0)
	v_lshlrev_b32_e32 v21, 3, v75
	ds_read_b64 v[23:24], v21 offset:8
	v_mov_b32_e32 v22, v18
	v_mov_b32_e32 v21, v17
.LBB127_50:                             ;   in Loop: Header=BB127_2 Depth=1
	s_or_b64 exec, exec, s[16:17]
	v_cndmask_b32_e64 v18, v18, v20, s[14:15]
	v_add_u32_e32 v20, 1, v76
	v_cndmask_b32_e64 v17, v17, v19, s[14:15]
	v_add_u32_e32 v19, 1, v75
	v_cndmask_b32_e64 v20, v20, v76, s[14:15]
	v_cndmask_b32_e64 v14, v14, v16, s[12:13]
	v_cndmask_b32_e64 v13, v13, v15, s[12:13]
	v_cndmask_b32_e64 v15, v74, v73, s[12:13]
	s_waitcnt lgkmcnt(0)
	v_cmp_lt_i64_e64 s[12:13], v[23:24], v[21:22]
	v_cndmask_b32_e64 v19, v75, v19, s[14:15]
	v_cndmask_b32_e64 v75, v76, v75, s[14:15]
	v_cmp_ge_i32_e64 s[14:15], v20, v37
	v_cndmask_b32_e64 v10, v10, v12, s[10:11]
	v_cndmask_b32_e64 v9, v9, v11, s[10:11]
	;; [unrolled: 1-line block ×3, first 2 shown]
	v_cmp_lt_i32_e64 s[10:11], v19, v38
	s_or_b64 s[12:13], s[14:15], s[12:13]
	s_and_b64 s[10:11], s[10:11], s[12:13]
	v_cndmask_b32_e64 v19, v20, v19, s[10:11]
	; wave barrier
	ds_write2_b64 v64, v[5:6], v[7:8] offset1:1
	ds_write2_b64 v64, v[1:2], v[3:4] offset0:2 offset1:3
	v_lshlrev_b32_e32 v1, 3, v16
	v_lshlrev_b32_e32 v2, 3, v15
	;; [unrolled: 1-line block ×4, first 2 shown]
	s_waitcnt lgkmcnt(0)
	; wave barrier
	ds_read_b64 v[5:6], v1
	ds_read_b64 v[7:8], v2
	;; [unrolled: 1-line block ×4, first 2 shown]
	v_cndmask_b32_e64 v12, v22, v24, s[10:11]
	v_cndmask_b32_e64 v11, v21, v23, s[10:11]
	s_waitcnt lgkmcnt(0)
	; wave barrier
	ds_write2_b64 v64, v[9:10], v[13:14] offset1:1
	ds_write2_b64 v64, v[17:18], v[11:12] offset0:2 offset1:3
	v_mov_b32_e32 v13, v51
	s_waitcnt lgkmcnt(0)
	; wave barrier
	s_and_saveexec_b64 s[12:13], s[4:5]
	s_cbranch_execz .LBB127_54
; %bb.51:                               ;   in Loop: Header=BB127_2 Depth=1
	s_mov_b64 s[14:15], 0
	v_mov_b32_e32 v13, v51
	v_mov_b32_e32 v9, v46
.LBB127_52:                             ;   Parent Loop BB127_2 Depth=1
                                        ; =>  This Inner Loop Header: Depth=2
	v_sub_u32_e32 v10, v9, v13
	v_lshrrev_b32_e32 v10, 1, v10
	v_add_u32_e32 v12, v10, v13
	v_not_b32_e32 v11, v12
	v_lshl_add_u32 v10, v12, 3, v68
	v_lshl_add_u32 v14, v11, 3, v61
	ds_read_b64 v[10:11], v10
	ds_read_b64 v[14:15], v14
	v_add_u32_e32 v16, 1, v12
	s_waitcnt lgkmcnt(0)
	v_cmp_lt_i64_e64 s[10:11], v[14:15], v[10:11]
	v_cndmask_b32_e64 v9, v9, v12, s[10:11]
	v_cndmask_b32_e64 v13, v16, v13, s[10:11]
	v_cmp_ge_i32_e64 s[10:11], v13, v9
	s_or_b64 s[14:15], s[10:11], s[14:15]
	s_andn2_b64 exec, exec, s[14:15]
	s_cbranch_execnz .LBB127_52
; %bb.53:                               ;   in Loop: Header=BB127_2 Depth=1
	s_or_b64 exec, exec, s[14:15]
.LBB127_54:                             ;   in Loop: Header=BB127_2 Depth=1
	s_or_b64 exec, exec, s[12:13]
	v_sub_u32_e32 v71, v60, v13
	v_lshl_add_u32 v15, v13, 3, v68
	v_lshlrev_b32_e32 v17, 3, v71
	ds_read_b64 v[9:10], v15
	ds_read_b64 v[11:12], v17
	v_add_u32_e32 v72, v13, v29
	v_cmp_le_i32_e64 s[14:15], v39, v72
	v_cmp_gt_i32_e64 s[10:11], v40, v71
                                        ; implicit-def: $vgpr13_vgpr14
	s_waitcnt lgkmcnt(0)
	v_cmp_lt_i64_e64 s[12:13], v[11:12], v[9:10]
	s_or_b64 s[12:13], s[14:15], s[12:13]
	s_and_b64 s[10:11], s[10:11], s[12:13]
	s_xor_b64 s[12:13], s[10:11], -1
	s_and_saveexec_b64 s[14:15], s[12:13]
	s_xor_b64 s[12:13], exec, s[14:15]
; %bb.55:                               ;   in Loop: Header=BB127_2 Depth=1
	ds_read_b64 v[13:14], v15 offset:8
                                        ; implicit-def: $vgpr17
; %bb.56:                               ;   in Loop: Header=BB127_2 Depth=1
	s_or_saveexec_b64 s[12:13], s[12:13]
	v_mov_b32_e32 v16, v12
	v_mov_b32_e32 v15, v11
	s_xor_b64 exec, exec, s[12:13]
	s_cbranch_execz .LBB127_58
; %bb.57:                               ;   in Loop: Header=BB127_2 Depth=1
	ds_read_b64 v[15:16], v17 offset:8
	s_waitcnt lgkmcnt(1)
	v_mov_b32_e32 v14, v10
	v_mov_b32_e32 v13, v9
.LBB127_58:                             ;   in Loop: Header=BB127_2 Depth=1
	s_or_b64 exec, exec, s[12:13]
	v_add_u32_e32 v18, 1, v72
	v_add_u32_e32 v17, 1, v71
	v_cndmask_b32_e64 v74, v18, v72, s[10:11]
	s_waitcnt lgkmcnt(0)
	v_cmp_lt_i64_e64 s[14:15], v[15:16], v[13:14]
	v_cndmask_b32_e64 v73, v71, v17, s[10:11]
	v_cmp_ge_i32_e64 s[16:17], v74, v39
	v_cmp_lt_i32_e64 s[12:13], v73, v40
	s_or_b64 s[14:15], s[16:17], s[14:15]
	s_and_b64 s[12:13], s[12:13], s[14:15]
	s_xor_b64 s[14:15], s[12:13], -1
                                        ; implicit-def: $vgpr17_vgpr18
	s_and_saveexec_b64 s[16:17], s[14:15]
	s_xor_b64 s[14:15], exec, s[16:17]
; %bb.59:                               ;   in Loop: Header=BB127_2 Depth=1
	v_lshlrev_b32_e32 v17, 3, v74
	ds_read_b64 v[17:18], v17 offset:8
; %bb.60:                               ;   in Loop: Header=BB127_2 Depth=1
	s_or_saveexec_b64 s[14:15], s[14:15]
	v_mov_b32_e32 v20, v16
	v_mov_b32_e32 v19, v15
	s_xor_b64 exec, exec, s[14:15]
	s_cbranch_execz .LBB127_62
; %bb.61:                               ;   in Loop: Header=BB127_2 Depth=1
	s_waitcnt lgkmcnt(0)
	v_lshlrev_b32_e32 v17, 3, v73
	ds_read_b64 v[19:20], v17 offset:8
	v_mov_b32_e32 v18, v14
	v_mov_b32_e32 v17, v13
.LBB127_62:                             ;   in Loop: Header=BB127_2 Depth=1
	s_or_b64 exec, exec, s[14:15]
	v_add_u32_e32 v22, 1, v74
	v_add_u32_e32 v21, 1, v73
	v_cndmask_b32_e64 v76, v22, v74, s[12:13]
	s_waitcnt lgkmcnt(0)
	v_cmp_lt_i64_e64 s[16:17], v[19:20], v[17:18]
	v_cndmask_b32_e64 v75, v73, v21, s[12:13]
	v_cmp_ge_i32_e64 s[18:19], v76, v39
	v_cmp_lt_i32_e64 s[14:15], v75, v40
	s_or_b64 s[16:17], s[18:19], s[16:17]
	s_and_b64 s[14:15], s[14:15], s[16:17]
	s_xor_b64 s[16:17], s[14:15], -1
                                        ; implicit-def: $vgpr21_vgpr22
	s_and_saveexec_b64 s[18:19], s[16:17]
	s_xor_b64 s[16:17], exec, s[18:19]
; %bb.63:                               ;   in Loop: Header=BB127_2 Depth=1
	v_lshlrev_b32_e32 v21, 3, v76
	ds_read_b64 v[21:22], v21 offset:8
; %bb.64:                               ;   in Loop: Header=BB127_2 Depth=1
	s_or_saveexec_b64 s[16:17], s[16:17]
	v_mov_b32_e32 v24, v20
	v_mov_b32_e32 v23, v19
	s_xor_b64 exec, exec, s[16:17]
	s_cbranch_execz .LBB127_66
; %bb.65:                               ;   in Loop: Header=BB127_2 Depth=1
	s_waitcnt lgkmcnt(0)
	v_lshlrev_b32_e32 v21, 3, v75
	ds_read_b64 v[23:24], v21 offset:8
	v_mov_b32_e32 v22, v18
	v_mov_b32_e32 v21, v17
.LBB127_66:                             ;   in Loop: Header=BB127_2 Depth=1
	s_or_b64 exec, exec, s[16:17]
	v_cndmask_b32_e64 v18, v18, v20, s[14:15]
	v_add_u32_e32 v20, 1, v76
	v_cndmask_b32_e64 v17, v17, v19, s[14:15]
	v_add_u32_e32 v19, 1, v75
	v_cndmask_b32_e64 v20, v20, v76, s[14:15]
	v_cndmask_b32_e64 v14, v14, v16, s[12:13]
	;; [unrolled: 1-line block ×4, first 2 shown]
	s_waitcnt lgkmcnt(0)
	v_cmp_lt_i64_e64 s[12:13], v[23:24], v[21:22]
	v_cndmask_b32_e64 v19, v75, v19, s[14:15]
	v_cndmask_b32_e64 v75, v76, v75, s[14:15]
	v_cmp_ge_i32_e64 s[14:15], v20, v39
	v_cndmask_b32_e64 v10, v10, v12, s[10:11]
	v_cndmask_b32_e64 v9, v9, v11, s[10:11]
	;; [unrolled: 1-line block ×3, first 2 shown]
	v_cmp_lt_i32_e64 s[10:11], v19, v40
	s_or_b64 s[12:13], s[14:15], s[12:13]
	s_and_b64 s[10:11], s[10:11], s[12:13]
	v_cndmask_b32_e64 v19, v20, v19, s[10:11]
	; wave barrier
	ds_write2_b64 v64, v[5:6], v[7:8] offset1:1
	ds_write2_b64 v64, v[1:2], v[3:4] offset0:2 offset1:3
	v_lshlrev_b32_e32 v1, 3, v16
	v_lshlrev_b32_e32 v2, 3, v15
	;; [unrolled: 1-line block ×4, first 2 shown]
	s_waitcnt lgkmcnt(0)
	; wave barrier
	ds_read_b64 v[5:6], v1
	ds_read_b64 v[7:8], v2
	;; [unrolled: 1-line block ×4, first 2 shown]
	v_cndmask_b32_e64 v12, v22, v24, s[10:11]
	v_cndmask_b32_e64 v11, v21, v23, s[10:11]
	s_waitcnt lgkmcnt(0)
	; wave barrier
	ds_write2_b64 v64, v[9:10], v[13:14] offset1:1
	ds_write2_b64 v64, v[17:18], v[11:12] offset0:2 offset1:3
	v_mov_b32_e32 v13, v52
	s_waitcnt lgkmcnt(0)
	; wave barrier
	s_and_saveexec_b64 s[12:13], s[6:7]
	s_cbranch_execz .LBB127_70
; %bb.67:                               ;   in Loop: Header=BB127_2 Depth=1
	s_mov_b64 s[14:15], 0
	v_mov_b32_e32 v13, v52
	v_mov_b32_e32 v9, v47
.LBB127_68:                             ;   Parent Loop BB127_2 Depth=1
                                        ; =>  This Inner Loop Header: Depth=2
	v_sub_u32_e32 v10, v9, v13
	v_lshrrev_b32_e32 v10, 1, v10
	v_add_u32_e32 v12, v10, v13
	v_not_b32_e32 v11, v12
	v_lshl_add_u32 v10, v12, 3, v69
	v_lshl_add_u32 v14, v11, 3, v63
	ds_read_b64 v[10:11], v10
	ds_read_b64 v[14:15], v14
	v_add_u32_e32 v16, 1, v12
	s_waitcnt lgkmcnt(0)
	v_cmp_lt_i64_e64 s[10:11], v[14:15], v[10:11]
	v_cndmask_b32_e64 v9, v9, v12, s[10:11]
	v_cndmask_b32_e64 v13, v16, v13, s[10:11]
	v_cmp_ge_i32_e64 s[10:11], v13, v9
	s_or_b64 s[14:15], s[10:11], s[14:15]
	s_andn2_b64 exec, exec, s[14:15]
	s_cbranch_execnz .LBB127_68
; %bb.69:                               ;   in Loop: Header=BB127_2 Depth=1
	s_or_b64 exec, exec, s[14:15]
.LBB127_70:                             ;   in Loop: Header=BB127_2 Depth=1
	s_or_b64 exec, exec, s[12:13]
	v_sub_u32_e32 v71, v62, v13
	v_lshl_add_u32 v15, v13, 3, v69
	v_lshlrev_b32_e32 v17, 3, v71
	ds_read_b64 v[9:10], v15
	ds_read_b64 v[11:12], v17
	v_add_u32_e32 v72, v13, v30
	v_cmp_le_i32_e64 s[14:15], v41, v72
	v_cmp_gt_i32_e64 s[10:11], v42, v71
                                        ; implicit-def: $vgpr13_vgpr14
	s_waitcnt lgkmcnt(0)
	v_cmp_lt_i64_e64 s[12:13], v[11:12], v[9:10]
	s_or_b64 s[12:13], s[14:15], s[12:13]
	s_and_b64 s[10:11], s[10:11], s[12:13]
	s_xor_b64 s[12:13], s[10:11], -1
	s_and_saveexec_b64 s[14:15], s[12:13]
	s_xor_b64 s[12:13], exec, s[14:15]
; %bb.71:                               ;   in Loop: Header=BB127_2 Depth=1
	ds_read_b64 v[13:14], v15 offset:8
                                        ; implicit-def: $vgpr17
; %bb.72:                               ;   in Loop: Header=BB127_2 Depth=1
	s_or_saveexec_b64 s[12:13], s[12:13]
	v_mov_b32_e32 v16, v12
	v_mov_b32_e32 v15, v11
	s_xor_b64 exec, exec, s[12:13]
	s_cbranch_execz .LBB127_74
; %bb.73:                               ;   in Loop: Header=BB127_2 Depth=1
	ds_read_b64 v[15:16], v17 offset:8
	s_waitcnt lgkmcnt(1)
	v_mov_b32_e32 v14, v10
	v_mov_b32_e32 v13, v9
.LBB127_74:                             ;   in Loop: Header=BB127_2 Depth=1
	s_or_b64 exec, exec, s[12:13]
	v_add_u32_e32 v18, 1, v72
	v_add_u32_e32 v17, 1, v71
	v_cndmask_b32_e64 v74, v18, v72, s[10:11]
	s_waitcnt lgkmcnt(0)
	v_cmp_lt_i64_e64 s[14:15], v[15:16], v[13:14]
	v_cndmask_b32_e64 v73, v71, v17, s[10:11]
	v_cmp_ge_i32_e64 s[16:17], v74, v41
	v_cmp_lt_i32_e64 s[12:13], v73, v42
	s_or_b64 s[14:15], s[16:17], s[14:15]
	s_and_b64 s[12:13], s[12:13], s[14:15]
	s_xor_b64 s[14:15], s[12:13], -1
                                        ; implicit-def: $vgpr17_vgpr18
	s_and_saveexec_b64 s[16:17], s[14:15]
	s_xor_b64 s[14:15], exec, s[16:17]
; %bb.75:                               ;   in Loop: Header=BB127_2 Depth=1
	v_lshlrev_b32_e32 v17, 3, v74
	ds_read_b64 v[17:18], v17 offset:8
; %bb.76:                               ;   in Loop: Header=BB127_2 Depth=1
	s_or_saveexec_b64 s[14:15], s[14:15]
	v_mov_b32_e32 v20, v16
	v_mov_b32_e32 v19, v15
	s_xor_b64 exec, exec, s[14:15]
	s_cbranch_execz .LBB127_78
; %bb.77:                               ;   in Loop: Header=BB127_2 Depth=1
	s_waitcnt lgkmcnt(0)
	v_lshlrev_b32_e32 v17, 3, v73
	ds_read_b64 v[19:20], v17 offset:8
	v_mov_b32_e32 v18, v14
	v_mov_b32_e32 v17, v13
.LBB127_78:                             ;   in Loop: Header=BB127_2 Depth=1
	s_or_b64 exec, exec, s[14:15]
	v_add_u32_e32 v22, 1, v74
	v_add_u32_e32 v21, 1, v73
	v_cndmask_b32_e64 v76, v22, v74, s[12:13]
	s_waitcnt lgkmcnt(0)
	v_cmp_lt_i64_e64 s[16:17], v[19:20], v[17:18]
	v_cndmask_b32_e64 v75, v73, v21, s[12:13]
	v_cmp_ge_i32_e64 s[18:19], v76, v41
	v_cmp_lt_i32_e64 s[14:15], v75, v42
	s_or_b64 s[16:17], s[18:19], s[16:17]
	s_and_b64 s[14:15], s[14:15], s[16:17]
	s_xor_b64 s[16:17], s[14:15], -1
                                        ; implicit-def: $vgpr21_vgpr22
	s_and_saveexec_b64 s[18:19], s[16:17]
	s_xor_b64 s[16:17], exec, s[18:19]
; %bb.79:                               ;   in Loop: Header=BB127_2 Depth=1
	v_lshlrev_b32_e32 v21, 3, v76
	ds_read_b64 v[21:22], v21 offset:8
; %bb.80:                               ;   in Loop: Header=BB127_2 Depth=1
	s_or_saveexec_b64 s[16:17], s[16:17]
	v_mov_b32_e32 v24, v20
	v_mov_b32_e32 v23, v19
	s_xor_b64 exec, exec, s[16:17]
	s_cbranch_execz .LBB127_82
; %bb.81:                               ;   in Loop: Header=BB127_2 Depth=1
	s_waitcnt lgkmcnt(0)
	v_lshlrev_b32_e32 v21, 3, v75
	ds_read_b64 v[23:24], v21 offset:8
	v_mov_b32_e32 v22, v18
	v_mov_b32_e32 v21, v17
.LBB127_82:                             ;   in Loop: Header=BB127_2 Depth=1
	s_or_b64 exec, exec, s[16:17]
	v_cndmask_b32_e64 v18, v18, v20, s[14:15]
	v_add_u32_e32 v20, 1, v76
	v_cndmask_b32_e64 v17, v17, v19, s[14:15]
	v_add_u32_e32 v19, 1, v75
	v_cndmask_b32_e64 v20, v20, v76, s[14:15]
	v_cndmask_b32_e64 v14, v14, v16, s[12:13]
	;; [unrolled: 1-line block ×4, first 2 shown]
	s_waitcnt lgkmcnt(0)
	v_cmp_lt_i64_e64 s[12:13], v[23:24], v[21:22]
	v_cndmask_b32_e64 v19, v75, v19, s[14:15]
	v_cndmask_b32_e64 v75, v76, v75, s[14:15]
	v_cmp_ge_i32_e64 s[14:15], v20, v41
	v_cndmask_b32_e64 v10, v10, v12, s[10:11]
	v_cndmask_b32_e64 v9, v9, v11, s[10:11]
	;; [unrolled: 1-line block ×3, first 2 shown]
	v_cmp_lt_i32_e64 s[10:11], v19, v42
	s_or_b64 s[12:13], s[14:15], s[12:13]
	s_and_b64 s[10:11], s[10:11], s[12:13]
	v_cndmask_b32_e64 v19, v20, v19, s[10:11]
	; wave barrier
	ds_write2_b64 v64, v[5:6], v[7:8] offset1:1
	ds_write2_b64 v64, v[1:2], v[3:4] offset0:2 offset1:3
	v_lshlrev_b32_e32 v1, 3, v16
	v_lshlrev_b32_e32 v2, 3, v15
	;; [unrolled: 1-line block ×4, first 2 shown]
	s_waitcnt lgkmcnt(0)
	; wave barrier
	ds_read_b64 v[5:6], v1
	ds_read_b64 v[7:8], v2
	;; [unrolled: 1-line block ×4, first 2 shown]
	v_mov_b32_e32 v71, v31
	v_cndmask_b32_e64 v12, v22, v24, s[10:11]
	v_cndmask_b32_e64 v11, v21, v23, s[10:11]
	s_waitcnt lgkmcnt(0)
	; wave barrier
	ds_write2_b64 v64, v[9:10], v[13:14] offset1:1
	ds_write2_b64 v64, v[17:18], v[11:12] offset0:2 offset1:3
	s_waitcnt lgkmcnt(0)
	; wave barrier
	s_and_saveexec_b64 s[12:13], s[8:9]
	s_cbranch_execz .LBB127_86
; %bb.83:                               ;   in Loop: Header=BB127_2 Depth=1
	s_mov_b64 s[14:15], 0
	v_mov_b32_e32 v71, v31
	v_mov_b32_e32 v9, v32
.LBB127_84:                             ;   Parent Loop BB127_2 Depth=1
                                        ; =>  This Inner Loop Header: Depth=2
	v_sub_u32_e32 v10, v9, v71
	v_lshrrev_b32_e32 v10, 1, v10
	v_add_u32_e32 v14, v10, v71
	v_not_b32_e32 v11, v14
	v_lshlrev_b32_e32 v10, 3, v14
	v_lshl_add_u32 v12, v11, 3, v70
	ds_read_b64 v[10:11], v10
	ds_read_b64 v[12:13], v12
	v_add_u32_e32 v15, 1, v14
	s_waitcnt lgkmcnt(0)
	v_cmp_lt_i64_e64 s[10:11], v[12:13], v[10:11]
	v_cndmask_b32_e64 v9, v9, v14, s[10:11]
	v_cndmask_b32_e64 v71, v15, v71, s[10:11]
	v_cmp_ge_i32_e64 s[10:11], v71, v9
	s_or_b64 s[14:15], s[10:11], s[14:15]
	s_andn2_b64 exec, exec, s[14:15]
	s_cbranch_execnz .LBB127_84
; %bb.85:                               ;   in Loop: Header=BB127_2 Depth=1
	s_or_b64 exec, exec, s[14:15]
.LBB127_86:                             ;   in Loop: Header=BB127_2 Depth=1
	s_or_b64 exec, exec, s[12:13]
	v_sub_u32_e32 v72, v53, v71
	v_lshlrev_b32_e32 v16, 3, v71
	v_lshlrev_b32_e32 v15, 3, v72
	ds_read_b64 v[9:10], v16
	ds_read_b64 v[11:12], v15
	v_cmp_le_i32_e64 s[14:15], v25, v71
	v_cmp_gt_i32_e64 s[10:11], s33, v72
                                        ; implicit-def: $vgpr13_vgpr14
	s_waitcnt lgkmcnt(0)
	v_cmp_lt_i64_e64 s[12:13], v[11:12], v[9:10]
	s_or_b64 s[12:13], s[14:15], s[12:13]
	s_and_b64 s[10:11], s[10:11], s[12:13]
	s_xor_b64 s[12:13], s[10:11], -1
	s_and_saveexec_b64 s[14:15], s[12:13]
	s_xor_b64 s[12:13], exec, s[14:15]
; %bb.87:                               ;   in Loop: Header=BB127_2 Depth=1
	ds_read_b64 v[13:14], v16 offset:8
                                        ; implicit-def: $vgpr15
; %bb.88:                               ;   in Loop: Header=BB127_2 Depth=1
	s_or_saveexec_b64 s[12:13], s[12:13]
	v_mov_b32_e32 v20, v12
	v_mov_b32_e32 v19, v11
	s_xor_b64 exec, exec, s[12:13]
	s_cbranch_execz .LBB127_90
; %bb.89:                               ;   in Loop: Header=BB127_2 Depth=1
	ds_read_b64 v[19:20], v15 offset:8
	s_waitcnt lgkmcnt(1)
	v_mov_b32_e32 v14, v10
	v_mov_b32_e32 v13, v9
.LBB127_90:                             ;   in Loop: Header=BB127_2 Depth=1
	s_or_b64 exec, exec, s[12:13]
	v_add_u32_e32 v16, 1, v71
	v_add_u32_e32 v15, 1, v72
	v_cndmask_b32_e64 v74, v16, v71, s[10:11]
	s_waitcnt lgkmcnt(0)
	v_cmp_lt_i64_e64 s[14:15], v[19:20], v[13:14]
	v_cndmask_b32_e64 v73, v72, v15, s[10:11]
	v_cmp_ge_i32_e64 s[16:17], v74, v25
	v_cmp_gt_i32_e64 s[12:13], s33, v73
	s_or_b64 s[14:15], s[16:17], s[14:15]
	s_and_b64 s[12:13], s[12:13], s[14:15]
	s_xor_b64 s[14:15], s[12:13], -1
                                        ; implicit-def: $vgpr15_vgpr16
	s_and_saveexec_b64 s[16:17], s[14:15]
	s_xor_b64 s[14:15], exec, s[16:17]
; %bb.91:                               ;   in Loop: Header=BB127_2 Depth=1
	v_lshlrev_b32_e32 v15, 3, v74
	ds_read_b64 v[15:16], v15 offset:8
; %bb.92:                               ;   in Loop: Header=BB127_2 Depth=1
	s_or_saveexec_b64 s[14:15], s[14:15]
	v_mov_b32_e32 v17, v19
	v_mov_b32_e32 v18, v20
	s_xor_b64 exec, exec, s[14:15]
	s_cbranch_execz .LBB127_94
; %bb.93:                               ;   in Loop: Header=BB127_2 Depth=1
	s_waitcnt lgkmcnt(0)
	v_lshlrev_b32_e32 v15, 3, v73
	ds_read_b64 v[17:18], v15 offset:8
	v_mov_b32_e32 v16, v14
	v_mov_b32_e32 v15, v13
.LBB127_94:                             ;   in Loop: Header=BB127_2 Depth=1
	s_or_b64 exec, exec, s[14:15]
	v_add_u32_e32 v22, 1, v74
	v_add_u32_e32 v21, 1, v73
	v_cndmask_b32_e64 v78, v22, v74, s[12:13]
	s_waitcnt lgkmcnt(0)
	v_cmp_lt_i64_e64 s[16:17], v[17:18], v[15:16]
	v_cndmask_b32_e64 v75, v73, v21, s[12:13]
	v_cmp_ge_i32_e64 s[18:19], v78, v25
	v_cmp_gt_i32_e64 s[14:15], s33, v75
	s_or_b64 s[16:17], s[18:19], s[16:17]
	s_and_b64 s[14:15], s[14:15], s[16:17]
	s_xor_b64 s[16:17], s[14:15], -1
                                        ; implicit-def: $vgpr21_vgpr22
                                        ; implicit-def: $vgpr77
	s_and_saveexec_b64 s[18:19], s[16:17]
	s_xor_b64 s[16:17], exec, s[18:19]
; %bb.95:                               ;   in Loop: Header=BB127_2 Depth=1
	v_lshlrev_b32_e32 v21, 3, v78
	ds_read_b64 v[21:22], v21 offset:8
	v_add_u32_e32 v77, 1, v78
; %bb.96:                               ;   in Loop: Header=BB127_2 Depth=1
	s_or_saveexec_b64 s[16:17], s[16:17]
	v_mov_b32_e32 v24, v18
	v_mov_b32_e32 v76, v78
	;; [unrolled: 1-line block ×3, first 2 shown]
	s_xor_b64 exec, exec, s[16:17]
	s_cbranch_execz .LBB127_1
; %bb.97:                               ;   in Loop: Header=BB127_2 Depth=1
	s_waitcnt lgkmcnt(0)
	v_lshlrev_b32_e32 v22, 3, v75
	ds_read_b64 v[23:24], v22 offset:8
	v_add_u32_e32 v21, 1, v75
	v_mov_b32_e32 v76, v75
	v_mov_b32_e32 v75, v21
	;; [unrolled: 1-line block ×5, first 2 shown]
	s_branch .LBB127_1
.LBB127_98:
	s_waitcnt lgkmcnt(3)
	v_add_co_u32_e32 v7, vcc, v11, v7
	v_addc_co_u32_e32 v8, vcc, v12, v8, vcc
	s_waitcnt lgkmcnt(2)
	v_add_co_u32_e32 v5, vcc, v13, v5
	v_addc_co_u32_e32 v6, vcc, v14, v6, vcc
	;; [unrolled: 3-line block ×3, first 2 shown]
	s_add_u32 s0, s38, s34
	s_waitcnt lgkmcnt(0)
	v_add_co_u32_e32 v1, vcc, v15, v1
	s_addc_u32 s1, s39, s35
	v_lshlrev_b32_e32 v0, 3, v0
	v_addc_co_u32_e32 v2, vcc, v16, v2, vcc
	global_store_dwordx2 v0, v[7:8], s[0:1]
	global_store_dwordx2 v0, v[5:6], s[0:1] offset:512
	global_store_dwordx2 v0, v[3:4], s[0:1] offset:1024
	;; [unrolled: 1-line block ×3, first 2 shown]
	s_endpgm
	.section	.rodata,"a",@progbits
	.p2align	6, 0x0
	.amdhsa_kernel _Z17sort_pairs_kernelIxLj64ELj4EN10test_utils4lessELj10EEvPKT_PS2_T2_
		.amdhsa_group_segment_fixed_size 2056
		.amdhsa_private_segment_fixed_size 0
		.amdhsa_kernarg_size 20
		.amdhsa_user_sgpr_count 6
		.amdhsa_user_sgpr_private_segment_buffer 1
		.amdhsa_user_sgpr_dispatch_ptr 0
		.amdhsa_user_sgpr_queue_ptr 0
		.amdhsa_user_sgpr_kernarg_segment_ptr 1
		.amdhsa_user_sgpr_dispatch_id 0
		.amdhsa_user_sgpr_flat_scratch_init 0
		.amdhsa_user_sgpr_private_segment_size 0
		.amdhsa_uses_dynamic_stack 0
		.amdhsa_system_sgpr_private_segment_wavefront_offset 0
		.amdhsa_system_sgpr_workgroup_id_x 1
		.amdhsa_system_sgpr_workgroup_id_y 0
		.amdhsa_system_sgpr_workgroup_id_z 0
		.amdhsa_system_sgpr_workgroup_info 0
		.amdhsa_system_vgpr_workitem_id 0
		.amdhsa_next_free_vgpr 79
		.amdhsa_next_free_sgpr 61
		.amdhsa_reserve_vcc 1
		.amdhsa_reserve_flat_scratch 0
		.amdhsa_float_round_mode_32 0
		.amdhsa_float_round_mode_16_64 0
		.amdhsa_float_denorm_mode_32 3
		.amdhsa_float_denorm_mode_16_64 3
		.amdhsa_dx10_clamp 1
		.amdhsa_ieee_mode 1
		.amdhsa_fp16_overflow 0
		.amdhsa_exception_fp_ieee_invalid_op 0
		.amdhsa_exception_fp_denorm_src 0
		.amdhsa_exception_fp_ieee_div_zero 0
		.amdhsa_exception_fp_ieee_overflow 0
		.amdhsa_exception_fp_ieee_underflow 0
		.amdhsa_exception_fp_ieee_inexact 0
		.amdhsa_exception_int_div_zero 0
	.end_amdhsa_kernel
	.section	.text._Z17sort_pairs_kernelIxLj64ELj4EN10test_utils4lessELj10EEvPKT_PS2_T2_,"axG",@progbits,_Z17sort_pairs_kernelIxLj64ELj4EN10test_utils4lessELj10EEvPKT_PS2_T2_,comdat
.Lfunc_end127:
	.size	_Z17sort_pairs_kernelIxLj64ELj4EN10test_utils4lessELj10EEvPKT_PS2_T2_, .Lfunc_end127-_Z17sort_pairs_kernelIxLj64ELj4EN10test_utils4lessELj10EEvPKT_PS2_T2_
                                        ; -- End function
	.set _Z17sort_pairs_kernelIxLj64ELj4EN10test_utils4lessELj10EEvPKT_PS2_T2_.num_vgpr, 79
	.set _Z17sort_pairs_kernelIxLj64ELj4EN10test_utils4lessELj10EEvPKT_PS2_T2_.num_agpr, 0
	.set _Z17sort_pairs_kernelIxLj64ELj4EN10test_utils4lessELj10EEvPKT_PS2_T2_.numbered_sgpr, 42
	.set _Z17sort_pairs_kernelIxLj64ELj4EN10test_utils4lessELj10EEvPKT_PS2_T2_.num_named_barrier, 0
	.set _Z17sort_pairs_kernelIxLj64ELj4EN10test_utils4lessELj10EEvPKT_PS2_T2_.private_seg_size, 0
	.set _Z17sort_pairs_kernelIxLj64ELj4EN10test_utils4lessELj10EEvPKT_PS2_T2_.uses_vcc, 1
	.set _Z17sort_pairs_kernelIxLj64ELj4EN10test_utils4lessELj10EEvPKT_PS2_T2_.uses_flat_scratch, 0
	.set _Z17sort_pairs_kernelIxLj64ELj4EN10test_utils4lessELj10EEvPKT_PS2_T2_.has_dyn_sized_stack, 0
	.set _Z17sort_pairs_kernelIxLj64ELj4EN10test_utils4lessELj10EEvPKT_PS2_T2_.has_recursion, 0
	.set _Z17sort_pairs_kernelIxLj64ELj4EN10test_utils4lessELj10EEvPKT_PS2_T2_.has_indirect_call, 0
	.section	.AMDGPU.csdata,"",@progbits
; Kernel info:
; codeLenInByte = 5776
; TotalNumSgprs: 46
; NumVgprs: 79
; ScratchSize: 0
; MemoryBound: 0
; FloatMode: 240
; IeeeMode: 1
; LDSByteSize: 2056 bytes/workgroup (compile time only)
; SGPRBlocks: 8
; VGPRBlocks: 19
; NumSGPRsForWavesPerEU: 65
; NumVGPRsForWavesPerEU: 79
; Occupancy: 3
; WaveLimiterHint : 1
; COMPUTE_PGM_RSRC2:SCRATCH_EN: 0
; COMPUTE_PGM_RSRC2:USER_SGPR: 6
; COMPUTE_PGM_RSRC2:TRAP_HANDLER: 0
; COMPUTE_PGM_RSRC2:TGID_X_EN: 1
; COMPUTE_PGM_RSRC2:TGID_Y_EN: 0
; COMPUTE_PGM_RSRC2:TGID_Z_EN: 0
; COMPUTE_PGM_RSRC2:TIDIG_COMP_CNT: 0
	.section	.text._Z16sort_keys_kernelIxLj64ELj8EN10test_utils4lessELj10EEvPKT_PS2_T2_,"axG",@progbits,_Z16sort_keys_kernelIxLj64ELj8EN10test_utils4lessELj10EEvPKT_PS2_T2_,comdat
	.protected	_Z16sort_keys_kernelIxLj64ELj8EN10test_utils4lessELj10EEvPKT_PS2_T2_ ; -- Begin function _Z16sort_keys_kernelIxLj64ELj8EN10test_utils4lessELj10EEvPKT_PS2_T2_
	.globl	_Z16sort_keys_kernelIxLj64ELj8EN10test_utils4lessELj10EEvPKT_PS2_T2_
	.p2align	8
	.type	_Z16sort_keys_kernelIxLj64ELj8EN10test_utils4lessELj10EEvPKT_PS2_T2_,@function
_Z16sort_keys_kernelIxLj64ELj8EN10test_utils4lessELj10EEvPKT_PS2_T2_: ; @_Z16sort_keys_kernelIxLj64ELj8EN10test_utils4lessELj10EEvPKT_PS2_T2_
; %bb.0:
	s_load_dwordx4 s[28:31], s[4:5], 0x0
	s_lshl_b32 s34, s6, 9
	s_mov_b32 s35, 0
	s_lshl_b64 s[36:37], s[34:35], 3
	v_lshlrev_b32_e32 v13, 3, v0
	s_waitcnt lgkmcnt(0)
	s_add_u32 s0, s28, s36
	s_addc_u32 s1, s29, s37
	global_load_dwordx2 v[17:18], v13, s[0:1]
	global_load_dwordx2 v[19:20], v13, s[0:1] offset:512
	global_load_dwordx2 v[5:6], v13, s[0:1] offset:1024
	;; [unrolled: 1-line block ×7, first 2 shown]
	v_and_b32_e32 v38, 0x1f0, v13
	v_or_b32_e32 v39, 8, v38
	v_add_u32_e32 v40, 16, v38
	v_and_b32_e32 v14, 8, v13
	v_sub_u32_e32 v16, v40, v39
	v_and_b32_e32 v45, 0x1e0, v13
	v_sub_u32_e32 v15, v39, v38
	v_sub_u32_e32 v21, v14, v16
	v_cmp_ge_i32_e32 vcc, v14, v16
	v_or_b32_e32 v46, 16, v45
	v_add_u32_e32 v47, 32, v45
	v_cndmask_b32_e32 v42, 0, v21, vcc
	v_min_i32_e32 v43, v14, v15
	v_and_b32_e32 v15, 24, v13
	v_sub_u32_e32 v21, v47, v46
	v_and_b32_e32 v52, 0x1c0, v13
	v_sub_u32_e32 v16, v46, v45
	v_sub_u32_e32 v22, v15, v21
	v_cmp_ge_i32_e64 s[0:1], v15, v21
	v_or_b32_e32 v53, 32, v52
	v_add_u32_e32 v54, 64, v52
	v_and_b32_e32 v59, 0x180, v13
	v_cndmask_b32_e64 v49, 0, v22, s[0:1]
	v_min_i32_e32 v50, v15, v16
	v_and_b32_e32 v16, 56, v13
	v_sub_u32_e32 v21, v53, v52
	v_sub_u32_e32 v22, v54, v53
	v_or_b32_e32 v60, 64, v59
	v_sub_u32_e32 v23, v16, v22
	v_cmp_ge_i32_e64 s[2:3], v16, v22
	v_min_i32_e32 v57, v16, v21
	v_and_b32_e32 v21, 0x78, v13
	v_add_u32_e32 v61, 0x80, v59
	v_sub_u32_e32 v22, v60, v59
	v_mov_b32_e32 v65, 0x100
	v_cndmask_b32_e64 v56, 0, v23, s[2:3]
	v_sub_u32_e32 v23, v61, v60
	v_min_i32_e32 v63, v21, v22
	v_and_b32_e32 v66, 0x100, v13
	v_and_b32_e32 v22, 0xf8, v13
	v_sub_u32_e64 v72, v13, v65 clamp
	v_min_i32_e32 v73, 0x100, v13
	v_add_u32_e32 v74, 0x100, v13
	v_lshlrev_b32_e32 v13, 3, v14
	v_sub_u32_e32 v24, v21, v23
	v_cmp_ge_i32_e64 s[4:5], v21, v23
	v_or_b32_e32 v67, 0x80, v66
	v_add_u32_e32 v68, 0x100, v66
	v_lshl_add_u32 v75, v39, 3, v13
	v_lshlrev_b32_e32 v13, 3, v15
	v_cndmask_b32_e64 v62, 0, v24, s[4:5]
	v_sub_u32_e32 v24, v68, v67
	v_lshl_add_u32 v76, v46, 3, v13
	v_lshlrev_b32_e32 v13, 3, v16
	v_sub_u32_e32 v23, v67, v66
	v_sub_u32_e32 v25, v22, v24
	v_cmp_ge_i32_e64 s[6:7], v22, v24
	v_lshl_add_u32 v77, v53, 3, v13
	v_lshlrev_b32_e32 v13, 3, v21
	v_lshlrev_b32_e32 v37, 6, v0
	v_cndmask_b32_e64 v69, 0, v25, s[6:7]
	v_min_i32_e32 v70, v22, v23
	v_lshl_add_u32 v78, v60, 3, v13
	v_lshlrev_b32_e32 v13, 3, v22
	v_lshlrev_b32_e32 v41, 3, v38
	v_cmp_lt_i32_e32 vcc, v42, v43
	v_add_u32_e32 v44, v39, v14
	v_lshlrev_b32_e32 v48, 3, v45
	v_cmp_lt_i32_e64 s[0:1], v49, v50
	v_add_u32_e32 v51, v46, v15
	v_lshlrev_b32_e32 v55, 3, v52
	v_cmp_lt_i32_e64 s[2:3], v56, v57
	v_add_u32_e32 v58, v53, v16
	v_cmp_lt_i32_e64 s[4:5], v62, v63
	v_add_u32_e32 v64, v60, v21
	;; [unrolled: 2-line block ×3, first 2 shown]
	v_cmp_lt_i32_e64 s[8:9], v72, v73
	v_lshl_add_u32 v79, v67, 3, v13
	s_movk_i32 s28, 0x200
	v_lshlrev_b32_e32 v80, 3, v59
	v_lshlrev_b32_e32 v81, 3, v66
	v_add_u32_e32 v82, 0x800, v37
	s_branch .LBB128_2
.LBB128_1:                              ;   in Loop: Header=BB128_2 Depth=1
	s_or_b64 exec, exec, s[24:25]
	v_cndmask_b32_e64 v20, v6, v8, s[12:13]
	v_cndmask_b32_e64 v19, v5, v7, s[12:13]
	s_waitcnt lgkmcnt(0)
	v_cmp_lt_i64_e64 s[12:13], v[35:36], v[33:34]
	v_cndmask_b32_e64 v6, v10, v12, s[14:15]
	v_cndmask_b32_e64 v5, v9, v11, s[14:15]
	v_cmp_ge_i32_e64 s[14:15], v84, v65
	v_cndmask_b32_e64 v18, v2, v4, s[10:11]
	v_cndmask_b32_e64 v17, v1, v3, s[10:11]
	v_cmp_gt_i32_e64 s[10:11], s28, v83
	s_or_b64 s[12:13], s[14:15], s[12:13]
	s_and_b64 s[10:11], s[10:11], s[12:13]
	s_add_i32 s35, s35, 1
	v_cndmask_b32_e64 v12, v14, v16, s[16:17]
	v_cndmask_b32_e64 v11, v13, v15, s[16:17]
	;; [unrolled: 1-line block ×9, first 2 shown]
	s_cmp_eq_u32 s35, 10
	v_cndmask_b32_e64 v9, v33, v35, s[10:11]
	s_cbranch_scc1 .LBB128_194
.LBB128_2:                              ; =>This Loop Header: Depth=1
                                        ;     Child Loop BB128_4 Depth 2
                                        ;     Child Loop BB128_36 Depth 2
	;; [unrolled: 1-line block ×6, first 2 shown]
	s_waitcnt vmcnt(6)
	v_cmp_lt_i64_e64 s[10:11], v[19:20], v[17:18]
	v_cmp_gt_i64_e64 s[12:13], v[19:20], v[17:18]
	v_cndmask_b32_e64 v14, v18, v20, s[10:11]
	v_cndmask_b32_e64 v13, v17, v19, s[10:11]
	v_cndmask_b32_e64 v21, v19, v17, s[10:11]
	v_cndmask_b32_e64 v22, v20, v18, s[10:11]
	v_cndmask_b32_e64 v16, v18, v20, s[12:13]
	s_waitcnt vmcnt(4)
	v_cmp_lt_i64_e64 s[10:11], v[11:12], v[5:6]
	v_cndmask_b32_e64 v15, v17, v19, s[12:13]
	v_cmp_gt_i64_e64 s[12:13], v[11:12], v[5:6]
	v_cndmask_b32_e64 v18, v6, v12, s[10:11]
	v_cndmask_b32_e64 v17, v5, v11, s[10:11]
	v_cndmask_b32_e64 v19, v11, v5, s[10:11]
	v_cndmask_b32_e64 v20, v12, v6, s[10:11]
	v_cndmask_b32_e64 v6, v6, v12, s[12:13]
	s_waitcnt vmcnt(2)
	v_cmp_lt_i64_e64 s[10:11], v[7:8], v[3:4]
	v_cndmask_b32_e64 v5, v5, v11, s[12:13]
	;; [unrolled: 9-line block ×3, first 2 shown]
	v_cmp_gt_i64_e64 s[12:13], v[9:10], v[1:2]
	v_cndmask_b32_e64 v8, v2, v10, s[10:11]
	v_cndmask_b32_e64 v7, v1, v9, s[10:11]
	;; [unrolled: 1-line block ×5, first 2 shown]
	v_cmp_lt_i64_e64 s[10:11], v[17:18], v[15:16]
	v_cndmask_b32_e64 v1, v1, v9, s[12:13]
	v_cmp_gt_i64_e64 s[12:13], v[17:18], v[15:16]
	v_cndmask_b32_e64 v27, v18, v16, s[10:11]
	v_cndmask_b32_e64 v28, v17, v15, s[10:11]
	;; [unrolled: 1-line block ×7, first 2 shown]
	v_cmp_lt_i64_e64 s[12:13], v[11:12], v[5:6]
	v_cndmask_b32_e64 v30, v16, v18, s[10:11]
	v_cmp_gt_i64_e64 s[10:11], v[11:12], v[5:6]
	v_cndmask_b32_e64 v31, v12, v6, s[12:13]
	v_cndmask_b32_e64 v32, v11, v5, s[12:13]
	;; [unrolled: 1-line block ×8, first 2 shown]
	v_cmp_gt_i64_e64 s[12:13], v[7:8], v[3:4]
	v_cmp_lt_i64_e64 s[10:11], v[7:8], v[3:4]
	v_cndmask_b32_e64 v35, v3, v7, s[12:13]
	v_cndmask_b32_e64 v36, v4, v8, s[12:13]
	v_cmp_lt_i64_e64 s[12:13], v[17:18], v[13:14]
	v_cndmask_b32_e64 v33, v8, v4, s[10:11]
	v_cndmask_b32_e64 v34, v7, v3, s[10:11]
	;; [unrolled: 1-line block ×11, first 2 shown]
	v_cmp_lt_i64_e64 s[10:11], v[5:6], v[9:10]
	v_cndmask_b32_e64 v13, v29, v13, s[12:13]
	v_cmp_gt_i64_e64 s[12:13], v[5:6], v[9:10]
	v_cndmask_b32_e64 v19, v19, v9, s[10:11]
	v_cndmask_b32_e64 v20, v20, v10, s[10:11]
	v_cndmask_b32_e64 v28, v28, v5, s[10:11]
	v_cndmask_b32_e64 v27, v27, v6, s[10:11]
	v_cndmask_b32_e64 v18, v10, v6, s[12:13]
	v_cndmask_b32_e64 v17, v9, v5, s[12:13]
	v_cndmask_b32_e64 v6, v10, v6, s[10:11]
	v_cndmask_b32_e64 v5, v9, v5, s[10:11]
	v_cmp_gt_i64_e64 s[10:11], v[7:8], v[15:16]
	v_cmp_lt_i64_e64 s[12:13], v[7:8], v[15:16]
	v_cndmask_b32_e64 v10, v16, v8, s[10:11]
	v_cndmask_b32_e64 v9, v15, v7, s[10:11]
	v_cmp_gt_i64_e64 s[10:11], v[3:4], v[1:2]
	v_cndmask_b32_e64 v23, v23, v15, s[12:13]
	v_cndmask_b32_e64 v24, v24, v16, s[12:13]
	;; [unrolled: 1-line block ×13, first 2 shown]
	v_cmp_lt_i64_e64 s[12:13], v[5:6], v[13:14]
	v_cndmask_b32_e64 v1, v35, v1, s[10:11]
	v_cmp_gt_i64_e64 s[10:11], v[5:6], v[13:14]
	v_cndmask_b32_e64 v27, v27, v14, s[12:13]
	v_cndmask_b32_e64 v28, v28, v13, s[12:13]
	v_cndmask_b32_e64 v22, v22, v6, s[12:13]
	v_cndmask_b32_e64 v21, v21, v5, s[12:13]
	v_cndmask_b32_e64 v16, v14, v6, s[10:11]
	v_cndmask_b32_e64 v15, v13, v5, s[10:11]
	v_cndmask_b32_e64 v6, v14, v6, s[12:13]
	v_cmp_lt_i64_e64 s[10:11], v[7:8], v[17:18]
	v_cndmask_b32_e64 v5, v13, v5, s[12:13]
	v_cmp_gt_i64_e64 s[12:13], v[7:8], v[17:18]
	v_cndmask_b32_e64 v30, v30, v18, s[10:11]
	v_cndmask_b32_e64 v29, v29, v17, s[10:11]
	v_cndmask_b32_e64 v20, v20, v8, s[10:11]
	v_cndmask_b32_e64 v19, v19, v7, s[10:11]
	v_cndmask_b32_e64 v14, v18, v8, s[12:13]
	v_cndmask_b32_e64 v13, v17, v7, s[12:13]
	v_cndmask_b32_e64 v8, v18, v8, s[10:11]
	;; [unrolled: 10-line block ×3, first 2 shown]
	v_cmp_lt_i64_e64 s[10:11], v[5:6], v[11:12]
	v_cndmask_b32_e64 v1, v9, v1, s[12:13]
	v_cmp_gt_i64_e64 s[12:13], v[5:6], v[11:12]
	v_cndmask_b32_e64 v21, v21, v11, s[10:11]
	v_cndmask_b32_e64 v22, v22, v12, s[10:11]
	v_cndmask_b32_e64 v10, v12, v6, s[10:11]
	v_cndmask_b32_e64 v9, v11, v5, s[10:11]
	v_cndmask_b32_e64 v6, v12, v6, s[12:13]
	v_cmp_lt_i64_e64 s[10:11], v[7:8], v[15:16]
	v_cndmask_b32_e64 v5, v11, v5, s[12:13]
	v_cmp_gt_i64_e64 s[12:13], v[7:8], v[15:16]
	v_cndmask_b32_e64 v19, v19, v15, s[10:11]
	v_cndmask_b32_e64 v20, v20, v16, s[10:11]
	v_cndmask_b32_e64 v28, v28, v7, s[10:11]
	v_cndmask_b32_e64 v27, v27, v8, s[10:11]
	v_cndmask_b32_e64 v12, v16, v8, s[12:13]
	v_cndmask_b32_e64 v11, v15, v7, s[12:13]
	v_cndmask_b32_e64 v8, v16, v8, s[10:11]
	v_cmp_lt_i64_e64 s[12:13], v[1:2], v[13:14]
	v_cndmask_b32_e64 v7, v15, v7, s[10:11]
	v_cmp_gt_i64_e64 s[10:11], v[1:2], v[13:14]
	v_cndmask_b32_e64 v23, v23, v13, s[12:13]
	v_cndmask_b32_e64 v24, v24, v14, s[12:13]
	;; [unrolled: 10-line block ×5, first 2 shown]
	v_cndmask_b32_e64 v20, v20, v2, s[10:11]
	v_cndmask_b32_e64 v19, v19, v1, s[10:11]
	v_cndmask_b32_e64 v6, v12, v2, s[12:13]
	v_cndmask_b32_e64 v5, v11, v1, s[12:13]
	v_cndmask_b32_e64 v2, v12, v2, s[10:11]
	v_cndmask_b32_e64 v1, v11, v1, s[10:11]
	v_cmp_gt_i64_e64 s[10:11], v[3:4], v[15:16]
	v_cmp_lt_i64_e64 s[12:13], v[3:4], v[15:16]
	v_cndmask_b32_e64 v35, v15, v3, s[10:11]
	v_cndmask_b32_e64 v36, v16, v4, s[10:11]
	v_cmp_lt_i64_e64 s[10:11], v[7:8], v[9:10]
	v_cndmask_b32_e64 v32, v32, v16, s[12:13]
	v_cndmask_b32_e64 v31, v31, v15, s[12:13]
	;; [unrolled: 1-line block ×11, first 2 shown]
	v_cmp_lt_i64_e64 s[12:13], v[1:2], v[17:18]
	v_cndmask_b32_e64 v9, v33, v9, s[10:11]
	v_cmp_gt_i64_e64 s[10:11], v[1:2], v[17:18]
	v_cndmask_b32_e64 v19, v19, v17, s[12:13]
	v_cndmask_b32_e64 v20, v20, v18, s[12:13]
	;; [unrolled: 1-line block ×8, first 2 shown]
	v_cmp_gt_i64_e64 s[12:13], v[3:4], v[5:6]
	v_cmp_lt_i64_e64 s[10:11], v[3:4], v[5:6]
	v_cndmask_b32_e64 v18, v6, v4, s[12:13]
	v_cndmask_b32_e64 v17, v5, v3, s[12:13]
	v_cmp_gt_i64_e64 s[12:13], v[15:16], v[13:14]
	v_cndmask_b32_e64 v23, v23, v5, s[10:11]
	v_cndmask_b32_e64 v24, v24, v6, s[10:11]
	;; [unrolled: 1-line block ×6, first 2 shown]
	v_cmp_lt_i64_e64 s[10:11], v[1:2], v[9:10]
	v_cndmask_b32_e64 v15, v31, v13, s[12:13]
	v_cndmask_b32_e64 v16, v32, v14, s[12:13]
	;; [unrolled: 1-line block ×9, first 2 shown]
	v_cmp_lt_i64_e64 s[12:13], v[3:4], v[11:12]
	v_cndmask_b32_e64 v1, v21, v1, s[10:11]
	v_cmp_lt_i64_e64 s[10:11], v[13:14], v[17:18]
	v_cndmask_b32_e64 v12, v30, v12, s[12:13]
	v_cndmask_b32_e64 v11, v29, v11, s[12:13]
	;; [unrolled: 1-line block ×8, first 2 shown]
	; wave barrier
	ds_write2_b64 v37, v[7:8], v[1:2] offset1:1
	ds_write2_b64 v37, v[9:10], v[3:4] offset0:2 offset1:3
	ds_write2_b64 v37, v[11:12], v[13:14] offset0:4 offset1:5
	;; [unrolled: 1-line block ×3, first 2 shown]
	v_mov_b32_e32 v5, v42
	s_waitcnt lgkmcnt(0)
	; wave barrier
	s_and_saveexec_b64 s[12:13], vcc
	s_cbranch_execz .LBB128_6
; %bb.3:                                ;   in Loop: Header=BB128_2 Depth=1
	s_mov_b64 s[14:15], 0
	v_mov_b32_e32 v5, v42
	v_mov_b32_e32 v1, v43
.LBB128_4:                              ;   Parent Loop BB128_2 Depth=1
                                        ; =>  This Inner Loop Header: Depth=2
	v_sub_u32_e32 v2, v1, v5
	v_lshrrev_b32_e32 v2, 1, v2
	v_add_u32_e32 v4, v2, v5
	v_not_b32_e32 v3, v4
	v_lshl_add_u32 v2, v4, 3, v41
	v_lshl_add_u32 v6, v3, 3, v75
	ds_read_b64 v[2:3], v2
	ds_read_b64 v[6:7], v6
	v_add_u32_e32 v8, 1, v4
	s_waitcnt lgkmcnt(0)
	v_cmp_lt_i64_e64 s[10:11], v[6:7], v[2:3]
	v_cndmask_b32_e64 v1, v1, v4, s[10:11]
	v_cndmask_b32_e64 v5, v8, v5, s[10:11]
	v_cmp_ge_i32_e64 s[10:11], v5, v1
	s_or_b64 s[14:15], s[10:11], s[14:15]
	s_andn2_b64 exec, exec, s[14:15]
	s_cbranch_execnz .LBB128_4
; %bb.5:                                ;   in Loop: Header=BB128_2 Depth=1
	s_or_b64 exec, exec, s[14:15]
.LBB128_6:                              ;   in Loop: Header=BB128_2 Depth=1
	s_or_b64 exec, exec, s[12:13]
	v_sub_u32_e32 v9, v44, v5
	v_lshl_add_u32 v7, v5, 3, v41
	v_lshlrev_b32_e32 v11, 3, v9
	ds_read_b64 v[1:2], v7
	ds_read_b64 v[3:4], v11
	v_add_u32_e32 v10, v5, v38
	v_cmp_le_i32_e64 s[14:15], v39, v10
	v_cmp_gt_i32_e64 s[10:11], v40, v9
                                        ; implicit-def: $vgpr5_vgpr6
	s_waitcnt lgkmcnt(0)
	v_cmp_lt_i64_e64 s[12:13], v[3:4], v[1:2]
	s_or_b64 s[12:13], s[14:15], s[12:13]
	s_and_b64 s[10:11], s[10:11], s[12:13]
	s_xor_b64 s[12:13], s[10:11], -1
	s_and_saveexec_b64 s[14:15], s[12:13]
	s_xor_b64 s[12:13], exec, s[14:15]
; %bb.7:                                ;   in Loop: Header=BB128_2 Depth=1
	ds_read_b64 v[5:6], v7 offset:8
                                        ; implicit-def: $vgpr11
; %bb.8:                                ;   in Loop: Header=BB128_2 Depth=1
	s_or_saveexec_b64 s[12:13], s[12:13]
	v_mov_b32_e32 v8, v4
	v_mov_b32_e32 v7, v3
	s_xor_b64 exec, exec, s[12:13]
	s_cbranch_execz .LBB128_10
; %bb.9:                                ;   in Loop: Header=BB128_2 Depth=1
	ds_read_b64 v[7:8], v11 offset:8
	s_waitcnt lgkmcnt(1)
	v_mov_b32_e32 v6, v2
	v_mov_b32_e32 v5, v1
.LBB128_10:                             ;   in Loop: Header=BB128_2 Depth=1
	s_or_b64 exec, exec, s[12:13]
	v_add_u32_e32 v12, 1, v10
	v_add_u32_e32 v11, 1, v9
	v_cndmask_b32_e64 v14, v12, v10, s[10:11]
	s_waitcnt lgkmcnt(0)
	v_cmp_lt_i64_e64 s[14:15], v[7:8], v[5:6]
	v_cndmask_b32_e64 v13, v9, v11, s[10:11]
	v_cmp_ge_i32_e64 s[16:17], v14, v39
	v_cmp_lt_i32_e64 s[12:13], v13, v40
	s_or_b64 s[14:15], s[16:17], s[14:15]
	s_and_b64 s[12:13], s[12:13], s[14:15]
	s_xor_b64 s[14:15], s[12:13], -1
                                        ; implicit-def: $vgpr9_vgpr10
	s_and_saveexec_b64 s[16:17], s[14:15]
	s_xor_b64 s[14:15], exec, s[16:17]
; %bb.11:                               ;   in Loop: Header=BB128_2 Depth=1
	v_lshlrev_b32_e32 v9, 3, v14
	ds_read_b64 v[9:10], v9 offset:8
; %bb.12:                               ;   in Loop: Header=BB128_2 Depth=1
	s_or_saveexec_b64 s[14:15], s[14:15]
	v_mov_b32_e32 v12, v8
	v_mov_b32_e32 v11, v7
	s_xor_b64 exec, exec, s[14:15]
	s_cbranch_execz .LBB128_14
; %bb.13:                               ;   in Loop: Header=BB128_2 Depth=1
	s_waitcnt lgkmcnt(0)
	v_lshlrev_b32_e32 v9, 3, v13
	ds_read_b64 v[11:12], v9 offset:8
	v_mov_b32_e32 v10, v6
	v_mov_b32_e32 v9, v5
.LBB128_14:                             ;   in Loop: Header=BB128_2 Depth=1
	s_or_b64 exec, exec, s[14:15]
	v_add_u32_e32 v16, 1, v14
	v_add_u32_e32 v15, 1, v13
	v_cndmask_b32_e64 v18, v16, v14, s[12:13]
	s_waitcnt lgkmcnt(0)
	v_cmp_lt_i64_e64 s[16:17], v[11:12], v[9:10]
	v_cndmask_b32_e64 v17, v13, v15, s[12:13]
	v_cmp_ge_i32_e64 s[18:19], v18, v39
	v_cmp_lt_i32_e64 s[14:15], v17, v40
	s_or_b64 s[16:17], s[18:19], s[16:17]
	s_and_b64 s[14:15], s[14:15], s[16:17]
	s_xor_b64 s[16:17], s[14:15], -1
                                        ; implicit-def: $vgpr13_vgpr14
	s_and_saveexec_b64 s[18:19], s[16:17]
	s_xor_b64 s[16:17], exec, s[18:19]
; %bb.15:                               ;   in Loop: Header=BB128_2 Depth=1
	v_lshlrev_b32_e32 v13, 3, v18
	ds_read_b64 v[13:14], v13 offset:8
; %bb.16:                               ;   in Loop: Header=BB128_2 Depth=1
	s_or_saveexec_b64 s[16:17], s[16:17]
	v_mov_b32_e32 v16, v12
	v_mov_b32_e32 v15, v11
	s_xor_b64 exec, exec, s[16:17]
	s_cbranch_execz .LBB128_18
; %bb.17:                               ;   in Loop: Header=BB128_2 Depth=1
	s_waitcnt lgkmcnt(0)
	v_lshlrev_b32_e32 v13, 3, v17
	ds_read_b64 v[15:16], v13 offset:8
	v_mov_b32_e32 v14, v10
	v_mov_b32_e32 v13, v9
.LBB128_18:                             ;   in Loop: Header=BB128_2 Depth=1
	s_or_b64 exec, exec, s[16:17]
	v_add_u32_e32 v20, 1, v18
	v_add_u32_e32 v19, 1, v17
	v_cndmask_b32_e64 v22, v20, v18, s[14:15]
	s_waitcnt lgkmcnt(0)
	v_cmp_lt_i64_e64 s[18:19], v[15:16], v[13:14]
	v_cndmask_b32_e64 v21, v17, v19, s[14:15]
	v_cmp_ge_i32_e64 s[20:21], v22, v39
	v_cmp_lt_i32_e64 s[16:17], v21, v40
	s_or_b64 s[18:19], s[20:21], s[18:19]
	s_and_b64 s[16:17], s[16:17], s[18:19]
	s_xor_b64 s[18:19], s[16:17], -1
                                        ; implicit-def: $vgpr17_vgpr18
	s_and_saveexec_b64 s[20:21], s[18:19]
	s_xor_b64 s[18:19], exec, s[20:21]
; %bb.19:                               ;   in Loop: Header=BB128_2 Depth=1
	v_lshlrev_b32_e32 v17, 3, v22
	ds_read_b64 v[17:18], v17 offset:8
; %bb.20:                               ;   in Loop: Header=BB128_2 Depth=1
	s_or_saveexec_b64 s[18:19], s[18:19]
	v_mov_b32_e32 v20, v16
	v_mov_b32_e32 v19, v15
	s_xor_b64 exec, exec, s[18:19]
	s_cbranch_execz .LBB128_22
; %bb.21:                               ;   in Loop: Header=BB128_2 Depth=1
	s_waitcnt lgkmcnt(0)
	v_lshlrev_b32_e32 v17, 3, v21
	ds_read_b64 v[19:20], v17 offset:8
	v_mov_b32_e32 v18, v14
	v_mov_b32_e32 v17, v13
.LBB128_22:                             ;   in Loop: Header=BB128_2 Depth=1
	s_or_b64 exec, exec, s[18:19]
	v_add_u32_e32 v24, 1, v22
	v_add_u32_e32 v23, 1, v21
	v_cndmask_b32_e64 v26, v24, v22, s[16:17]
	s_waitcnt lgkmcnt(0)
	v_cmp_lt_i64_e64 s[20:21], v[19:20], v[17:18]
	v_cndmask_b32_e64 v25, v21, v23, s[16:17]
	v_cmp_ge_i32_e64 s[22:23], v26, v39
	v_cmp_lt_i32_e64 s[18:19], v25, v40
	s_or_b64 s[20:21], s[22:23], s[20:21]
	s_and_b64 s[18:19], s[18:19], s[20:21]
	s_xor_b64 s[20:21], s[18:19], -1
                                        ; implicit-def: $vgpr21_vgpr22
	s_and_saveexec_b64 s[22:23], s[20:21]
	s_xor_b64 s[20:21], exec, s[22:23]
; %bb.23:                               ;   in Loop: Header=BB128_2 Depth=1
	v_lshlrev_b32_e32 v21, 3, v26
	ds_read_b64 v[21:22], v21 offset:8
; %bb.24:                               ;   in Loop: Header=BB128_2 Depth=1
	s_or_saveexec_b64 s[20:21], s[20:21]
	v_mov_b32_e32 v24, v20
	v_mov_b32_e32 v23, v19
	s_xor_b64 exec, exec, s[20:21]
	s_cbranch_execz .LBB128_26
; %bb.25:                               ;   in Loop: Header=BB128_2 Depth=1
	s_waitcnt lgkmcnt(0)
	v_lshlrev_b32_e32 v21, 3, v25
	ds_read_b64 v[23:24], v21 offset:8
	v_mov_b32_e32 v22, v18
	v_mov_b32_e32 v21, v17
.LBB128_26:                             ;   in Loop: Header=BB128_2 Depth=1
	s_or_b64 exec, exec, s[20:21]
	v_add_u32_e32 v28, 1, v26
	v_add_u32_e32 v27, 1, v25
	v_cndmask_b32_e64 v30, v28, v26, s[18:19]
	s_waitcnt lgkmcnt(0)
	v_cmp_lt_i64_e64 s[22:23], v[23:24], v[21:22]
	v_cndmask_b32_e64 v29, v25, v27, s[18:19]
	v_cmp_ge_i32_e64 s[24:25], v30, v39
	v_cmp_lt_i32_e64 s[20:21], v29, v40
	s_or_b64 s[22:23], s[24:25], s[22:23]
	s_and_b64 s[20:21], s[20:21], s[22:23]
	s_xor_b64 s[22:23], s[20:21], -1
                                        ; implicit-def: $vgpr25_vgpr26
	s_and_saveexec_b64 s[24:25], s[22:23]
	s_xor_b64 s[22:23], exec, s[24:25]
; %bb.27:                               ;   in Loop: Header=BB128_2 Depth=1
	v_lshlrev_b32_e32 v25, 3, v30
	ds_read_b64 v[25:26], v25 offset:8
; %bb.28:                               ;   in Loop: Header=BB128_2 Depth=1
	s_or_saveexec_b64 s[22:23], s[22:23]
	v_mov_b32_e32 v28, v24
	v_mov_b32_e32 v27, v23
	s_xor_b64 exec, exec, s[22:23]
	s_cbranch_execz .LBB128_30
; %bb.29:                               ;   in Loop: Header=BB128_2 Depth=1
	s_waitcnt lgkmcnt(0)
	v_lshlrev_b32_e32 v25, 3, v29
	ds_read_b64 v[27:28], v25 offset:8
	v_mov_b32_e32 v26, v22
	v_mov_b32_e32 v25, v21
.LBB128_30:                             ;   in Loop: Header=BB128_2 Depth=1
	s_or_b64 exec, exec, s[22:23]
	v_add_u32_e32 v32, 1, v30
	v_add_u32_e32 v31, 1, v29
	v_cndmask_b32_e64 v34, v32, v30, s[20:21]
	s_waitcnt lgkmcnt(0)
	v_cmp_lt_i64_e64 s[24:25], v[27:28], v[25:26]
	v_cndmask_b32_e64 v33, v29, v31, s[20:21]
	v_cmp_ge_i32_e64 s[26:27], v34, v39
	v_cmp_lt_i32_e64 s[22:23], v33, v40
	s_or_b64 s[24:25], s[26:27], s[24:25]
	s_and_b64 s[22:23], s[22:23], s[24:25]
	s_xor_b64 s[24:25], s[22:23], -1
                                        ; implicit-def: $vgpr29_vgpr30
	s_and_saveexec_b64 s[26:27], s[24:25]
	s_xor_b64 s[24:25], exec, s[26:27]
; %bb.31:                               ;   in Loop: Header=BB128_2 Depth=1
	v_lshlrev_b32_e32 v29, 3, v34
	ds_read_b64 v[29:30], v29 offset:8
; %bb.32:                               ;   in Loop: Header=BB128_2 Depth=1
	s_or_saveexec_b64 s[24:25], s[24:25]
	v_mov_b32_e32 v32, v28
	v_mov_b32_e32 v31, v27
	s_xor_b64 exec, exec, s[24:25]
	s_cbranch_execz .LBB128_34
; %bb.33:                               ;   in Loop: Header=BB128_2 Depth=1
	s_waitcnt lgkmcnt(0)
	v_lshlrev_b32_e32 v29, 3, v33
	ds_read_b64 v[31:32], v29 offset:8
	v_mov_b32_e32 v30, v26
	v_mov_b32_e32 v29, v25
.LBB128_34:                             ;   in Loop: Header=BB128_2 Depth=1
	s_or_b64 exec, exec, s[24:25]
	v_cndmask_b32_e64 v26, v26, v28, s[22:23]
	v_add_u32_e32 v28, 1, v34
	v_cndmask_b32_e64 v25, v25, v27, s[22:23]
	v_add_u32_e32 v27, 1, v33
	v_cndmask_b32_e64 v28, v28, v34, s[22:23]
	v_cndmask_b32_e64 v6, v6, v8, s[12:13]
	;; [unrolled: 1-line block ×3, first 2 shown]
	s_waitcnt lgkmcnt(0)
	v_cmp_lt_i64_e64 s[12:13], v[31:32], v[29:30]
	v_cndmask_b32_e64 v27, v33, v27, s[22:23]
	v_cndmask_b32_e64 v10, v10, v12, s[14:15]
	;; [unrolled: 1-line block ×3, first 2 shown]
	v_cmp_ge_i32_e64 s[14:15], v28, v39
	v_cndmask_b32_e64 v2, v2, v4, s[10:11]
	v_cndmask_b32_e64 v1, v1, v3, s[10:11]
	v_cmp_lt_i32_e64 s[10:11], v27, v40
	s_or_b64 s[12:13], s[14:15], s[12:13]
	s_and_b64 s[10:11], s[10:11], s[12:13]
	v_cndmask_b32_e64 v22, v22, v24, s[20:21]
	v_cndmask_b32_e64 v21, v21, v23, s[20:21]
	;; [unrolled: 1-line block ×8, first 2 shown]
	; wave barrier
	ds_write2_b64 v37, v[1:2], v[5:6] offset1:1
	ds_write2_b64 v37, v[9:10], v[13:14] offset0:2 offset1:3
	ds_write2_b64 v37, v[17:18], v[21:22] offset0:4 offset1:5
	;; [unrolled: 1-line block ×3, first 2 shown]
	v_mov_b32_e32 v5, v49
	s_waitcnt lgkmcnt(0)
	; wave barrier
	s_and_saveexec_b64 s[12:13], s[0:1]
	s_cbranch_execz .LBB128_38
; %bb.35:                               ;   in Loop: Header=BB128_2 Depth=1
	s_mov_b64 s[14:15], 0
	v_mov_b32_e32 v5, v49
	v_mov_b32_e32 v1, v50
.LBB128_36:                             ;   Parent Loop BB128_2 Depth=1
                                        ; =>  This Inner Loop Header: Depth=2
	v_sub_u32_e32 v2, v1, v5
	v_lshrrev_b32_e32 v2, 1, v2
	v_add_u32_e32 v4, v2, v5
	v_not_b32_e32 v3, v4
	v_lshl_add_u32 v2, v4, 3, v48
	v_lshl_add_u32 v6, v3, 3, v76
	ds_read_b64 v[2:3], v2
	ds_read_b64 v[6:7], v6
	v_add_u32_e32 v8, 1, v4
	s_waitcnt lgkmcnt(0)
	v_cmp_lt_i64_e64 s[10:11], v[6:7], v[2:3]
	v_cndmask_b32_e64 v1, v1, v4, s[10:11]
	v_cndmask_b32_e64 v5, v8, v5, s[10:11]
	v_cmp_ge_i32_e64 s[10:11], v5, v1
	s_or_b64 s[14:15], s[10:11], s[14:15]
	s_andn2_b64 exec, exec, s[14:15]
	s_cbranch_execnz .LBB128_36
; %bb.37:                               ;   in Loop: Header=BB128_2 Depth=1
	s_or_b64 exec, exec, s[14:15]
.LBB128_38:                             ;   in Loop: Header=BB128_2 Depth=1
	s_or_b64 exec, exec, s[12:13]
	v_sub_u32_e32 v9, v51, v5
	v_lshl_add_u32 v7, v5, 3, v48
	v_lshlrev_b32_e32 v11, 3, v9
	ds_read_b64 v[1:2], v7
	ds_read_b64 v[3:4], v11
	v_add_u32_e32 v10, v5, v45
	v_cmp_le_i32_e64 s[14:15], v46, v10
	v_cmp_gt_i32_e64 s[10:11], v47, v9
                                        ; implicit-def: $vgpr5_vgpr6
	s_waitcnt lgkmcnt(0)
	v_cmp_lt_i64_e64 s[12:13], v[3:4], v[1:2]
	s_or_b64 s[12:13], s[14:15], s[12:13]
	s_and_b64 s[10:11], s[10:11], s[12:13]
	s_xor_b64 s[12:13], s[10:11], -1
	s_and_saveexec_b64 s[14:15], s[12:13]
	s_xor_b64 s[12:13], exec, s[14:15]
; %bb.39:                               ;   in Loop: Header=BB128_2 Depth=1
	ds_read_b64 v[5:6], v7 offset:8
                                        ; implicit-def: $vgpr11
; %bb.40:                               ;   in Loop: Header=BB128_2 Depth=1
	s_or_saveexec_b64 s[12:13], s[12:13]
	v_mov_b32_e32 v8, v4
	v_mov_b32_e32 v7, v3
	s_xor_b64 exec, exec, s[12:13]
	s_cbranch_execz .LBB128_42
; %bb.41:                               ;   in Loop: Header=BB128_2 Depth=1
	ds_read_b64 v[7:8], v11 offset:8
	s_waitcnt lgkmcnt(1)
	v_mov_b32_e32 v6, v2
	v_mov_b32_e32 v5, v1
.LBB128_42:                             ;   in Loop: Header=BB128_2 Depth=1
	s_or_b64 exec, exec, s[12:13]
	v_add_u32_e32 v12, 1, v10
	v_add_u32_e32 v11, 1, v9
	v_cndmask_b32_e64 v14, v12, v10, s[10:11]
	s_waitcnt lgkmcnt(0)
	v_cmp_lt_i64_e64 s[14:15], v[7:8], v[5:6]
	v_cndmask_b32_e64 v13, v9, v11, s[10:11]
	v_cmp_ge_i32_e64 s[16:17], v14, v46
	v_cmp_lt_i32_e64 s[12:13], v13, v47
	s_or_b64 s[14:15], s[16:17], s[14:15]
	s_and_b64 s[12:13], s[12:13], s[14:15]
	s_xor_b64 s[14:15], s[12:13], -1
                                        ; implicit-def: $vgpr9_vgpr10
	s_and_saveexec_b64 s[16:17], s[14:15]
	s_xor_b64 s[14:15], exec, s[16:17]
; %bb.43:                               ;   in Loop: Header=BB128_2 Depth=1
	v_lshlrev_b32_e32 v9, 3, v14
	ds_read_b64 v[9:10], v9 offset:8
; %bb.44:                               ;   in Loop: Header=BB128_2 Depth=1
	s_or_saveexec_b64 s[14:15], s[14:15]
	v_mov_b32_e32 v12, v8
	v_mov_b32_e32 v11, v7
	s_xor_b64 exec, exec, s[14:15]
	s_cbranch_execz .LBB128_46
; %bb.45:                               ;   in Loop: Header=BB128_2 Depth=1
	s_waitcnt lgkmcnt(0)
	v_lshlrev_b32_e32 v9, 3, v13
	ds_read_b64 v[11:12], v9 offset:8
	v_mov_b32_e32 v10, v6
	v_mov_b32_e32 v9, v5
.LBB128_46:                             ;   in Loop: Header=BB128_2 Depth=1
	s_or_b64 exec, exec, s[14:15]
	v_add_u32_e32 v16, 1, v14
	v_add_u32_e32 v15, 1, v13
	v_cndmask_b32_e64 v18, v16, v14, s[12:13]
	s_waitcnt lgkmcnt(0)
	v_cmp_lt_i64_e64 s[16:17], v[11:12], v[9:10]
	v_cndmask_b32_e64 v17, v13, v15, s[12:13]
	v_cmp_ge_i32_e64 s[18:19], v18, v46
	v_cmp_lt_i32_e64 s[14:15], v17, v47
	s_or_b64 s[16:17], s[18:19], s[16:17]
	s_and_b64 s[14:15], s[14:15], s[16:17]
	s_xor_b64 s[16:17], s[14:15], -1
                                        ; implicit-def: $vgpr13_vgpr14
	s_and_saveexec_b64 s[18:19], s[16:17]
	s_xor_b64 s[16:17], exec, s[18:19]
; %bb.47:                               ;   in Loop: Header=BB128_2 Depth=1
	v_lshlrev_b32_e32 v13, 3, v18
	ds_read_b64 v[13:14], v13 offset:8
; %bb.48:                               ;   in Loop: Header=BB128_2 Depth=1
	s_or_saveexec_b64 s[16:17], s[16:17]
	v_mov_b32_e32 v16, v12
	v_mov_b32_e32 v15, v11
	s_xor_b64 exec, exec, s[16:17]
	s_cbranch_execz .LBB128_50
; %bb.49:                               ;   in Loop: Header=BB128_2 Depth=1
	s_waitcnt lgkmcnt(0)
	v_lshlrev_b32_e32 v13, 3, v17
	ds_read_b64 v[15:16], v13 offset:8
	v_mov_b32_e32 v14, v10
	v_mov_b32_e32 v13, v9
.LBB128_50:                             ;   in Loop: Header=BB128_2 Depth=1
	s_or_b64 exec, exec, s[16:17]
	v_add_u32_e32 v20, 1, v18
	v_add_u32_e32 v19, 1, v17
	v_cndmask_b32_e64 v22, v20, v18, s[14:15]
	s_waitcnt lgkmcnt(0)
	v_cmp_lt_i64_e64 s[18:19], v[15:16], v[13:14]
	v_cndmask_b32_e64 v21, v17, v19, s[14:15]
	v_cmp_ge_i32_e64 s[20:21], v22, v46
	v_cmp_lt_i32_e64 s[16:17], v21, v47
	s_or_b64 s[18:19], s[20:21], s[18:19]
	s_and_b64 s[16:17], s[16:17], s[18:19]
	s_xor_b64 s[18:19], s[16:17], -1
                                        ; implicit-def: $vgpr17_vgpr18
	s_and_saveexec_b64 s[20:21], s[18:19]
	s_xor_b64 s[18:19], exec, s[20:21]
; %bb.51:                               ;   in Loop: Header=BB128_2 Depth=1
	v_lshlrev_b32_e32 v17, 3, v22
	ds_read_b64 v[17:18], v17 offset:8
; %bb.52:                               ;   in Loop: Header=BB128_2 Depth=1
	s_or_saveexec_b64 s[18:19], s[18:19]
	v_mov_b32_e32 v20, v16
	v_mov_b32_e32 v19, v15
	s_xor_b64 exec, exec, s[18:19]
	s_cbranch_execz .LBB128_54
; %bb.53:                               ;   in Loop: Header=BB128_2 Depth=1
	s_waitcnt lgkmcnt(0)
	v_lshlrev_b32_e32 v17, 3, v21
	ds_read_b64 v[19:20], v17 offset:8
	v_mov_b32_e32 v18, v14
	v_mov_b32_e32 v17, v13
.LBB128_54:                             ;   in Loop: Header=BB128_2 Depth=1
	s_or_b64 exec, exec, s[18:19]
	v_add_u32_e32 v24, 1, v22
	v_add_u32_e32 v23, 1, v21
	v_cndmask_b32_e64 v26, v24, v22, s[16:17]
	s_waitcnt lgkmcnt(0)
	v_cmp_lt_i64_e64 s[20:21], v[19:20], v[17:18]
	v_cndmask_b32_e64 v25, v21, v23, s[16:17]
	v_cmp_ge_i32_e64 s[22:23], v26, v46
	v_cmp_lt_i32_e64 s[18:19], v25, v47
	s_or_b64 s[20:21], s[22:23], s[20:21]
	s_and_b64 s[18:19], s[18:19], s[20:21]
	s_xor_b64 s[20:21], s[18:19], -1
                                        ; implicit-def: $vgpr21_vgpr22
	s_and_saveexec_b64 s[22:23], s[20:21]
	s_xor_b64 s[20:21], exec, s[22:23]
; %bb.55:                               ;   in Loop: Header=BB128_2 Depth=1
	v_lshlrev_b32_e32 v21, 3, v26
	ds_read_b64 v[21:22], v21 offset:8
; %bb.56:                               ;   in Loop: Header=BB128_2 Depth=1
	s_or_saveexec_b64 s[20:21], s[20:21]
	v_mov_b32_e32 v24, v20
	v_mov_b32_e32 v23, v19
	s_xor_b64 exec, exec, s[20:21]
	s_cbranch_execz .LBB128_58
; %bb.57:                               ;   in Loop: Header=BB128_2 Depth=1
	s_waitcnt lgkmcnt(0)
	v_lshlrev_b32_e32 v21, 3, v25
	ds_read_b64 v[23:24], v21 offset:8
	v_mov_b32_e32 v22, v18
	v_mov_b32_e32 v21, v17
.LBB128_58:                             ;   in Loop: Header=BB128_2 Depth=1
	s_or_b64 exec, exec, s[20:21]
	v_add_u32_e32 v28, 1, v26
	v_add_u32_e32 v27, 1, v25
	v_cndmask_b32_e64 v30, v28, v26, s[18:19]
	s_waitcnt lgkmcnt(0)
	v_cmp_lt_i64_e64 s[22:23], v[23:24], v[21:22]
	v_cndmask_b32_e64 v29, v25, v27, s[18:19]
	v_cmp_ge_i32_e64 s[24:25], v30, v46
	v_cmp_lt_i32_e64 s[20:21], v29, v47
	s_or_b64 s[22:23], s[24:25], s[22:23]
	s_and_b64 s[20:21], s[20:21], s[22:23]
	s_xor_b64 s[22:23], s[20:21], -1
                                        ; implicit-def: $vgpr25_vgpr26
	s_and_saveexec_b64 s[24:25], s[22:23]
	s_xor_b64 s[22:23], exec, s[24:25]
; %bb.59:                               ;   in Loop: Header=BB128_2 Depth=1
	v_lshlrev_b32_e32 v25, 3, v30
	ds_read_b64 v[25:26], v25 offset:8
; %bb.60:                               ;   in Loop: Header=BB128_2 Depth=1
	s_or_saveexec_b64 s[22:23], s[22:23]
	v_mov_b32_e32 v28, v24
	v_mov_b32_e32 v27, v23
	s_xor_b64 exec, exec, s[22:23]
	s_cbranch_execz .LBB128_62
; %bb.61:                               ;   in Loop: Header=BB128_2 Depth=1
	s_waitcnt lgkmcnt(0)
	v_lshlrev_b32_e32 v25, 3, v29
	ds_read_b64 v[27:28], v25 offset:8
	v_mov_b32_e32 v26, v22
	v_mov_b32_e32 v25, v21
.LBB128_62:                             ;   in Loop: Header=BB128_2 Depth=1
	s_or_b64 exec, exec, s[22:23]
	v_add_u32_e32 v32, 1, v30
	v_add_u32_e32 v31, 1, v29
	v_cndmask_b32_e64 v34, v32, v30, s[20:21]
	s_waitcnt lgkmcnt(0)
	v_cmp_lt_i64_e64 s[24:25], v[27:28], v[25:26]
	v_cndmask_b32_e64 v33, v29, v31, s[20:21]
	v_cmp_ge_i32_e64 s[26:27], v34, v46
	v_cmp_lt_i32_e64 s[22:23], v33, v47
	s_or_b64 s[24:25], s[26:27], s[24:25]
	s_and_b64 s[22:23], s[22:23], s[24:25]
	s_xor_b64 s[24:25], s[22:23], -1
                                        ; implicit-def: $vgpr29_vgpr30
	s_and_saveexec_b64 s[26:27], s[24:25]
	s_xor_b64 s[24:25], exec, s[26:27]
; %bb.63:                               ;   in Loop: Header=BB128_2 Depth=1
	v_lshlrev_b32_e32 v29, 3, v34
	ds_read_b64 v[29:30], v29 offset:8
; %bb.64:                               ;   in Loop: Header=BB128_2 Depth=1
	s_or_saveexec_b64 s[24:25], s[24:25]
	v_mov_b32_e32 v32, v28
	v_mov_b32_e32 v31, v27
	s_xor_b64 exec, exec, s[24:25]
	s_cbranch_execz .LBB128_66
; %bb.65:                               ;   in Loop: Header=BB128_2 Depth=1
	s_waitcnt lgkmcnt(0)
	v_lshlrev_b32_e32 v29, 3, v33
	ds_read_b64 v[31:32], v29 offset:8
	v_mov_b32_e32 v30, v26
	v_mov_b32_e32 v29, v25
.LBB128_66:                             ;   in Loop: Header=BB128_2 Depth=1
	s_or_b64 exec, exec, s[24:25]
	v_cndmask_b32_e64 v26, v26, v28, s[22:23]
	v_add_u32_e32 v28, 1, v34
	v_cndmask_b32_e64 v25, v25, v27, s[22:23]
	v_add_u32_e32 v27, 1, v33
	v_cndmask_b32_e64 v28, v28, v34, s[22:23]
	v_cndmask_b32_e64 v6, v6, v8, s[12:13]
	;; [unrolled: 1-line block ×3, first 2 shown]
	s_waitcnt lgkmcnt(0)
	v_cmp_lt_i64_e64 s[12:13], v[31:32], v[29:30]
	v_cndmask_b32_e64 v27, v33, v27, s[22:23]
	v_cndmask_b32_e64 v10, v10, v12, s[14:15]
	;; [unrolled: 1-line block ×3, first 2 shown]
	v_cmp_ge_i32_e64 s[14:15], v28, v46
	v_cndmask_b32_e64 v2, v2, v4, s[10:11]
	v_cndmask_b32_e64 v1, v1, v3, s[10:11]
	v_cmp_lt_i32_e64 s[10:11], v27, v47
	s_or_b64 s[12:13], s[14:15], s[12:13]
	s_and_b64 s[10:11], s[10:11], s[12:13]
	v_cndmask_b32_e64 v22, v22, v24, s[20:21]
	v_cndmask_b32_e64 v21, v21, v23, s[20:21]
	v_cndmask_b32_e64 v18, v18, v20, s[18:19]
	v_cndmask_b32_e64 v17, v17, v19, s[18:19]
	v_cndmask_b32_e64 v14, v14, v16, s[16:17]
	v_cndmask_b32_e64 v13, v13, v15, s[16:17]
	v_cndmask_b32_e64 v4, v30, v32, s[10:11]
	v_cndmask_b32_e64 v3, v29, v31, s[10:11]
	; wave barrier
	ds_write2_b64 v37, v[1:2], v[5:6] offset1:1
	ds_write2_b64 v37, v[9:10], v[13:14] offset0:2 offset1:3
	ds_write2_b64 v37, v[17:18], v[21:22] offset0:4 offset1:5
	;; [unrolled: 1-line block ×3, first 2 shown]
	v_mov_b32_e32 v5, v56
	s_waitcnt lgkmcnt(0)
	; wave barrier
	s_and_saveexec_b64 s[12:13], s[2:3]
	s_cbranch_execz .LBB128_70
; %bb.67:                               ;   in Loop: Header=BB128_2 Depth=1
	s_mov_b64 s[14:15], 0
	v_mov_b32_e32 v5, v56
	v_mov_b32_e32 v1, v57
.LBB128_68:                             ;   Parent Loop BB128_2 Depth=1
                                        ; =>  This Inner Loop Header: Depth=2
	v_sub_u32_e32 v2, v1, v5
	v_lshrrev_b32_e32 v2, 1, v2
	v_add_u32_e32 v4, v2, v5
	v_not_b32_e32 v3, v4
	v_lshl_add_u32 v2, v4, 3, v55
	v_lshl_add_u32 v6, v3, 3, v77
	ds_read_b64 v[2:3], v2
	ds_read_b64 v[6:7], v6
	v_add_u32_e32 v8, 1, v4
	s_waitcnt lgkmcnt(0)
	v_cmp_lt_i64_e64 s[10:11], v[6:7], v[2:3]
	v_cndmask_b32_e64 v1, v1, v4, s[10:11]
	v_cndmask_b32_e64 v5, v8, v5, s[10:11]
	v_cmp_ge_i32_e64 s[10:11], v5, v1
	s_or_b64 s[14:15], s[10:11], s[14:15]
	s_andn2_b64 exec, exec, s[14:15]
	s_cbranch_execnz .LBB128_68
; %bb.69:                               ;   in Loop: Header=BB128_2 Depth=1
	s_or_b64 exec, exec, s[14:15]
.LBB128_70:                             ;   in Loop: Header=BB128_2 Depth=1
	s_or_b64 exec, exec, s[12:13]
	v_sub_u32_e32 v9, v58, v5
	v_lshl_add_u32 v7, v5, 3, v55
	v_lshlrev_b32_e32 v11, 3, v9
	ds_read_b64 v[1:2], v7
	ds_read_b64 v[3:4], v11
	v_add_u32_e32 v10, v5, v52
	v_cmp_le_i32_e64 s[14:15], v53, v10
	v_cmp_gt_i32_e64 s[10:11], v54, v9
                                        ; implicit-def: $vgpr5_vgpr6
	s_waitcnt lgkmcnt(0)
	v_cmp_lt_i64_e64 s[12:13], v[3:4], v[1:2]
	s_or_b64 s[12:13], s[14:15], s[12:13]
	s_and_b64 s[10:11], s[10:11], s[12:13]
	s_xor_b64 s[12:13], s[10:11], -1
	s_and_saveexec_b64 s[14:15], s[12:13]
	s_xor_b64 s[12:13], exec, s[14:15]
; %bb.71:                               ;   in Loop: Header=BB128_2 Depth=1
	ds_read_b64 v[5:6], v7 offset:8
                                        ; implicit-def: $vgpr11
; %bb.72:                               ;   in Loop: Header=BB128_2 Depth=1
	s_or_saveexec_b64 s[12:13], s[12:13]
	v_mov_b32_e32 v8, v4
	v_mov_b32_e32 v7, v3
	s_xor_b64 exec, exec, s[12:13]
	s_cbranch_execz .LBB128_74
; %bb.73:                               ;   in Loop: Header=BB128_2 Depth=1
	ds_read_b64 v[7:8], v11 offset:8
	s_waitcnt lgkmcnt(1)
	v_mov_b32_e32 v6, v2
	v_mov_b32_e32 v5, v1
.LBB128_74:                             ;   in Loop: Header=BB128_2 Depth=1
	s_or_b64 exec, exec, s[12:13]
	v_add_u32_e32 v12, 1, v10
	v_add_u32_e32 v11, 1, v9
	v_cndmask_b32_e64 v14, v12, v10, s[10:11]
	s_waitcnt lgkmcnt(0)
	v_cmp_lt_i64_e64 s[14:15], v[7:8], v[5:6]
	v_cndmask_b32_e64 v13, v9, v11, s[10:11]
	v_cmp_ge_i32_e64 s[16:17], v14, v53
	v_cmp_lt_i32_e64 s[12:13], v13, v54
	s_or_b64 s[14:15], s[16:17], s[14:15]
	s_and_b64 s[12:13], s[12:13], s[14:15]
	s_xor_b64 s[14:15], s[12:13], -1
                                        ; implicit-def: $vgpr9_vgpr10
	s_and_saveexec_b64 s[16:17], s[14:15]
	s_xor_b64 s[14:15], exec, s[16:17]
; %bb.75:                               ;   in Loop: Header=BB128_2 Depth=1
	v_lshlrev_b32_e32 v9, 3, v14
	ds_read_b64 v[9:10], v9 offset:8
; %bb.76:                               ;   in Loop: Header=BB128_2 Depth=1
	s_or_saveexec_b64 s[14:15], s[14:15]
	v_mov_b32_e32 v12, v8
	v_mov_b32_e32 v11, v7
	s_xor_b64 exec, exec, s[14:15]
	s_cbranch_execz .LBB128_78
; %bb.77:                               ;   in Loop: Header=BB128_2 Depth=1
	s_waitcnt lgkmcnt(0)
	v_lshlrev_b32_e32 v9, 3, v13
	ds_read_b64 v[11:12], v9 offset:8
	v_mov_b32_e32 v10, v6
	v_mov_b32_e32 v9, v5
.LBB128_78:                             ;   in Loop: Header=BB128_2 Depth=1
	s_or_b64 exec, exec, s[14:15]
	v_add_u32_e32 v16, 1, v14
	v_add_u32_e32 v15, 1, v13
	v_cndmask_b32_e64 v18, v16, v14, s[12:13]
	s_waitcnt lgkmcnt(0)
	v_cmp_lt_i64_e64 s[16:17], v[11:12], v[9:10]
	v_cndmask_b32_e64 v17, v13, v15, s[12:13]
	v_cmp_ge_i32_e64 s[18:19], v18, v53
	v_cmp_lt_i32_e64 s[14:15], v17, v54
	s_or_b64 s[16:17], s[18:19], s[16:17]
	s_and_b64 s[14:15], s[14:15], s[16:17]
	s_xor_b64 s[16:17], s[14:15], -1
                                        ; implicit-def: $vgpr13_vgpr14
	s_and_saveexec_b64 s[18:19], s[16:17]
	s_xor_b64 s[16:17], exec, s[18:19]
; %bb.79:                               ;   in Loop: Header=BB128_2 Depth=1
	v_lshlrev_b32_e32 v13, 3, v18
	ds_read_b64 v[13:14], v13 offset:8
; %bb.80:                               ;   in Loop: Header=BB128_2 Depth=1
	s_or_saveexec_b64 s[16:17], s[16:17]
	v_mov_b32_e32 v16, v12
	v_mov_b32_e32 v15, v11
	s_xor_b64 exec, exec, s[16:17]
	s_cbranch_execz .LBB128_82
; %bb.81:                               ;   in Loop: Header=BB128_2 Depth=1
	s_waitcnt lgkmcnt(0)
	v_lshlrev_b32_e32 v13, 3, v17
	ds_read_b64 v[15:16], v13 offset:8
	v_mov_b32_e32 v14, v10
	v_mov_b32_e32 v13, v9
.LBB128_82:                             ;   in Loop: Header=BB128_2 Depth=1
	s_or_b64 exec, exec, s[16:17]
	v_add_u32_e32 v20, 1, v18
	v_add_u32_e32 v19, 1, v17
	v_cndmask_b32_e64 v22, v20, v18, s[14:15]
	s_waitcnt lgkmcnt(0)
	v_cmp_lt_i64_e64 s[18:19], v[15:16], v[13:14]
	v_cndmask_b32_e64 v21, v17, v19, s[14:15]
	v_cmp_ge_i32_e64 s[20:21], v22, v53
	v_cmp_lt_i32_e64 s[16:17], v21, v54
	s_or_b64 s[18:19], s[20:21], s[18:19]
	s_and_b64 s[16:17], s[16:17], s[18:19]
	s_xor_b64 s[18:19], s[16:17], -1
                                        ; implicit-def: $vgpr17_vgpr18
	s_and_saveexec_b64 s[20:21], s[18:19]
	s_xor_b64 s[18:19], exec, s[20:21]
; %bb.83:                               ;   in Loop: Header=BB128_2 Depth=1
	v_lshlrev_b32_e32 v17, 3, v22
	ds_read_b64 v[17:18], v17 offset:8
; %bb.84:                               ;   in Loop: Header=BB128_2 Depth=1
	s_or_saveexec_b64 s[18:19], s[18:19]
	v_mov_b32_e32 v20, v16
	v_mov_b32_e32 v19, v15
	s_xor_b64 exec, exec, s[18:19]
	s_cbranch_execz .LBB128_86
; %bb.85:                               ;   in Loop: Header=BB128_2 Depth=1
	s_waitcnt lgkmcnt(0)
	v_lshlrev_b32_e32 v17, 3, v21
	ds_read_b64 v[19:20], v17 offset:8
	v_mov_b32_e32 v18, v14
	v_mov_b32_e32 v17, v13
.LBB128_86:                             ;   in Loop: Header=BB128_2 Depth=1
	s_or_b64 exec, exec, s[18:19]
	v_add_u32_e32 v24, 1, v22
	v_add_u32_e32 v23, 1, v21
	v_cndmask_b32_e64 v26, v24, v22, s[16:17]
	s_waitcnt lgkmcnt(0)
	v_cmp_lt_i64_e64 s[20:21], v[19:20], v[17:18]
	v_cndmask_b32_e64 v25, v21, v23, s[16:17]
	v_cmp_ge_i32_e64 s[22:23], v26, v53
	v_cmp_lt_i32_e64 s[18:19], v25, v54
	s_or_b64 s[20:21], s[22:23], s[20:21]
	s_and_b64 s[18:19], s[18:19], s[20:21]
	s_xor_b64 s[20:21], s[18:19], -1
                                        ; implicit-def: $vgpr21_vgpr22
	s_and_saveexec_b64 s[22:23], s[20:21]
	s_xor_b64 s[20:21], exec, s[22:23]
; %bb.87:                               ;   in Loop: Header=BB128_2 Depth=1
	v_lshlrev_b32_e32 v21, 3, v26
	ds_read_b64 v[21:22], v21 offset:8
; %bb.88:                               ;   in Loop: Header=BB128_2 Depth=1
	s_or_saveexec_b64 s[20:21], s[20:21]
	v_mov_b32_e32 v24, v20
	v_mov_b32_e32 v23, v19
	s_xor_b64 exec, exec, s[20:21]
	s_cbranch_execz .LBB128_90
; %bb.89:                               ;   in Loop: Header=BB128_2 Depth=1
	s_waitcnt lgkmcnt(0)
	v_lshlrev_b32_e32 v21, 3, v25
	ds_read_b64 v[23:24], v21 offset:8
	v_mov_b32_e32 v22, v18
	v_mov_b32_e32 v21, v17
.LBB128_90:                             ;   in Loop: Header=BB128_2 Depth=1
	s_or_b64 exec, exec, s[20:21]
	v_add_u32_e32 v28, 1, v26
	v_add_u32_e32 v27, 1, v25
	v_cndmask_b32_e64 v30, v28, v26, s[18:19]
	s_waitcnt lgkmcnt(0)
	v_cmp_lt_i64_e64 s[22:23], v[23:24], v[21:22]
	v_cndmask_b32_e64 v29, v25, v27, s[18:19]
	v_cmp_ge_i32_e64 s[24:25], v30, v53
	v_cmp_lt_i32_e64 s[20:21], v29, v54
	s_or_b64 s[22:23], s[24:25], s[22:23]
	s_and_b64 s[20:21], s[20:21], s[22:23]
	s_xor_b64 s[22:23], s[20:21], -1
                                        ; implicit-def: $vgpr25_vgpr26
	s_and_saveexec_b64 s[24:25], s[22:23]
	s_xor_b64 s[22:23], exec, s[24:25]
; %bb.91:                               ;   in Loop: Header=BB128_2 Depth=1
	v_lshlrev_b32_e32 v25, 3, v30
	ds_read_b64 v[25:26], v25 offset:8
; %bb.92:                               ;   in Loop: Header=BB128_2 Depth=1
	s_or_saveexec_b64 s[22:23], s[22:23]
	v_mov_b32_e32 v28, v24
	v_mov_b32_e32 v27, v23
	s_xor_b64 exec, exec, s[22:23]
	s_cbranch_execz .LBB128_94
; %bb.93:                               ;   in Loop: Header=BB128_2 Depth=1
	s_waitcnt lgkmcnt(0)
	v_lshlrev_b32_e32 v25, 3, v29
	ds_read_b64 v[27:28], v25 offset:8
	v_mov_b32_e32 v26, v22
	v_mov_b32_e32 v25, v21
.LBB128_94:                             ;   in Loop: Header=BB128_2 Depth=1
	s_or_b64 exec, exec, s[22:23]
	v_add_u32_e32 v32, 1, v30
	v_add_u32_e32 v31, 1, v29
	v_cndmask_b32_e64 v34, v32, v30, s[20:21]
	s_waitcnt lgkmcnt(0)
	v_cmp_lt_i64_e64 s[24:25], v[27:28], v[25:26]
	v_cndmask_b32_e64 v33, v29, v31, s[20:21]
	v_cmp_ge_i32_e64 s[26:27], v34, v53
	v_cmp_lt_i32_e64 s[22:23], v33, v54
	s_or_b64 s[24:25], s[26:27], s[24:25]
	s_and_b64 s[22:23], s[22:23], s[24:25]
	s_xor_b64 s[24:25], s[22:23], -1
                                        ; implicit-def: $vgpr29_vgpr30
	s_and_saveexec_b64 s[26:27], s[24:25]
	s_xor_b64 s[24:25], exec, s[26:27]
; %bb.95:                               ;   in Loop: Header=BB128_2 Depth=1
	v_lshlrev_b32_e32 v29, 3, v34
	ds_read_b64 v[29:30], v29 offset:8
; %bb.96:                               ;   in Loop: Header=BB128_2 Depth=1
	s_or_saveexec_b64 s[24:25], s[24:25]
	v_mov_b32_e32 v32, v28
	v_mov_b32_e32 v31, v27
	s_xor_b64 exec, exec, s[24:25]
	s_cbranch_execz .LBB128_98
; %bb.97:                               ;   in Loop: Header=BB128_2 Depth=1
	s_waitcnt lgkmcnt(0)
	v_lshlrev_b32_e32 v29, 3, v33
	ds_read_b64 v[31:32], v29 offset:8
	v_mov_b32_e32 v30, v26
	v_mov_b32_e32 v29, v25
.LBB128_98:                             ;   in Loop: Header=BB128_2 Depth=1
	s_or_b64 exec, exec, s[24:25]
	v_cndmask_b32_e64 v26, v26, v28, s[22:23]
	v_add_u32_e32 v28, 1, v34
	v_cndmask_b32_e64 v25, v25, v27, s[22:23]
	v_add_u32_e32 v27, 1, v33
	v_cndmask_b32_e64 v28, v28, v34, s[22:23]
	v_cndmask_b32_e64 v6, v6, v8, s[12:13]
	;; [unrolled: 1-line block ×3, first 2 shown]
	s_waitcnt lgkmcnt(0)
	v_cmp_lt_i64_e64 s[12:13], v[31:32], v[29:30]
	v_cndmask_b32_e64 v27, v33, v27, s[22:23]
	v_cndmask_b32_e64 v10, v10, v12, s[14:15]
	;; [unrolled: 1-line block ×3, first 2 shown]
	v_cmp_ge_i32_e64 s[14:15], v28, v53
	v_cndmask_b32_e64 v2, v2, v4, s[10:11]
	v_cndmask_b32_e64 v1, v1, v3, s[10:11]
	v_cmp_lt_i32_e64 s[10:11], v27, v54
	s_or_b64 s[12:13], s[14:15], s[12:13]
	s_and_b64 s[10:11], s[10:11], s[12:13]
	v_cndmask_b32_e64 v22, v22, v24, s[20:21]
	v_cndmask_b32_e64 v21, v21, v23, s[20:21]
	v_cndmask_b32_e64 v18, v18, v20, s[18:19]
	v_cndmask_b32_e64 v17, v17, v19, s[18:19]
	v_cndmask_b32_e64 v14, v14, v16, s[16:17]
	v_cndmask_b32_e64 v13, v13, v15, s[16:17]
	v_cndmask_b32_e64 v4, v30, v32, s[10:11]
	v_cndmask_b32_e64 v3, v29, v31, s[10:11]
	; wave barrier
	ds_write2_b64 v37, v[1:2], v[5:6] offset1:1
	ds_write2_b64 v37, v[9:10], v[13:14] offset0:2 offset1:3
	ds_write2_b64 v37, v[17:18], v[21:22] offset0:4 offset1:5
	ds_write2_b64 v37, v[25:26], v[3:4] offset0:6 offset1:7
	v_mov_b32_e32 v5, v62
	s_waitcnt lgkmcnt(0)
	; wave barrier
	s_and_saveexec_b64 s[12:13], s[4:5]
	s_cbranch_execz .LBB128_102
; %bb.99:                               ;   in Loop: Header=BB128_2 Depth=1
	s_mov_b64 s[14:15], 0
	v_mov_b32_e32 v5, v62
	v_mov_b32_e32 v1, v63
.LBB128_100:                            ;   Parent Loop BB128_2 Depth=1
                                        ; =>  This Inner Loop Header: Depth=2
	v_sub_u32_e32 v2, v1, v5
	v_lshrrev_b32_e32 v2, 1, v2
	v_add_u32_e32 v4, v2, v5
	v_not_b32_e32 v3, v4
	v_lshl_add_u32 v2, v4, 3, v80
	v_lshl_add_u32 v6, v3, 3, v78
	ds_read_b64 v[2:3], v2
	ds_read_b64 v[6:7], v6
	v_add_u32_e32 v8, 1, v4
	s_waitcnt lgkmcnt(0)
	v_cmp_lt_i64_e64 s[10:11], v[6:7], v[2:3]
	v_cndmask_b32_e64 v1, v1, v4, s[10:11]
	v_cndmask_b32_e64 v5, v8, v5, s[10:11]
	v_cmp_ge_i32_e64 s[10:11], v5, v1
	s_or_b64 s[14:15], s[10:11], s[14:15]
	s_andn2_b64 exec, exec, s[14:15]
	s_cbranch_execnz .LBB128_100
; %bb.101:                              ;   in Loop: Header=BB128_2 Depth=1
	s_or_b64 exec, exec, s[14:15]
.LBB128_102:                            ;   in Loop: Header=BB128_2 Depth=1
	s_or_b64 exec, exec, s[12:13]
	v_sub_u32_e32 v9, v64, v5
	v_lshl_add_u32 v7, v5, 3, v80
	v_lshlrev_b32_e32 v11, 3, v9
	ds_read_b64 v[1:2], v7
	ds_read_b64 v[3:4], v11
	v_add_u32_e32 v10, v5, v59
	v_cmp_le_i32_e64 s[14:15], v60, v10
	v_cmp_gt_i32_e64 s[10:11], v61, v9
                                        ; implicit-def: $vgpr5_vgpr6
	s_waitcnt lgkmcnt(0)
	v_cmp_lt_i64_e64 s[12:13], v[3:4], v[1:2]
	s_or_b64 s[12:13], s[14:15], s[12:13]
	s_and_b64 s[10:11], s[10:11], s[12:13]
	s_xor_b64 s[12:13], s[10:11], -1
	s_and_saveexec_b64 s[14:15], s[12:13]
	s_xor_b64 s[12:13], exec, s[14:15]
; %bb.103:                              ;   in Loop: Header=BB128_2 Depth=1
	ds_read_b64 v[5:6], v7 offset:8
                                        ; implicit-def: $vgpr11
; %bb.104:                              ;   in Loop: Header=BB128_2 Depth=1
	s_or_saveexec_b64 s[12:13], s[12:13]
	v_mov_b32_e32 v8, v4
	v_mov_b32_e32 v7, v3
	s_xor_b64 exec, exec, s[12:13]
	s_cbranch_execz .LBB128_106
; %bb.105:                              ;   in Loop: Header=BB128_2 Depth=1
	ds_read_b64 v[7:8], v11 offset:8
	s_waitcnt lgkmcnt(1)
	v_mov_b32_e32 v6, v2
	v_mov_b32_e32 v5, v1
.LBB128_106:                            ;   in Loop: Header=BB128_2 Depth=1
	s_or_b64 exec, exec, s[12:13]
	v_add_u32_e32 v12, 1, v10
	v_add_u32_e32 v11, 1, v9
	v_cndmask_b32_e64 v14, v12, v10, s[10:11]
	s_waitcnt lgkmcnt(0)
	v_cmp_lt_i64_e64 s[14:15], v[7:8], v[5:6]
	v_cndmask_b32_e64 v13, v9, v11, s[10:11]
	v_cmp_ge_i32_e64 s[16:17], v14, v60
	v_cmp_lt_i32_e64 s[12:13], v13, v61
	s_or_b64 s[14:15], s[16:17], s[14:15]
	s_and_b64 s[12:13], s[12:13], s[14:15]
	s_xor_b64 s[14:15], s[12:13], -1
                                        ; implicit-def: $vgpr9_vgpr10
	s_and_saveexec_b64 s[16:17], s[14:15]
	s_xor_b64 s[14:15], exec, s[16:17]
; %bb.107:                              ;   in Loop: Header=BB128_2 Depth=1
	v_lshlrev_b32_e32 v9, 3, v14
	ds_read_b64 v[9:10], v9 offset:8
; %bb.108:                              ;   in Loop: Header=BB128_2 Depth=1
	s_or_saveexec_b64 s[14:15], s[14:15]
	v_mov_b32_e32 v12, v8
	v_mov_b32_e32 v11, v7
	s_xor_b64 exec, exec, s[14:15]
	s_cbranch_execz .LBB128_110
; %bb.109:                              ;   in Loop: Header=BB128_2 Depth=1
	s_waitcnt lgkmcnt(0)
	v_lshlrev_b32_e32 v9, 3, v13
	ds_read_b64 v[11:12], v9 offset:8
	v_mov_b32_e32 v10, v6
	v_mov_b32_e32 v9, v5
.LBB128_110:                            ;   in Loop: Header=BB128_2 Depth=1
	s_or_b64 exec, exec, s[14:15]
	v_add_u32_e32 v16, 1, v14
	v_add_u32_e32 v15, 1, v13
	v_cndmask_b32_e64 v18, v16, v14, s[12:13]
	s_waitcnt lgkmcnt(0)
	v_cmp_lt_i64_e64 s[16:17], v[11:12], v[9:10]
	v_cndmask_b32_e64 v17, v13, v15, s[12:13]
	v_cmp_ge_i32_e64 s[18:19], v18, v60
	v_cmp_lt_i32_e64 s[14:15], v17, v61
	s_or_b64 s[16:17], s[18:19], s[16:17]
	s_and_b64 s[14:15], s[14:15], s[16:17]
	s_xor_b64 s[16:17], s[14:15], -1
                                        ; implicit-def: $vgpr13_vgpr14
	s_and_saveexec_b64 s[18:19], s[16:17]
	s_xor_b64 s[16:17], exec, s[18:19]
; %bb.111:                              ;   in Loop: Header=BB128_2 Depth=1
	v_lshlrev_b32_e32 v13, 3, v18
	ds_read_b64 v[13:14], v13 offset:8
; %bb.112:                              ;   in Loop: Header=BB128_2 Depth=1
	s_or_saveexec_b64 s[16:17], s[16:17]
	v_mov_b32_e32 v16, v12
	v_mov_b32_e32 v15, v11
	s_xor_b64 exec, exec, s[16:17]
	s_cbranch_execz .LBB128_114
; %bb.113:                              ;   in Loop: Header=BB128_2 Depth=1
	s_waitcnt lgkmcnt(0)
	v_lshlrev_b32_e32 v13, 3, v17
	ds_read_b64 v[15:16], v13 offset:8
	v_mov_b32_e32 v14, v10
	v_mov_b32_e32 v13, v9
.LBB128_114:                            ;   in Loop: Header=BB128_2 Depth=1
	s_or_b64 exec, exec, s[16:17]
	v_add_u32_e32 v20, 1, v18
	v_add_u32_e32 v19, 1, v17
	v_cndmask_b32_e64 v22, v20, v18, s[14:15]
	s_waitcnt lgkmcnt(0)
	v_cmp_lt_i64_e64 s[18:19], v[15:16], v[13:14]
	v_cndmask_b32_e64 v21, v17, v19, s[14:15]
	v_cmp_ge_i32_e64 s[20:21], v22, v60
	v_cmp_lt_i32_e64 s[16:17], v21, v61
	s_or_b64 s[18:19], s[20:21], s[18:19]
	s_and_b64 s[16:17], s[16:17], s[18:19]
	s_xor_b64 s[18:19], s[16:17], -1
                                        ; implicit-def: $vgpr17_vgpr18
	s_and_saveexec_b64 s[20:21], s[18:19]
	s_xor_b64 s[18:19], exec, s[20:21]
; %bb.115:                              ;   in Loop: Header=BB128_2 Depth=1
	v_lshlrev_b32_e32 v17, 3, v22
	ds_read_b64 v[17:18], v17 offset:8
; %bb.116:                              ;   in Loop: Header=BB128_2 Depth=1
	s_or_saveexec_b64 s[18:19], s[18:19]
	v_mov_b32_e32 v20, v16
	v_mov_b32_e32 v19, v15
	s_xor_b64 exec, exec, s[18:19]
	s_cbranch_execz .LBB128_118
; %bb.117:                              ;   in Loop: Header=BB128_2 Depth=1
	s_waitcnt lgkmcnt(0)
	v_lshlrev_b32_e32 v17, 3, v21
	ds_read_b64 v[19:20], v17 offset:8
	v_mov_b32_e32 v18, v14
	v_mov_b32_e32 v17, v13
.LBB128_118:                            ;   in Loop: Header=BB128_2 Depth=1
	s_or_b64 exec, exec, s[18:19]
	v_add_u32_e32 v24, 1, v22
	v_add_u32_e32 v23, 1, v21
	v_cndmask_b32_e64 v26, v24, v22, s[16:17]
	s_waitcnt lgkmcnt(0)
	v_cmp_lt_i64_e64 s[20:21], v[19:20], v[17:18]
	v_cndmask_b32_e64 v25, v21, v23, s[16:17]
	v_cmp_ge_i32_e64 s[22:23], v26, v60
	v_cmp_lt_i32_e64 s[18:19], v25, v61
	s_or_b64 s[20:21], s[22:23], s[20:21]
	s_and_b64 s[18:19], s[18:19], s[20:21]
	s_xor_b64 s[20:21], s[18:19], -1
                                        ; implicit-def: $vgpr21_vgpr22
	s_and_saveexec_b64 s[22:23], s[20:21]
	s_xor_b64 s[20:21], exec, s[22:23]
; %bb.119:                              ;   in Loop: Header=BB128_2 Depth=1
	v_lshlrev_b32_e32 v21, 3, v26
	ds_read_b64 v[21:22], v21 offset:8
; %bb.120:                              ;   in Loop: Header=BB128_2 Depth=1
	s_or_saveexec_b64 s[20:21], s[20:21]
	v_mov_b32_e32 v24, v20
	v_mov_b32_e32 v23, v19
	s_xor_b64 exec, exec, s[20:21]
	s_cbranch_execz .LBB128_122
; %bb.121:                              ;   in Loop: Header=BB128_2 Depth=1
	s_waitcnt lgkmcnt(0)
	v_lshlrev_b32_e32 v21, 3, v25
	ds_read_b64 v[23:24], v21 offset:8
	v_mov_b32_e32 v22, v18
	v_mov_b32_e32 v21, v17
.LBB128_122:                            ;   in Loop: Header=BB128_2 Depth=1
	s_or_b64 exec, exec, s[20:21]
	v_add_u32_e32 v28, 1, v26
	v_add_u32_e32 v27, 1, v25
	v_cndmask_b32_e64 v30, v28, v26, s[18:19]
	s_waitcnt lgkmcnt(0)
	v_cmp_lt_i64_e64 s[22:23], v[23:24], v[21:22]
	v_cndmask_b32_e64 v29, v25, v27, s[18:19]
	v_cmp_ge_i32_e64 s[24:25], v30, v60
	v_cmp_lt_i32_e64 s[20:21], v29, v61
	s_or_b64 s[22:23], s[24:25], s[22:23]
	s_and_b64 s[20:21], s[20:21], s[22:23]
	s_xor_b64 s[22:23], s[20:21], -1
                                        ; implicit-def: $vgpr25_vgpr26
	s_and_saveexec_b64 s[24:25], s[22:23]
	s_xor_b64 s[22:23], exec, s[24:25]
; %bb.123:                              ;   in Loop: Header=BB128_2 Depth=1
	v_lshlrev_b32_e32 v25, 3, v30
	ds_read_b64 v[25:26], v25 offset:8
; %bb.124:                              ;   in Loop: Header=BB128_2 Depth=1
	s_or_saveexec_b64 s[22:23], s[22:23]
	v_mov_b32_e32 v28, v24
	v_mov_b32_e32 v27, v23
	s_xor_b64 exec, exec, s[22:23]
	s_cbranch_execz .LBB128_126
; %bb.125:                              ;   in Loop: Header=BB128_2 Depth=1
	s_waitcnt lgkmcnt(0)
	v_lshlrev_b32_e32 v25, 3, v29
	ds_read_b64 v[27:28], v25 offset:8
	v_mov_b32_e32 v26, v22
	v_mov_b32_e32 v25, v21
.LBB128_126:                            ;   in Loop: Header=BB128_2 Depth=1
	s_or_b64 exec, exec, s[22:23]
	v_add_u32_e32 v32, 1, v30
	v_add_u32_e32 v31, 1, v29
	v_cndmask_b32_e64 v34, v32, v30, s[20:21]
	s_waitcnt lgkmcnt(0)
	v_cmp_lt_i64_e64 s[24:25], v[27:28], v[25:26]
	v_cndmask_b32_e64 v33, v29, v31, s[20:21]
	v_cmp_ge_i32_e64 s[26:27], v34, v60
	v_cmp_lt_i32_e64 s[22:23], v33, v61
	s_or_b64 s[24:25], s[26:27], s[24:25]
	s_and_b64 s[22:23], s[22:23], s[24:25]
	s_xor_b64 s[24:25], s[22:23], -1
                                        ; implicit-def: $vgpr29_vgpr30
	s_and_saveexec_b64 s[26:27], s[24:25]
	s_xor_b64 s[24:25], exec, s[26:27]
; %bb.127:                              ;   in Loop: Header=BB128_2 Depth=1
	v_lshlrev_b32_e32 v29, 3, v34
	ds_read_b64 v[29:30], v29 offset:8
; %bb.128:                              ;   in Loop: Header=BB128_2 Depth=1
	s_or_saveexec_b64 s[24:25], s[24:25]
	v_mov_b32_e32 v32, v28
	v_mov_b32_e32 v31, v27
	s_xor_b64 exec, exec, s[24:25]
	s_cbranch_execz .LBB128_130
; %bb.129:                              ;   in Loop: Header=BB128_2 Depth=1
	s_waitcnt lgkmcnt(0)
	v_lshlrev_b32_e32 v29, 3, v33
	ds_read_b64 v[31:32], v29 offset:8
	v_mov_b32_e32 v30, v26
	v_mov_b32_e32 v29, v25
.LBB128_130:                            ;   in Loop: Header=BB128_2 Depth=1
	s_or_b64 exec, exec, s[24:25]
	v_cndmask_b32_e64 v26, v26, v28, s[22:23]
	v_add_u32_e32 v28, 1, v34
	v_cndmask_b32_e64 v25, v25, v27, s[22:23]
	v_add_u32_e32 v27, 1, v33
	v_cndmask_b32_e64 v28, v28, v34, s[22:23]
	v_cndmask_b32_e64 v6, v6, v8, s[12:13]
	;; [unrolled: 1-line block ×3, first 2 shown]
	s_waitcnt lgkmcnt(0)
	v_cmp_lt_i64_e64 s[12:13], v[31:32], v[29:30]
	v_cndmask_b32_e64 v27, v33, v27, s[22:23]
	v_cndmask_b32_e64 v10, v10, v12, s[14:15]
	;; [unrolled: 1-line block ×3, first 2 shown]
	v_cmp_ge_i32_e64 s[14:15], v28, v60
	v_cndmask_b32_e64 v2, v2, v4, s[10:11]
	v_cndmask_b32_e64 v1, v1, v3, s[10:11]
	v_cmp_lt_i32_e64 s[10:11], v27, v61
	s_or_b64 s[12:13], s[14:15], s[12:13]
	s_and_b64 s[10:11], s[10:11], s[12:13]
	v_cndmask_b32_e64 v22, v22, v24, s[20:21]
	v_cndmask_b32_e64 v21, v21, v23, s[20:21]
	;; [unrolled: 1-line block ×8, first 2 shown]
	; wave barrier
	ds_write2_b64 v37, v[1:2], v[5:6] offset1:1
	ds_write2_b64 v37, v[9:10], v[13:14] offset0:2 offset1:3
	ds_write2_b64 v37, v[17:18], v[21:22] offset0:4 offset1:5
	;; [unrolled: 1-line block ×3, first 2 shown]
	v_mov_b32_e32 v5, v69
	s_waitcnt lgkmcnt(0)
	; wave barrier
	s_and_saveexec_b64 s[12:13], s[6:7]
	s_cbranch_execz .LBB128_134
; %bb.131:                              ;   in Loop: Header=BB128_2 Depth=1
	s_mov_b64 s[14:15], 0
	v_mov_b32_e32 v5, v69
	v_mov_b32_e32 v1, v70
.LBB128_132:                            ;   Parent Loop BB128_2 Depth=1
                                        ; =>  This Inner Loop Header: Depth=2
	v_sub_u32_e32 v2, v1, v5
	v_lshrrev_b32_e32 v2, 1, v2
	v_add_u32_e32 v4, v2, v5
	v_not_b32_e32 v3, v4
	v_lshl_add_u32 v2, v4, 3, v81
	v_lshl_add_u32 v6, v3, 3, v79
	ds_read_b64 v[2:3], v2
	ds_read_b64 v[6:7], v6
	v_add_u32_e32 v8, 1, v4
	s_waitcnt lgkmcnt(0)
	v_cmp_lt_i64_e64 s[10:11], v[6:7], v[2:3]
	v_cndmask_b32_e64 v1, v1, v4, s[10:11]
	v_cndmask_b32_e64 v5, v8, v5, s[10:11]
	v_cmp_ge_i32_e64 s[10:11], v5, v1
	s_or_b64 s[14:15], s[10:11], s[14:15]
	s_andn2_b64 exec, exec, s[14:15]
	s_cbranch_execnz .LBB128_132
; %bb.133:                              ;   in Loop: Header=BB128_2 Depth=1
	s_or_b64 exec, exec, s[14:15]
.LBB128_134:                            ;   in Loop: Header=BB128_2 Depth=1
	s_or_b64 exec, exec, s[12:13]
	v_sub_u32_e32 v9, v71, v5
	v_lshl_add_u32 v7, v5, 3, v81
	v_lshlrev_b32_e32 v11, 3, v9
	ds_read_b64 v[1:2], v7
	ds_read_b64 v[3:4], v11
	v_add_u32_e32 v10, v5, v66
	v_cmp_le_i32_e64 s[14:15], v67, v10
	v_cmp_gt_i32_e64 s[10:11], v68, v9
                                        ; implicit-def: $vgpr5_vgpr6
	s_waitcnt lgkmcnt(0)
	v_cmp_lt_i64_e64 s[12:13], v[3:4], v[1:2]
	s_or_b64 s[12:13], s[14:15], s[12:13]
	s_and_b64 s[10:11], s[10:11], s[12:13]
	s_xor_b64 s[12:13], s[10:11], -1
	s_and_saveexec_b64 s[14:15], s[12:13]
	s_xor_b64 s[12:13], exec, s[14:15]
; %bb.135:                              ;   in Loop: Header=BB128_2 Depth=1
	ds_read_b64 v[5:6], v7 offset:8
                                        ; implicit-def: $vgpr11
; %bb.136:                              ;   in Loop: Header=BB128_2 Depth=1
	s_or_saveexec_b64 s[12:13], s[12:13]
	v_mov_b32_e32 v8, v4
	v_mov_b32_e32 v7, v3
	s_xor_b64 exec, exec, s[12:13]
	s_cbranch_execz .LBB128_138
; %bb.137:                              ;   in Loop: Header=BB128_2 Depth=1
	ds_read_b64 v[7:8], v11 offset:8
	s_waitcnt lgkmcnt(1)
	v_mov_b32_e32 v6, v2
	v_mov_b32_e32 v5, v1
.LBB128_138:                            ;   in Loop: Header=BB128_2 Depth=1
	s_or_b64 exec, exec, s[12:13]
	v_add_u32_e32 v12, 1, v10
	v_add_u32_e32 v11, 1, v9
	v_cndmask_b32_e64 v14, v12, v10, s[10:11]
	s_waitcnt lgkmcnt(0)
	v_cmp_lt_i64_e64 s[14:15], v[7:8], v[5:6]
	v_cndmask_b32_e64 v13, v9, v11, s[10:11]
	v_cmp_ge_i32_e64 s[16:17], v14, v67
	v_cmp_lt_i32_e64 s[12:13], v13, v68
	s_or_b64 s[14:15], s[16:17], s[14:15]
	s_and_b64 s[12:13], s[12:13], s[14:15]
	s_xor_b64 s[14:15], s[12:13], -1
                                        ; implicit-def: $vgpr9_vgpr10
	s_and_saveexec_b64 s[16:17], s[14:15]
	s_xor_b64 s[14:15], exec, s[16:17]
; %bb.139:                              ;   in Loop: Header=BB128_2 Depth=1
	v_lshlrev_b32_e32 v9, 3, v14
	ds_read_b64 v[9:10], v9 offset:8
; %bb.140:                              ;   in Loop: Header=BB128_2 Depth=1
	s_or_saveexec_b64 s[14:15], s[14:15]
	v_mov_b32_e32 v12, v8
	v_mov_b32_e32 v11, v7
	s_xor_b64 exec, exec, s[14:15]
	s_cbranch_execz .LBB128_142
; %bb.141:                              ;   in Loop: Header=BB128_2 Depth=1
	s_waitcnt lgkmcnt(0)
	v_lshlrev_b32_e32 v9, 3, v13
	ds_read_b64 v[11:12], v9 offset:8
	v_mov_b32_e32 v10, v6
	v_mov_b32_e32 v9, v5
.LBB128_142:                            ;   in Loop: Header=BB128_2 Depth=1
	s_or_b64 exec, exec, s[14:15]
	v_add_u32_e32 v16, 1, v14
	v_add_u32_e32 v15, 1, v13
	v_cndmask_b32_e64 v18, v16, v14, s[12:13]
	s_waitcnt lgkmcnt(0)
	v_cmp_lt_i64_e64 s[16:17], v[11:12], v[9:10]
	v_cndmask_b32_e64 v17, v13, v15, s[12:13]
	v_cmp_ge_i32_e64 s[18:19], v18, v67
	v_cmp_lt_i32_e64 s[14:15], v17, v68
	s_or_b64 s[16:17], s[18:19], s[16:17]
	s_and_b64 s[14:15], s[14:15], s[16:17]
	s_xor_b64 s[16:17], s[14:15], -1
                                        ; implicit-def: $vgpr13_vgpr14
	s_and_saveexec_b64 s[18:19], s[16:17]
	s_xor_b64 s[16:17], exec, s[18:19]
; %bb.143:                              ;   in Loop: Header=BB128_2 Depth=1
	v_lshlrev_b32_e32 v13, 3, v18
	ds_read_b64 v[13:14], v13 offset:8
; %bb.144:                              ;   in Loop: Header=BB128_2 Depth=1
	s_or_saveexec_b64 s[16:17], s[16:17]
	v_mov_b32_e32 v16, v12
	v_mov_b32_e32 v15, v11
	s_xor_b64 exec, exec, s[16:17]
	s_cbranch_execz .LBB128_146
; %bb.145:                              ;   in Loop: Header=BB128_2 Depth=1
	s_waitcnt lgkmcnt(0)
	v_lshlrev_b32_e32 v13, 3, v17
	ds_read_b64 v[15:16], v13 offset:8
	v_mov_b32_e32 v14, v10
	v_mov_b32_e32 v13, v9
.LBB128_146:                            ;   in Loop: Header=BB128_2 Depth=1
	s_or_b64 exec, exec, s[16:17]
	v_add_u32_e32 v20, 1, v18
	v_add_u32_e32 v19, 1, v17
	v_cndmask_b32_e64 v22, v20, v18, s[14:15]
	s_waitcnt lgkmcnt(0)
	v_cmp_lt_i64_e64 s[18:19], v[15:16], v[13:14]
	v_cndmask_b32_e64 v21, v17, v19, s[14:15]
	v_cmp_ge_i32_e64 s[20:21], v22, v67
	v_cmp_lt_i32_e64 s[16:17], v21, v68
	s_or_b64 s[18:19], s[20:21], s[18:19]
	s_and_b64 s[16:17], s[16:17], s[18:19]
	s_xor_b64 s[18:19], s[16:17], -1
                                        ; implicit-def: $vgpr17_vgpr18
	s_and_saveexec_b64 s[20:21], s[18:19]
	s_xor_b64 s[18:19], exec, s[20:21]
; %bb.147:                              ;   in Loop: Header=BB128_2 Depth=1
	v_lshlrev_b32_e32 v17, 3, v22
	ds_read_b64 v[17:18], v17 offset:8
; %bb.148:                              ;   in Loop: Header=BB128_2 Depth=1
	s_or_saveexec_b64 s[18:19], s[18:19]
	v_mov_b32_e32 v20, v16
	v_mov_b32_e32 v19, v15
	s_xor_b64 exec, exec, s[18:19]
	s_cbranch_execz .LBB128_150
; %bb.149:                              ;   in Loop: Header=BB128_2 Depth=1
	s_waitcnt lgkmcnt(0)
	v_lshlrev_b32_e32 v17, 3, v21
	ds_read_b64 v[19:20], v17 offset:8
	v_mov_b32_e32 v18, v14
	v_mov_b32_e32 v17, v13
.LBB128_150:                            ;   in Loop: Header=BB128_2 Depth=1
	s_or_b64 exec, exec, s[18:19]
	v_add_u32_e32 v24, 1, v22
	v_add_u32_e32 v23, 1, v21
	v_cndmask_b32_e64 v26, v24, v22, s[16:17]
	s_waitcnt lgkmcnt(0)
	v_cmp_lt_i64_e64 s[20:21], v[19:20], v[17:18]
	v_cndmask_b32_e64 v25, v21, v23, s[16:17]
	v_cmp_ge_i32_e64 s[22:23], v26, v67
	v_cmp_lt_i32_e64 s[18:19], v25, v68
	s_or_b64 s[20:21], s[22:23], s[20:21]
	s_and_b64 s[18:19], s[18:19], s[20:21]
	s_xor_b64 s[20:21], s[18:19], -1
                                        ; implicit-def: $vgpr21_vgpr22
	s_and_saveexec_b64 s[22:23], s[20:21]
	s_xor_b64 s[20:21], exec, s[22:23]
; %bb.151:                              ;   in Loop: Header=BB128_2 Depth=1
	v_lshlrev_b32_e32 v21, 3, v26
	ds_read_b64 v[21:22], v21 offset:8
; %bb.152:                              ;   in Loop: Header=BB128_2 Depth=1
	s_or_saveexec_b64 s[20:21], s[20:21]
	v_mov_b32_e32 v24, v20
	v_mov_b32_e32 v23, v19
	s_xor_b64 exec, exec, s[20:21]
	s_cbranch_execz .LBB128_154
; %bb.153:                              ;   in Loop: Header=BB128_2 Depth=1
	s_waitcnt lgkmcnt(0)
	v_lshlrev_b32_e32 v21, 3, v25
	ds_read_b64 v[23:24], v21 offset:8
	v_mov_b32_e32 v22, v18
	v_mov_b32_e32 v21, v17
.LBB128_154:                            ;   in Loop: Header=BB128_2 Depth=1
	s_or_b64 exec, exec, s[20:21]
	v_add_u32_e32 v28, 1, v26
	v_add_u32_e32 v27, 1, v25
	v_cndmask_b32_e64 v30, v28, v26, s[18:19]
	s_waitcnt lgkmcnt(0)
	v_cmp_lt_i64_e64 s[22:23], v[23:24], v[21:22]
	v_cndmask_b32_e64 v29, v25, v27, s[18:19]
	v_cmp_ge_i32_e64 s[24:25], v30, v67
	v_cmp_lt_i32_e64 s[20:21], v29, v68
	s_or_b64 s[22:23], s[24:25], s[22:23]
	s_and_b64 s[20:21], s[20:21], s[22:23]
	s_xor_b64 s[22:23], s[20:21], -1
                                        ; implicit-def: $vgpr25_vgpr26
	s_and_saveexec_b64 s[24:25], s[22:23]
	s_xor_b64 s[22:23], exec, s[24:25]
; %bb.155:                              ;   in Loop: Header=BB128_2 Depth=1
	v_lshlrev_b32_e32 v25, 3, v30
	ds_read_b64 v[25:26], v25 offset:8
; %bb.156:                              ;   in Loop: Header=BB128_2 Depth=1
	s_or_saveexec_b64 s[22:23], s[22:23]
	v_mov_b32_e32 v28, v24
	v_mov_b32_e32 v27, v23
	s_xor_b64 exec, exec, s[22:23]
	s_cbranch_execz .LBB128_158
; %bb.157:                              ;   in Loop: Header=BB128_2 Depth=1
	s_waitcnt lgkmcnt(0)
	v_lshlrev_b32_e32 v25, 3, v29
	ds_read_b64 v[27:28], v25 offset:8
	v_mov_b32_e32 v26, v22
	v_mov_b32_e32 v25, v21
.LBB128_158:                            ;   in Loop: Header=BB128_2 Depth=1
	s_or_b64 exec, exec, s[22:23]
	v_add_u32_e32 v32, 1, v30
	v_add_u32_e32 v31, 1, v29
	v_cndmask_b32_e64 v34, v32, v30, s[20:21]
	s_waitcnt lgkmcnt(0)
	v_cmp_lt_i64_e64 s[24:25], v[27:28], v[25:26]
	v_cndmask_b32_e64 v33, v29, v31, s[20:21]
	v_cmp_ge_i32_e64 s[26:27], v34, v67
	v_cmp_lt_i32_e64 s[22:23], v33, v68
	s_or_b64 s[24:25], s[26:27], s[24:25]
	s_and_b64 s[22:23], s[22:23], s[24:25]
	s_xor_b64 s[24:25], s[22:23], -1
                                        ; implicit-def: $vgpr29_vgpr30
	s_and_saveexec_b64 s[26:27], s[24:25]
	s_xor_b64 s[24:25], exec, s[26:27]
; %bb.159:                              ;   in Loop: Header=BB128_2 Depth=1
	v_lshlrev_b32_e32 v29, 3, v34
	ds_read_b64 v[29:30], v29 offset:8
; %bb.160:                              ;   in Loop: Header=BB128_2 Depth=1
	s_or_saveexec_b64 s[24:25], s[24:25]
	v_mov_b32_e32 v32, v28
	v_mov_b32_e32 v31, v27
	s_xor_b64 exec, exec, s[24:25]
	s_cbranch_execz .LBB128_162
; %bb.161:                              ;   in Loop: Header=BB128_2 Depth=1
	s_waitcnt lgkmcnt(0)
	v_lshlrev_b32_e32 v29, 3, v33
	ds_read_b64 v[31:32], v29 offset:8
	v_mov_b32_e32 v30, v26
	v_mov_b32_e32 v29, v25
.LBB128_162:                            ;   in Loop: Header=BB128_2 Depth=1
	s_or_b64 exec, exec, s[24:25]
	v_cndmask_b32_e64 v26, v26, v28, s[22:23]
	v_add_u32_e32 v28, 1, v34
	v_cndmask_b32_e64 v25, v25, v27, s[22:23]
	v_add_u32_e32 v27, 1, v33
	v_cndmask_b32_e64 v28, v28, v34, s[22:23]
	v_cndmask_b32_e64 v6, v6, v8, s[12:13]
	;; [unrolled: 1-line block ×3, first 2 shown]
	s_waitcnt lgkmcnt(0)
	v_cmp_lt_i64_e64 s[12:13], v[31:32], v[29:30]
	v_cndmask_b32_e64 v27, v33, v27, s[22:23]
	v_cndmask_b32_e64 v10, v10, v12, s[14:15]
	v_cndmask_b32_e64 v9, v9, v11, s[14:15]
	v_cmp_ge_i32_e64 s[14:15], v28, v67
	v_cndmask_b32_e64 v2, v2, v4, s[10:11]
	v_cndmask_b32_e64 v1, v1, v3, s[10:11]
	v_cmp_lt_i32_e64 s[10:11], v27, v68
	s_or_b64 s[12:13], s[14:15], s[12:13]
	s_and_b64 s[10:11], s[10:11], s[12:13]
	v_cndmask_b32_e64 v22, v22, v24, s[20:21]
	v_cndmask_b32_e64 v21, v21, v23, s[20:21]
	;; [unrolled: 1-line block ×8, first 2 shown]
	; wave barrier
	ds_write2_b64 v37, v[1:2], v[5:6] offset1:1
	ds_write2_b64 v37, v[9:10], v[13:14] offset0:2 offset1:3
	ds_write2_b64 v37, v[17:18], v[21:22] offset0:4 offset1:5
	;; [unrolled: 1-line block ×3, first 2 shown]
	v_mov_b32_e32 v9, v72
	s_waitcnt lgkmcnt(0)
	; wave barrier
	s_and_saveexec_b64 s[12:13], s[8:9]
	s_cbranch_execz .LBB128_166
; %bb.163:                              ;   in Loop: Header=BB128_2 Depth=1
	s_mov_b64 s[14:15], 0
	v_mov_b32_e32 v9, v72
	v_mov_b32_e32 v1, v73
.LBB128_164:                            ;   Parent Loop BB128_2 Depth=1
                                        ; =>  This Inner Loop Header: Depth=2
	v_sub_u32_e32 v2, v1, v9
	v_lshrrev_b32_e32 v2, 1, v2
	v_add_u32_e32 v6, v2, v9
	v_not_b32_e32 v3, v6
	v_lshlrev_b32_e32 v2, 3, v6
	v_lshl_add_u32 v4, v3, 3, v82
	ds_read_b64 v[2:3], v2
	ds_read_b64 v[4:5], v4
	v_add_u32_e32 v7, 1, v6
	s_waitcnt lgkmcnt(0)
	v_cmp_lt_i64_e64 s[10:11], v[4:5], v[2:3]
	v_cndmask_b32_e64 v1, v1, v6, s[10:11]
	v_cndmask_b32_e64 v9, v7, v9, s[10:11]
	v_cmp_ge_i32_e64 s[10:11], v9, v1
	s_or_b64 s[14:15], s[10:11], s[14:15]
	s_andn2_b64 exec, exec, s[14:15]
	s_cbranch_execnz .LBB128_164
; %bb.165:                              ;   in Loop: Header=BB128_2 Depth=1
	s_or_b64 exec, exec, s[14:15]
.LBB128_166:                            ;   in Loop: Header=BB128_2 Depth=1
	s_or_b64 exec, exec, s[12:13]
	v_sub_u32_e32 v10, v74, v9
	v_lshlrev_b32_e32 v7, 3, v9
	v_lshlrev_b32_e32 v11, 3, v10
	ds_read_b64 v[1:2], v7
	ds_read_b64 v[3:4], v11
	v_cmp_le_i32_e64 s[14:15], v65, v9
	v_cmp_gt_i32_e64 s[10:11], s28, v10
                                        ; implicit-def: $vgpr5_vgpr6
	s_waitcnt lgkmcnt(0)
	v_cmp_lt_i64_e64 s[12:13], v[3:4], v[1:2]
	s_or_b64 s[12:13], s[14:15], s[12:13]
	s_and_b64 s[10:11], s[10:11], s[12:13]
	s_xor_b64 s[12:13], s[10:11], -1
	s_and_saveexec_b64 s[14:15], s[12:13]
	s_xor_b64 s[12:13], exec, s[14:15]
; %bb.167:                              ;   in Loop: Header=BB128_2 Depth=1
	ds_read_b64 v[5:6], v7 offset:8
                                        ; implicit-def: $vgpr11
; %bb.168:                              ;   in Loop: Header=BB128_2 Depth=1
	s_or_saveexec_b64 s[12:13], s[12:13]
	v_mov_b32_e32 v8, v4
	v_mov_b32_e32 v7, v3
	s_xor_b64 exec, exec, s[12:13]
	s_cbranch_execz .LBB128_170
; %bb.169:                              ;   in Loop: Header=BB128_2 Depth=1
	ds_read_b64 v[7:8], v11 offset:8
	s_waitcnt lgkmcnt(1)
	v_mov_b32_e32 v6, v2
	v_mov_b32_e32 v5, v1
.LBB128_170:                            ;   in Loop: Header=BB128_2 Depth=1
	s_or_b64 exec, exec, s[12:13]
	v_add_u32_e32 v12, 1, v9
	v_add_u32_e32 v11, 1, v10
	v_cndmask_b32_e64 v14, v12, v9, s[10:11]
	s_waitcnt lgkmcnt(0)
	v_cmp_lt_i64_e64 s[14:15], v[7:8], v[5:6]
	v_cndmask_b32_e64 v13, v10, v11, s[10:11]
	v_cmp_ge_i32_e64 s[16:17], v14, v65
	v_cmp_gt_i32_e64 s[12:13], s28, v13
	s_or_b64 s[14:15], s[16:17], s[14:15]
	s_and_b64 s[12:13], s[12:13], s[14:15]
	s_xor_b64 s[14:15], s[12:13], -1
                                        ; implicit-def: $vgpr9_vgpr10
	s_and_saveexec_b64 s[16:17], s[14:15]
	s_xor_b64 s[14:15], exec, s[16:17]
; %bb.171:                              ;   in Loop: Header=BB128_2 Depth=1
	v_lshlrev_b32_e32 v9, 3, v14
	ds_read_b64 v[9:10], v9 offset:8
; %bb.172:                              ;   in Loop: Header=BB128_2 Depth=1
	s_or_saveexec_b64 s[14:15], s[14:15]
	v_mov_b32_e32 v12, v8
	v_mov_b32_e32 v11, v7
	s_xor_b64 exec, exec, s[14:15]
	s_cbranch_execz .LBB128_174
; %bb.173:                              ;   in Loop: Header=BB128_2 Depth=1
	s_waitcnt lgkmcnt(0)
	v_lshlrev_b32_e32 v9, 3, v13
	ds_read_b64 v[11:12], v9 offset:8
	v_mov_b32_e32 v10, v6
	v_mov_b32_e32 v9, v5
.LBB128_174:                            ;   in Loop: Header=BB128_2 Depth=1
	s_or_b64 exec, exec, s[14:15]
	v_add_u32_e32 v16, 1, v14
	v_add_u32_e32 v15, 1, v13
	v_cndmask_b32_e64 v18, v16, v14, s[12:13]
	s_waitcnt lgkmcnt(0)
	v_cmp_lt_i64_e64 s[16:17], v[11:12], v[9:10]
	v_cndmask_b32_e64 v17, v13, v15, s[12:13]
	v_cmp_ge_i32_e64 s[18:19], v18, v65
	v_cmp_gt_i32_e64 s[14:15], s28, v17
	s_or_b64 s[16:17], s[18:19], s[16:17]
	s_and_b64 s[14:15], s[14:15], s[16:17]
	s_xor_b64 s[16:17], s[14:15], -1
                                        ; implicit-def: $vgpr13_vgpr14
	s_and_saveexec_b64 s[18:19], s[16:17]
	s_xor_b64 s[16:17], exec, s[18:19]
; %bb.175:                              ;   in Loop: Header=BB128_2 Depth=1
	v_lshlrev_b32_e32 v13, 3, v18
	ds_read_b64 v[13:14], v13 offset:8
; %bb.176:                              ;   in Loop: Header=BB128_2 Depth=1
	s_or_saveexec_b64 s[16:17], s[16:17]
	v_mov_b32_e32 v16, v12
	v_mov_b32_e32 v15, v11
	s_xor_b64 exec, exec, s[16:17]
	s_cbranch_execz .LBB128_178
; %bb.177:                              ;   in Loop: Header=BB128_2 Depth=1
	s_waitcnt lgkmcnt(0)
	v_lshlrev_b32_e32 v13, 3, v17
	ds_read_b64 v[15:16], v13 offset:8
	v_mov_b32_e32 v14, v10
	v_mov_b32_e32 v13, v9
.LBB128_178:                            ;   in Loop: Header=BB128_2 Depth=1
	s_or_b64 exec, exec, s[16:17]
	v_add_u32_e32 v20, 1, v18
	v_add_u32_e32 v19, 1, v17
	v_cndmask_b32_e64 v18, v20, v18, s[14:15]
	s_waitcnt lgkmcnt(0)
	v_cmp_lt_i64_e64 s[18:19], v[15:16], v[13:14]
	v_cndmask_b32_e64 v17, v17, v19, s[14:15]
	v_cmp_ge_i32_e64 s[20:21], v18, v65
	v_cmp_gt_i32_e64 s[16:17], s28, v17
	s_or_b64 s[18:19], s[20:21], s[18:19]
	s_and_b64 s[16:17], s[16:17], s[18:19]
	s_xor_b64 s[18:19], s[16:17], -1
                                        ; implicit-def: $vgpr21_vgpr22
	s_and_saveexec_b64 s[20:21], s[18:19]
	s_xor_b64 s[18:19], exec, s[20:21]
; %bb.179:                              ;   in Loop: Header=BB128_2 Depth=1
	v_lshlrev_b32_e32 v19, 3, v18
	ds_read_b64 v[21:22], v19 offset:8
; %bb.180:                              ;   in Loop: Header=BB128_2 Depth=1
	s_or_saveexec_b64 s[18:19], s[18:19]
	v_mov_b32_e32 v24, v16
	v_mov_b32_e32 v23, v15
	s_xor_b64 exec, exec, s[18:19]
	s_cbranch_execz .LBB128_182
; %bb.181:                              ;   in Loop: Header=BB128_2 Depth=1
	v_lshlrev_b32_e32 v19, 3, v17
	ds_read_b64 v[23:24], v19 offset:8
	s_waitcnt lgkmcnt(1)
	v_mov_b32_e32 v22, v14
	v_mov_b32_e32 v21, v13
.LBB128_182:                            ;   in Loop: Header=BB128_2 Depth=1
	s_or_b64 exec, exec, s[18:19]
	v_add_u32_e32 v20, 1, v18
	v_add_u32_e32 v19, 1, v17
	v_cndmask_b32_e64 v18, v20, v18, s[16:17]
	s_waitcnt lgkmcnt(0)
	v_cmp_lt_i64_e64 s[20:21], v[23:24], v[21:22]
	v_cndmask_b32_e64 v17, v17, v19, s[16:17]
	v_cmp_ge_i32_e64 s[22:23], v18, v65
	v_cmp_gt_i32_e64 s[18:19], s28, v17
	s_or_b64 s[20:21], s[22:23], s[20:21]
	s_and_b64 s[18:19], s[18:19], s[20:21]
	s_xor_b64 s[20:21], s[18:19], -1
                                        ; implicit-def: $vgpr25_vgpr26
	s_and_saveexec_b64 s[22:23], s[20:21]
	s_xor_b64 s[20:21], exec, s[22:23]
; %bb.183:                              ;   in Loop: Header=BB128_2 Depth=1
	v_lshlrev_b32_e32 v19, 3, v18
	ds_read_b64 v[25:26], v19 offset:8
; %bb.184:                              ;   in Loop: Header=BB128_2 Depth=1
	s_or_saveexec_b64 s[20:21], s[20:21]
	v_mov_b32_e32 v28, v24
	v_mov_b32_e32 v27, v23
	s_xor_b64 exec, exec, s[20:21]
	s_cbranch_execz .LBB128_186
; %bb.185:                              ;   in Loop: Header=BB128_2 Depth=1
	v_lshlrev_b32_e32 v19, 3, v17
	ds_read_b64 v[27:28], v19 offset:8
	s_waitcnt lgkmcnt(1)
	v_mov_b32_e32 v26, v22
	v_mov_b32_e32 v25, v21
.LBB128_186:                            ;   in Loop: Header=BB128_2 Depth=1
	s_or_b64 exec, exec, s[20:21]
	v_add_u32_e32 v20, 1, v18
	v_add_u32_e32 v19, 1, v17
	v_cndmask_b32_e64 v18, v20, v18, s[18:19]
	s_waitcnt lgkmcnt(0)
	v_cmp_lt_i64_e64 s[22:23], v[27:28], v[25:26]
	v_cndmask_b32_e64 v17, v17, v19, s[18:19]
	v_cmp_ge_i32_e64 s[24:25], v18, v65
	v_cmp_gt_i32_e64 s[20:21], s28, v17
	s_or_b64 s[22:23], s[24:25], s[22:23]
	s_and_b64 s[20:21], s[20:21], s[22:23]
	s_xor_b64 s[22:23], s[20:21], -1
                                        ; implicit-def: $vgpr29_vgpr30
	s_and_saveexec_b64 s[24:25], s[22:23]
	s_xor_b64 s[22:23], exec, s[24:25]
; %bb.187:                              ;   in Loop: Header=BB128_2 Depth=1
	v_lshlrev_b32_e32 v19, 3, v18
	ds_read_b64 v[29:30], v19 offset:8
; %bb.188:                              ;   in Loop: Header=BB128_2 Depth=1
	s_or_saveexec_b64 s[22:23], s[22:23]
	v_mov_b32_e32 v32, v28
	v_mov_b32_e32 v31, v27
	s_xor_b64 exec, exec, s[22:23]
	s_cbranch_execz .LBB128_190
; %bb.189:                              ;   in Loop: Header=BB128_2 Depth=1
	v_lshlrev_b32_e32 v19, 3, v17
	ds_read_b64 v[31:32], v19 offset:8
	s_waitcnt lgkmcnt(1)
	v_mov_b32_e32 v30, v26
	v_mov_b32_e32 v29, v25
.LBB128_190:                            ;   in Loop: Header=BB128_2 Depth=1
	s_or_b64 exec, exec, s[22:23]
	v_add_u32_e32 v19, 1, v17
	v_add_u32_e32 v20, 1, v18
	v_cndmask_b32_e64 v83, v17, v19, s[20:21]
	v_cndmask_b32_e64 v17, v20, v18, s[20:21]
	s_waitcnt lgkmcnt(0)
	v_cmp_lt_i64_e64 s[24:25], v[31:32], v[29:30]
	v_cmp_ge_i32_e64 s[26:27], v17, v65
	v_cmp_gt_i32_e64 s[22:23], s28, v83
	s_or_b64 s[24:25], s[26:27], s[24:25]
	s_and_b64 s[22:23], s[22:23], s[24:25]
	s_xor_b64 s[24:25], s[22:23], -1
                                        ; implicit-def: $vgpr33_vgpr34
                                        ; implicit-def: $vgpr84
	s_and_saveexec_b64 s[26:27], s[24:25]
	s_xor_b64 s[24:25], exec, s[26:27]
; %bb.191:                              ;   in Loop: Header=BB128_2 Depth=1
	v_lshlrev_b32_e32 v18, 3, v17
	ds_read_b64 v[33:34], v18 offset:8
	v_add_u32_e32 v84, 1, v17
                                        ; implicit-def: $vgpr17
; %bb.192:                              ;   in Loop: Header=BB128_2 Depth=1
	s_or_saveexec_b64 s[24:25], s[24:25]
	v_mov_b32_e32 v36, v32
	v_mov_b32_e32 v35, v31
	s_xor_b64 exec, exec, s[24:25]
	s_cbranch_execz .LBB128_1
; %bb.193:                              ;   in Loop: Header=BB128_2 Depth=1
	v_lshlrev_b32_e32 v18, 3, v83
	ds_read_b64 v[35:36], v18 offset:8
	s_waitcnt lgkmcnt(1)
	v_mov_b32_e32 v34, v30
	v_add_u32_e32 v83, 1, v83
	v_mov_b32_e32 v84, v17
	v_mov_b32_e32 v33, v29
	s_branch .LBB128_1
.LBB128_194:
	s_add_u32 s0, s30, s36
	s_addc_u32 s1, s31, s37
	v_lshlrev_b32_e32 v0, 3, v0
	global_store_dwordx2 v0, v[17:18], s[0:1]
	global_store_dwordx2 v0, v[19:20], s[0:1] offset:512
	global_store_dwordx2 v0, v[5:6], s[0:1] offset:1024
	;; [unrolled: 1-line block ×7, first 2 shown]
	s_endpgm
	.section	.rodata,"a",@progbits
	.p2align	6, 0x0
	.amdhsa_kernel _Z16sort_keys_kernelIxLj64ELj8EN10test_utils4lessELj10EEvPKT_PS2_T2_
		.amdhsa_group_segment_fixed_size 4104
		.amdhsa_private_segment_fixed_size 0
		.amdhsa_kernarg_size 20
		.amdhsa_user_sgpr_count 6
		.amdhsa_user_sgpr_private_segment_buffer 1
		.amdhsa_user_sgpr_dispatch_ptr 0
		.amdhsa_user_sgpr_queue_ptr 0
		.amdhsa_user_sgpr_kernarg_segment_ptr 1
		.amdhsa_user_sgpr_dispatch_id 0
		.amdhsa_user_sgpr_flat_scratch_init 0
		.amdhsa_user_sgpr_private_segment_size 0
		.amdhsa_uses_dynamic_stack 0
		.amdhsa_system_sgpr_private_segment_wavefront_offset 0
		.amdhsa_system_sgpr_workgroup_id_x 1
		.amdhsa_system_sgpr_workgroup_id_y 0
		.amdhsa_system_sgpr_workgroup_id_z 0
		.amdhsa_system_sgpr_workgroup_info 0
		.amdhsa_system_vgpr_workitem_id 0
		.amdhsa_next_free_vgpr 85
		.amdhsa_next_free_sgpr 98
		.amdhsa_reserve_vcc 1
		.amdhsa_reserve_flat_scratch 0
		.amdhsa_float_round_mode_32 0
		.amdhsa_float_round_mode_16_64 0
		.amdhsa_float_denorm_mode_32 3
		.amdhsa_float_denorm_mode_16_64 3
		.amdhsa_dx10_clamp 1
		.amdhsa_ieee_mode 1
		.amdhsa_fp16_overflow 0
		.amdhsa_exception_fp_ieee_invalid_op 0
		.amdhsa_exception_fp_denorm_src 0
		.amdhsa_exception_fp_ieee_div_zero 0
		.amdhsa_exception_fp_ieee_overflow 0
		.amdhsa_exception_fp_ieee_underflow 0
		.amdhsa_exception_fp_ieee_inexact 0
		.amdhsa_exception_int_div_zero 0
	.end_amdhsa_kernel
	.section	.text._Z16sort_keys_kernelIxLj64ELj8EN10test_utils4lessELj10EEvPKT_PS2_T2_,"axG",@progbits,_Z16sort_keys_kernelIxLj64ELj8EN10test_utils4lessELj10EEvPKT_PS2_T2_,comdat
.Lfunc_end128:
	.size	_Z16sort_keys_kernelIxLj64ELj8EN10test_utils4lessELj10EEvPKT_PS2_T2_, .Lfunc_end128-_Z16sort_keys_kernelIxLj64ELj8EN10test_utils4lessELj10EEvPKT_PS2_T2_
                                        ; -- End function
	.set _Z16sort_keys_kernelIxLj64ELj8EN10test_utils4lessELj10EEvPKT_PS2_T2_.num_vgpr, 85
	.set _Z16sort_keys_kernelIxLj64ELj8EN10test_utils4lessELj10EEvPKT_PS2_T2_.num_agpr, 0
	.set _Z16sort_keys_kernelIxLj64ELj8EN10test_utils4lessELj10EEvPKT_PS2_T2_.numbered_sgpr, 38
	.set _Z16sort_keys_kernelIxLj64ELj8EN10test_utils4lessELj10EEvPKT_PS2_T2_.num_named_barrier, 0
	.set _Z16sort_keys_kernelIxLj64ELj8EN10test_utils4lessELj10EEvPKT_PS2_T2_.private_seg_size, 0
	.set _Z16sort_keys_kernelIxLj64ELj8EN10test_utils4lessELj10EEvPKT_PS2_T2_.uses_vcc, 1
	.set _Z16sort_keys_kernelIxLj64ELj8EN10test_utils4lessELj10EEvPKT_PS2_T2_.uses_flat_scratch, 0
	.set _Z16sort_keys_kernelIxLj64ELj8EN10test_utils4lessELj10EEvPKT_PS2_T2_.has_dyn_sized_stack, 0
	.set _Z16sort_keys_kernelIxLj64ELj8EN10test_utils4lessELj10EEvPKT_PS2_T2_.has_recursion, 0
	.set _Z16sort_keys_kernelIxLj64ELj8EN10test_utils4lessELj10EEvPKT_PS2_T2_.has_indirect_call, 0
	.section	.AMDGPU.csdata,"",@progbits
; Kernel info:
; codeLenInByte = 10320
; TotalNumSgprs: 42
; NumVgprs: 85
; ScratchSize: 0
; MemoryBound: 0
; FloatMode: 240
; IeeeMode: 1
; LDSByteSize: 4104 bytes/workgroup (compile time only)
; SGPRBlocks: 12
; VGPRBlocks: 21
; NumSGPRsForWavesPerEU: 102
; NumVGPRsForWavesPerEU: 85
; Occupancy: 2
; WaveLimiterHint : 1
; COMPUTE_PGM_RSRC2:SCRATCH_EN: 0
; COMPUTE_PGM_RSRC2:USER_SGPR: 6
; COMPUTE_PGM_RSRC2:TRAP_HANDLER: 0
; COMPUTE_PGM_RSRC2:TGID_X_EN: 1
; COMPUTE_PGM_RSRC2:TGID_Y_EN: 0
; COMPUTE_PGM_RSRC2:TGID_Z_EN: 0
; COMPUTE_PGM_RSRC2:TIDIG_COMP_CNT: 0
	.section	.text._Z17sort_pairs_kernelIxLj64ELj8EN10test_utils4lessELj10EEvPKT_PS2_T2_,"axG",@progbits,_Z17sort_pairs_kernelIxLj64ELj8EN10test_utils4lessELj10EEvPKT_PS2_T2_,comdat
	.protected	_Z17sort_pairs_kernelIxLj64ELj8EN10test_utils4lessELj10EEvPKT_PS2_T2_ ; -- Begin function _Z17sort_pairs_kernelIxLj64ELj8EN10test_utils4lessELj10EEvPKT_PS2_T2_
	.globl	_Z17sort_pairs_kernelIxLj64ELj8EN10test_utils4lessELj10EEvPKT_PS2_T2_
	.p2align	8
	.type	_Z17sort_pairs_kernelIxLj64ELj8EN10test_utils4lessELj10EEvPKT_PS2_T2_,@function
_Z17sort_pairs_kernelIxLj64ELj8EN10test_utils4lessELj10EEvPKT_PS2_T2_: ; @_Z17sort_pairs_kernelIxLj64ELj8EN10test_utils4lessELj10EEvPKT_PS2_T2_
; %bb.0:
	s_load_dwordx4 s[84:87], s[4:5], 0x0
	s_lshl_b32 s90, s6, 9
	s_mov_b32 s91, 0
	s_lshl_b64 s[88:89], s[90:91], 3
	v_lshlrev_b32_e32 v33, 3, v0
	s_waitcnt lgkmcnt(0)
	s_add_u32 s0, s84, s88
	s_addc_u32 s1, s85, s89
	global_load_dwordx2 v[29:30], v33, s[0:1]
	global_load_dwordx2 v[31:32], v33, s[0:1] offset:512
	global_load_dwordx2 v[23:24], v33, s[0:1] offset:1024
	;; [unrolled: 1-line block ×7, first 2 shown]
	v_and_b32_e32 v53, 0x1f0, v33
	v_or_b32_e32 v58, 8, v53
	v_add_u32_e32 v59, 16, v53
	v_and_b32_e32 v34, 8, v33
	v_sub_u32_e32 v2, v59, v58
	v_sub_u32_e32 v5, v34, v2
	v_cmp_ge_i32_e32 vcc, v34, v2
	v_cndmask_b32_e32 v70, 0, v5, vcc
	v_and_b32_e32 v54, 0x1e0, v33
	v_and_b32_e32 v55, 0x1c0, v33
	v_or_b32_e32 v60, 16, v54
	v_add_u32_e32 v61, 32, v54
	v_or_b32_e32 v62, 32, v55
	v_add_u32_e32 v63, 64, v55
	v_mov_b32_e32 v78, 0x100
	v_and_b32_e32 v35, 24, v33
	v_and_b32_e32 v36, 56, v33
	;; [unrolled: 1-line block ×6, first 2 shown]
	v_sub_u32_e32 v1, v58, v53
	v_sub_u32_e32 v3, v61, v60
	;; [unrolled: 1-line block ×3, first 2 shown]
	v_sub_u32_e64 v79, v33, v78 clamp
	v_min_i32_e32 v80, 0x100, v33
	v_add_u32_e32 v81, 0x100, v33
	v_lshlrev_b32_e32 v33, 3, v34
	v_or_b32_e32 v64, 64, v56
	v_add_u32_e32 v65, 0x80, v56
	v_or_b32_e32 v66, 0x80, v57
	v_add_u32_e32 v67, 0x100, v57
	v_sub_u32_e32 v4, v60, v54
	v_min_i32_e32 v68, v34, v1
	v_sub_u32_e32 v1, v35, v3
	v_sub_u32_e32 v42, v36, v39
	v_cmp_ge_i32_e32 vcc, v35, v3
	v_cmp_ge_i32_e64 s[2:3], v36, v39
	v_sub_u32_e32 v39, v62, v55
	v_lshl_add_u32 v83, v58, 3, v33
	v_lshlrev_b32_e32 v33, 3, v35
	v_sub_u32_e32 v40, v65, v64
	v_sub_u32_e32 v41, v67, v66
	v_min_i32_e32 v69, v35, v4
	v_min_i32_e32 v73, v36, v39
	v_sub_u32_e32 v39, v64, v56
	v_lshl_add_u32 v85, v60, 3, v33
	v_lshlrev_b32_e32 v33, 3, v36
	v_sub_u32_e32 v43, v37, v40
	v_sub_u32_e32 v44, v38, v41
	v_cndmask_b32_e32 v71, 0, v1, vcc
	v_cmp_ge_i32_e64 s[4:5], v37, v40
	v_min_i32_e32 v75, v37, v39
	v_cmp_ge_i32_e64 s[6:7], v38, v41
	v_sub_u32_e32 v39, v66, v57
	v_lshl_add_u32 v87, v62, 3, v33
	v_lshlrev_b32_e32 v33, 3, v37
	v_cndmask_b32_e64 v72, 0, v42, s[2:3]
	v_cndmask_b32_e64 v74, 0, v43, s[4:5]
	;; [unrolled: 1-line block ×3, first 2 shown]
	v_min_i32_e32 v77, v38, v39
	v_lshl_add_u32 v89, v64, 3, v33
	v_lshlrev_b32_e32 v33, 3, v38
	v_lshlrev_b32_e32 v92, 6, v0
	v_cmp_lt_i32_e32 vcc, v70, v68
	v_cmp_lt_i32_e64 s[2:3], v72, v73
	v_cmp_lt_i32_e64 s[4:5], v74, v75
	;; [unrolled: 1-line block ×4, first 2 shown]
	v_add_u32_e32 v82, v58, v34
	v_add_u32_e32 v84, v60, v35
	;; [unrolled: 1-line block ×3, first 2 shown]
	s_waitcnt vmcnt(7)
	v_add_co_u32_e64 v15, s[0:1], 1, v29
	v_addc_co_u32_e64 v16, s[0:1], 0, v30, s[0:1]
	s_waitcnt vmcnt(6)
	v_add_co_u32_e64 v13, s[0:1], 1, v31
	v_addc_co_u32_e64 v14, s[0:1], 0, v32, s[0:1]
	;; [unrolled: 3-line block ×8, first 2 shown]
	v_cmp_lt_i32_e64 s[0:1], v71, v69
	v_add_u32_e32 v88, v64, v37
	v_add_u32_e32 v90, v66, v38
	v_lshl_add_u32 v91, v66, 3, v33
	s_movk_i32 s33, 0x200
	v_lshlrev_b32_e32 v93, 3, v53
	v_lshlrev_b32_e32 v94, 3, v54
	;; [unrolled: 1-line block ×5, first 2 shown]
	v_add_u32_e32 v98, 0x800, v92
	s_branch .LBB129_2
.LBB129_1:                              ;   in Loop: Header=BB129_2 Depth=1
	s_or_b64 exec, exec, s[24:25]
	v_cndmask_b32_e64 v32, v22, v24, s[12:13]
	v_cndmask_b32_e64 v31, v21, v23, s[12:13]
	;; [unrolled: 1-line block ×5, first 2 shown]
	s_waitcnt lgkmcnt(0)
	v_cmp_lt_i64_e64 s[12:13], v[51:52], v[47:48]
	v_cndmask_b32_e64 v24, v26, v28, s[14:15]
	v_cndmask_b32_e64 v26, v34, v36, s[16:17]
	;; [unrolled: 1-line block ×3, first 2 shown]
	v_cmp_ge_i32_e64 s[14:15], v113, v78
	v_cndmask_b32_e64 v30, v18, v20, s[10:11]
	v_cndmask_b32_e64 v29, v17, v19, s[10:11]
	;; [unrolled: 1-line block ×3, first 2 shown]
	v_cmp_gt_i32_e64 s[10:11], s33, v112
	s_or_b64 s[12:13], s[14:15], s[12:13]
	v_cndmask_b32_e64 v17, v110, v109, s[22:23]
	v_cndmask_b32_e64 v27, v108, v107, s[18:19]
	;; [unrolled: 1-line block ×3, first 2 shown]
	s_and_b64 s[10:11], s[10:11], s[12:13]
	; wave barrier
	ds_write2_b64 v92, v[9:10], v[13:14] offset1:1
	ds_write2_b64 v92, v[1:2], v[5:6] offset0:2 offset1:3
	ds_write2_b64 v92, v[11:12], v[15:16] offset0:4 offset1:5
	;; [unrolled: 1-line block ×3, first 2 shown]
	v_lshlrev_b32_e32 v1, 3, v36
	v_lshlrev_b32_e32 v2, 3, v35
	;; [unrolled: 1-line block ×3, first 2 shown]
	v_cndmask_b32_e64 v19, v37, v41, s[18:19]
	v_cndmask_b32_e64 v37, v113, v112, s[10:11]
	s_waitcnt lgkmcnt(0)
	; wave barrier
	v_lshlrev_b32_e32 v4, 3, v33
	ds_read_b64 v[15:16], v1
	ds_read_b64 v[13:14], v2
	;; [unrolled: 1-line block ×4, first 2 shown]
	v_lshlrev_b32_e32 v1, 3, v27
	v_lshlrev_b32_e32 v2, 3, v17
	;; [unrolled: 1-line block ×4, first 2 shown]
	ds_read_b64 v[11:12], v1
	ds_read_b64 v[9:10], v2
	;; [unrolled: 1-line block ×4, first 2 shown]
	s_add_i32 s91, s91, 1
	v_cndmask_b32_e64 v20, v38, v42, s[18:19]
	v_cndmask_b32_e64 v22, v46, v50, s[22:23]
	;; [unrolled: 1-line block ×6, first 2 shown]
	s_cmp_eq_u32 s91, 10
	v_cndmask_b32_e64 v27, v47, v51, s[10:11]
	s_cbranch_scc1 .LBB129_194
.LBB129_2:                              ; =>This Loop Header: Depth=1
                                        ;     Child Loop BB129_4 Depth 2
                                        ;     Child Loop BB129_36 Depth 2
	;; [unrolled: 1-line block ×6, first 2 shown]
	v_cmp_lt_i64_e64 s[10:11], v[31:32], v[29:30]
	v_cmp_lt_i64_e64 s[12:13], v[25:26], v[23:24]
	v_cmp_lt_i64_e64 s[14:15], v[21:22], v[19:20]
	v_cmp_lt_i64_e64 s[16:17], v[27:28], v[17:18]
	v_cndmask_b32_e64 v34, v30, v32, s[10:11]
	v_cndmask_b32_e64 v33, v29, v31, s[10:11]
	v_cndmask_b32_e64 v30, v32, v30, s[10:11]
	v_cndmask_b32_e64 v29, v31, v29, s[10:11]
	v_cndmask_b32_e64 v32, v26, v24, s[12:13]
	v_cndmask_b32_e64 v31, v25, v23, s[12:13]
	v_cndmask_b32_e64 v24, v24, v26, s[12:13]
	v_cndmask_b32_e64 v23, v23, v25, s[12:13]
	v_cndmask_b32_e64 v26, v22, v20, s[14:15]
	v_cndmask_b32_e64 v25, v21, v19, s[14:15]
	v_cndmask_b32_e64 v20, v20, v22, s[14:15]
	v_cndmask_b32_e64 v19, v19, v21, s[14:15]
	v_cndmask_b32_e64 v22, v28, v18, s[16:17]
	v_cndmask_b32_e64 v21, v27, v17, s[16:17]
	v_cndmask_b32_e64 v18, v18, v28, s[16:17]
	v_cndmask_b32_e64 v17, v17, v27, s[16:17]
	v_cmp_lt_i64_e64 s[18:19], v[23:24], v[29:30]
	v_cmp_lt_i64_e64 s[20:21], v[19:20], v[31:32]
	v_cmp_lt_i64_e64 s[22:23], v[17:18], v[25:26]
	v_cndmask_b32_e64 v28, v24, v30, s[18:19]
	v_cndmask_b32_e64 v27, v23, v29, s[18:19]
	v_cndmask_b32_e64 v24, v30, v24, s[18:19]
	v_cndmask_b32_e64 v23, v29, v23, s[18:19]
	v_cndmask_b32_e64 v30, v20, v32, s[20:21]
	v_cndmask_b32_e64 v29, v19, v31, s[20:21]
	v_cndmask_b32_e64 v20, v32, v20, s[20:21]
	v_cndmask_b32_e64 v19, v31, v19, s[20:21]
	v_cndmask_b32_e64 v32, v18, v26, s[22:23]
	v_cndmask_b32_e64 v31, v17, v25, s[22:23]
	v_cndmask_b32_e64 v18, v26, v18, s[22:23]
	v_cndmask_b32_e64 v17, v25, v17, s[22:23]
	v_cmp_lt_i64_e64 s[24:25], v[23:24], v[33:34]
	v_cmp_lt_i64_e64 s[26:27], v[19:20], v[27:28]
	v_cmp_lt_i64_e64 s[28:29], v[17:18], v[29:30]
	v_cmp_lt_i64_e64 s[30:31], v[21:22], v[31:32]
	v_cndmask_b32_e64 v26, v34, v24, s[24:25]
	v_cndmask_b32_e64 v25, v33, v23, s[24:25]
	v_cndmask_b32_e64 v24, v24, v34, s[24:25]
	v_cndmask_b32_e64 v23, v23, v33, s[24:25]
	v_cndmask_b32_e64 v34, v20, v28, s[26:27]
	v_cndmask_b32_e64 v33, v19, v27, s[26:27]
	v_cndmask_b32_e64 v20, v28, v20, s[26:27]
	v_cndmask_b32_e64 v19, v27, v19, s[26:27]
	v_cndmask_b32_e64 v28, v18, v30, s[28:29]
	v_cndmask_b32_e64 v27, v17, v29, s[28:29]
	v_cndmask_b32_e64 v18, v30, v18, s[28:29]
	v_cndmask_b32_e64 v17, v29, v17, s[28:29]
	v_cndmask_b32_e64 v30, v22, v32, s[30:31]
	v_cndmask_b32_e64 v29, v21, v31, s[30:31]
	v_cndmask_b32_e64 v22, v32, v22, s[30:31]
	v_cndmask_b32_e64 v21, v31, v21, s[30:31]
	v_cmp_lt_i64_e64 s[34:35], v[19:20], v[23:24]
	v_cmp_lt_i64_e64 s[36:37], v[17:18], v[33:34]
	v_cmp_lt_i64_e64 s[38:39], v[21:22], v[27:28]
	v_cndmask_b32_e64 v32, v20, v24, s[34:35]
	v_cndmask_b32_e64 v31, v19, v23, s[34:35]
	v_cndmask_b32_e64 v20, v24, v20, s[34:35]
	v_cndmask_b32_e64 v19, v23, v19, s[34:35]
	v_cndmask_b32_e64 v24, v18, v34, s[36:37]
	v_cndmask_b32_e64 v23, v17, v33, s[36:37]
	v_cndmask_b32_e64 v18, v34, v18, s[36:37]
	v_cndmask_b32_e64 v17, v33, v17, s[36:37]
	v_cndmask_b32_e64 v34, v22, v28, s[38:39]
	v_cndmask_b32_e64 v33, v21, v27, s[38:39]
	v_cndmask_b32_e64 v22, v28, v22, s[38:39]
	v_cndmask_b32_e64 v21, v27, v21, s[38:39]
	;; [unrolled: 35-line block ×3, first 2 shown]
	v_cmp_lt_i64_e64 s[54:55], v[17:18], v[27:28]
	v_cmp_lt_i64_e64 s[56:57], v[21:22], v[33:34]
	;; [unrolled: 1-line block ×4, first 2 shown]
	v_cndmask_b32_e64 v32, v18, v28, s[54:55]
	v_cndmask_b32_e64 v31, v17, v27, s[54:55]
	;; [unrolled: 1-line block ×14, first 2 shown]
	v_cmp_lt_i64_e64 s[62:63], v[21:22], v[31:32]
	v_cmp_lt_i64_e64 s[64:65], v[19:20], v[27:28]
	;; [unrolled: 1-line block ×3, first 2 shown]
	v_cndmask_b32_e64 v24, v24, v26, s[60:61]
	v_cndmask_b32_e64 v23, v23, v25, s[60:61]
	;; [unrolled: 1-line block ×14, first 2 shown]
	; wave barrier
	ds_write2_b64 v92, v[17:18], v[21:22] offset1:1
	ds_write2_b64 v92, v[25:26], v[19:20] offset0:2 offset1:3
	ds_write2_b64 v92, v[31:32], v[29:30] offset0:4 offset1:5
	ds_write2_b64 v92, v[27:28], v[23:24] offset0:6 offset1:7
	v_mov_b32_e32 v21, v70
	s_waitcnt lgkmcnt(0)
	; wave barrier
	s_and_saveexec_b64 s[70:71], vcc
	s_cbranch_execz .LBB129_6
; %bb.3:                                ;   in Loop: Header=BB129_2 Depth=1
	s_mov_b64 s[72:73], 0
	v_mov_b32_e32 v21, v70
	v_mov_b32_e32 v17, v68
.LBB129_4:                              ;   Parent Loop BB129_2 Depth=1
                                        ; =>  This Inner Loop Header: Depth=2
	v_sub_u32_e32 v18, v17, v21
	v_lshrrev_b32_e32 v18, 1, v18
	v_add_u32_e32 v20, v18, v21
	v_not_b32_e32 v19, v20
	v_lshl_add_u32 v18, v20, 3, v93
	v_lshl_add_u32 v22, v19, 3, v83
	ds_read_b64 v[18:19], v18
	ds_read_b64 v[22:23], v22
	v_add_u32_e32 v24, 1, v20
	s_waitcnt lgkmcnt(0)
	v_cmp_lt_i64_e64 s[68:69], v[22:23], v[18:19]
	v_cndmask_b32_e64 v17, v17, v20, s[68:69]
	v_cndmask_b32_e64 v21, v24, v21, s[68:69]
	v_cmp_ge_i32_e64 s[68:69], v21, v17
	s_or_b64 s[72:73], s[68:69], s[72:73]
	s_andn2_b64 exec, exec, s[72:73]
	s_cbranch_execnz .LBB129_4
; %bb.5:                                ;   in Loop: Header=BB129_2 Depth=1
	s_or_b64 exec, exec, s[72:73]
.LBB129_6:                              ;   in Loop: Header=BB129_2 Depth=1
	s_or_b64 exec, exec, s[70:71]
	v_sub_u32_e32 v49, v82, v21
	v_lshl_add_u32 v23, v21, 3, v93
	v_lshlrev_b32_e32 v25, 3, v49
	ds_read_b64 v[17:18], v23
	ds_read_b64 v[19:20], v25
	v_add_u32_e32 v50, v21, v53
	v_cmp_le_i32_e64 s[72:73], v58, v50
	v_cmp_gt_i32_e64 s[68:69], v59, v49
                                        ; implicit-def: $vgpr21_vgpr22
	s_waitcnt lgkmcnt(0)
	v_cmp_lt_i64_e64 s[70:71], v[19:20], v[17:18]
	s_or_b64 s[70:71], s[72:73], s[70:71]
	s_and_b64 s[68:69], s[68:69], s[70:71]
	s_xor_b64 s[70:71], s[68:69], -1
	s_and_saveexec_b64 s[72:73], s[70:71]
	s_xor_b64 s[70:71], exec, s[72:73]
; %bb.7:                                ;   in Loop: Header=BB129_2 Depth=1
	ds_read_b64 v[21:22], v23 offset:8
                                        ; implicit-def: $vgpr25
; %bb.8:                                ;   in Loop: Header=BB129_2 Depth=1
	s_or_saveexec_b64 s[70:71], s[70:71]
	v_mov_b32_e32 v24, v20
	v_mov_b32_e32 v23, v19
	s_xor_b64 exec, exec, s[70:71]
	s_cbranch_execz .LBB129_10
; %bb.9:                                ;   in Loop: Header=BB129_2 Depth=1
	ds_read_b64 v[23:24], v25 offset:8
	s_waitcnt lgkmcnt(1)
	v_mov_b32_e32 v22, v18
	v_mov_b32_e32 v21, v17
.LBB129_10:                             ;   in Loop: Header=BB129_2 Depth=1
	s_or_b64 exec, exec, s[70:71]
	v_add_u32_e32 v26, 1, v50
	v_add_u32_e32 v25, 1, v49
	v_cndmask_b32_e64 v52, v26, v50, s[68:69]
	s_waitcnt lgkmcnt(0)
	v_cmp_lt_i64_e64 s[72:73], v[23:24], v[21:22]
	v_cndmask_b32_e64 v51, v49, v25, s[68:69]
	v_cmp_ge_i32_e64 s[74:75], v52, v58
	v_cmp_lt_i32_e64 s[70:71], v51, v59
	s_or_b64 s[72:73], s[74:75], s[72:73]
	s_and_b64 s[70:71], s[70:71], s[72:73]
	s_xor_b64 s[72:73], s[70:71], -1
                                        ; implicit-def: $vgpr25_vgpr26
	s_and_saveexec_b64 s[74:75], s[72:73]
	s_xor_b64 s[72:73], exec, s[74:75]
; %bb.11:                               ;   in Loop: Header=BB129_2 Depth=1
	v_lshlrev_b32_e32 v25, 3, v52
	ds_read_b64 v[25:26], v25 offset:8
; %bb.12:                               ;   in Loop: Header=BB129_2 Depth=1
	s_or_saveexec_b64 s[72:73], s[72:73]
	v_mov_b32_e32 v28, v24
	v_mov_b32_e32 v27, v23
	s_xor_b64 exec, exec, s[72:73]
	s_cbranch_execz .LBB129_14
; %bb.13:                               ;   in Loop: Header=BB129_2 Depth=1
	s_waitcnt lgkmcnt(0)
	v_lshlrev_b32_e32 v25, 3, v51
	ds_read_b64 v[27:28], v25 offset:8
	v_mov_b32_e32 v26, v22
	v_mov_b32_e32 v25, v21
.LBB129_14:                             ;   in Loop: Header=BB129_2 Depth=1
	s_or_b64 exec, exec, s[72:73]
	v_add_u32_e32 v30, 1, v52
	v_add_u32_e32 v29, 1, v51
	v_cndmask_b32_e64 v100, v30, v52, s[70:71]
	s_waitcnt lgkmcnt(0)
	v_cmp_lt_i64_e64 s[74:75], v[27:28], v[25:26]
	v_cndmask_b32_e64 v99, v51, v29, s[70:71]
	v_cmp_ge_i32_e64 s[76:77], v100, v58
	v_cmp_lt_i32_e64 s[72:73], v99, v59
	s_or_b64 s[74:75], s[76:77], s[74:75]
	s_and_b64 s[72:73], s[72:73], s[74:75]
	s_xor_b64 s[74:75], s[72:73], -1
                                        ; implicit-def: $vgpr29_vgpr30
	s_and_saveexec_b64 s[76:77], s[74:75]
	s_xor_b64 s[74:75], exec, s[76:77]
; %bb.15:                               ;   in Loop: Header=BB129_2 Depth=1
	v_lshlrev_b32_e32 v29, 3, v100
	ds_read_b64 v[29:30], v29 offset:8
; %bb.16:                               ;   in Loop: Header=BB129_2 Depth=1
	s_or_saveexec_b64 s[74:75], s[74:75]
	v_mov_b32_e32 v32, v28
	v_mov_b32_e32 v31, v27
	s_xor_b64 exec, exec, s[74:75]
	s_cbranch_execz .LBB129_18
; %bb.17:                               ;   in Loop: Header=BB129_2 Depth=1
	s_waitcnt lgkmcnt(0)
	v_lshlrev_b32_e32 v29, 3, v99
	ds_read_b64 v[31:32], v29 offset:8
	v_mov_b32_e32 v30, v26
	v_mov_b32_e32 v29, v25
.LBB129_18:                             ;   in Loop: Header=BB129_2 Depth=1
	s_or_b64 exec, exec, s[74:75]
	v_add_u32_e32 v34, 1, v100
	v_add_u32_e32 v33, 1, v99
	v_cndmask_b32_e64 v102, v34, v100, s[72:73]
	s_waitcnt lgkmcnt(0)
	v_cmp_lt_i64_e64 s[76:77], v[31:32], v[29:30]
	v_cndmask_b32_e64 v101, v99, v33, s[72:73]
	v_cmp_ge_i32_e64 s[78:79], v102, v58
	v_cmp_lt_i32_e64 s[74:75], v101, v59
	s_or_b64 s[76:77], s[78:79], s[76:77]
	s_and_b64 s[74:75], s[74:75], s[76:77]
	s_xor_b64 s[76:77], s[74:75], -1
                                        ; implicit-def: $vgpr35_vgpr36
	s_and_saveexec_b64 s[78:79], s[76:77]
	s_xor_b64 s[76:77], exec, s[78:79]
; %bb.19:                               ;   in Loop: Header=BB129_2 Depth=1
	v_lshlrev_b32_e32 v33, 3, v102
	ds_read_b64 v[35:36], v33 offset:8
; %bb.20:                               ;   in Loop: Header=BB129_2 Depth=1
	s_or_saveexec_b64 s[76:77], s[76:77]
	v_mov_b32_e32 v40, v32
	v_mov_b32_e32 v39, v31
	s_xor_b64 exec, exec, s[76:77]
	s_cbranch_execz .LBB129_22
; %bb.21:                               ;   in Loop: Header=BB129_2 Depth=1
	v_lshlrev_b32_e32 v33, 3, v101
	ds_read_b64 v[39:40], v33 offset:8
	s_waitcnt lgkmcnt(1)
	v_mov_b32_e32 v36, v30
	v_mov_b32_e32 v35, v29
.LBB129_22:                             ;   in Loop: Header=BB129_2 Depth=1
	s_or_b64 exec, exec, s[76:77]
	v_add_u32_e32 v34, 1, v102
	v_add_u32_e32 v33, 1, v101
	v_cndmask_b32_e64 v104, v34, v102, s[74:75]
	s_waitcnt lgkmcnt(0)
	v_cmp_lt_i64_e64 s[78:79], v[39:40], v[35:36]
	v_cndmask_b32_e64 v103, v101, v33, s[74:75]
	v_cmp_ge_i32_e64 s[80:81], v104, v58
	v_cmp_lt_i32_e64 s[76:77], v103, v59
	s_or_b64 s[78:79], s[80:81], s[78:79]
	s_and_b64 s[76:77], s[76:77], s[78:79]
	s_xor_b64 s[78:79], s[76:77], -1
                                        ; implicit-def: $vgpr41_vgpr42
	s_and_saveexec_b64 s[80:81], s[78:79]
	s_xor_b64 s[78:79], exec, s[80:81]
; %bb.23:                               ;   in Loop: Header=BB129_2 Depth=1
	v_lshlrev_b32_e32 v33, 3, v104
	ds_read_b64 v[41:42], v33 offset:8
; %bb.24:                               ;   in Loop: Header=BB129_2 Depth=1
	s_or_saveexec_b64 s[78:79], s[78:79]
	v_mov_b32_e32 v44, v40
	v_mov_b32_e32 v43, v39
	s_xor_b64 exec, exec, s[78:79]
	s_cbranch_execz .LBB129_26
; %bb.25:                               ;   in Loop: Header=BB129_2 Depth=1
	v_lshlrev_b32_e32 v33, 3, v103
	ds_read_b64 v[43:44], v33 offset:8
	s_waitcnt lgkmcnt(1)
	v_mov_b32_e32 v42, v36
	v_mov_b32_e32 v41, v35
.LBB129_26:                             ;   in Loop: Header=BB129_2 Depth=1
	s_or_b64 exec, exec, s[78:79]
	v_add_u32_e32 v34, 1, v104
	v_add_u32_e32 v33, 1, v103
	v_cndmask_b32_e64 v106, v34, v104, s[76:77]
	s_waitcnt lgkmcnt(0)
	v_cmp_lt_i64_e64 s[80:81], v[43:44], v[41:42]
	v_cndmask_b32_e64 v105, v103, v33, s[76:77]
	v_cmp_ge_i32_e64 s[82:83], v106, v58
	v_cmp_lt_i32_e64 s[78:79], v105, v59
	s_or_b64 s[80:81], s[82:83], s[80:81]
	s_and_b64 s[78:79], s[78:79], s[80:81]
	s_xor_b64 s[80:81], s[78:79], -1
                                        ; implicit-def: $vgpr45_vgpr46
	s_and_saveexec_b64 s[82:83], s[80:81]
	s_xor_b64 s[80:81], exec, s[82:83]
; %bb.27:                               ;   in Loop: Header=BB129_2 Depth=1
	v_lshlrev_b32_e32 v33, 3, v106
	ds_read_b64 v[45:46], v33 offset:8
; %bb.28:                               ;   in Loop: Header=BB129_2 Depth=1
	s_or_saveexec_b64 s[80:81], s[80:81]
	v_mov_b32_e32 v48, v44
	v_mov_b32_e32 v47, v43
	s_xor_b64 exec, exec, s[80:81]
	s_cbranch_execz .LBB129_30
; %bb.29:                               ;   in Loop: Header=BB129_2 Depth=1
	v_lshlrev_b32_e32 v33, 3, v105
	ds_read_b64 v[47:48], v33 offset:8
	s_waitcnt lgkmcnt(1)
	v_mov_b32_e32 v46, v42
	v_mov_b32_e32 v45, v41
.LBB129_30:                             ;   in Loop: Header=BB129_2 Depth=1
	s_or_b64 exec, exec, s[80:81]
	v_add_u32_e32 v34, 1, v106
	v_add_u32_e32 v33, 1, v105
	v_cndmask_b32_e64 v108, v34, v106, s[78:79]
	s_waitcnt lgkmcnt(0)
	v_cmp_lt_i64_e64 s[82:83], v[47:48], v[45:46]
	v_cndmask_b32_e64 v107, v105, v33, s[78:79]
	v_cmp_ge_i32_e64 s[84:85], v108, v58
	v_cmp_lt_i32_e64 s[80:81], v107, v59
	s_or_b64 s[82:83], s[84:85], s[82:83]
	s_and_b64 s[80:81], s[80:81], s[82:83]
	s_xor_b64 s[82:83], s[80:81], -1
                                        ; implicit-def: $vgpr33_vgpr34
	s_and_saveexec_b64 s[84:85], s[82:83]
	s_xor_b64 s[82:83], exec, s[84:85]
; %bb.31:                               ;   in Loop: Header=BB129_2 Depth=1
	v_lshlrev_b32_e32 v33, 3, v108
	ds_read_b64 v[33:34], v33 offset:8
; %bb.32:                               ;   in Loop: Header=BB129_2 Depth=1
	s_or_saveexec_b64 s[82:83], s[82:83]
	v_mov_b32_e32 v37, v47
	v_mov_b32_e32 v38, v48
	s_xor_b64 exec, exec, s[82:83]
	s_cbranch_execz .LBB129_34
; %bb.33:                               ;   in Loop: Header=BB129_2 Depth=1
	s_waitcnt lgkmcnt(0)
	v_lshlrev_b32_e32 v33, 3, v107
	ds_read_b64 v[37:38], v33 offset:8
	v_mov_b32_e32 v33, v45
	v_mov_b32_e32 v34, v46
.LBB129_34:                             ;   in Loop: Header=BB129_2 Depth=1
	s_or_b64 exec, exec, s[82:83]
	v_cndmask_b32_e64 v18, v18, v20, s[68:69]
	v_cndmask_b32_e64 v17, v17, v19, s[68:69]
	;; [unrolled: 1-line block ×47, first 2 shown]
	v_add_u32_e32 v48, 1, v108
	v_cndmask_b32_e64 v15, v4, v6, s[34:35]
	v_cndmask_b32_e64 v16, v3, v5, s[34:35]
	;; [unrolled: 1-line block ×13, first 2 shown]
	v_add_u32_e32 v47, 1, v107
	v_cndmask_b32_e64 v48, v48, v108, s[80:81]
	v_cndmask_b32_e64 v11, v8, v3, s[40:41]
	;; [unrolled: 1-line block ×13, first 2 shown]
	s_waitcnt lgkmcnt(0)
	v_cmp_lt_i64_e64 s[12:13], v[37:38], v[33:34]
	v_cndmask_b32_e64 v47, v107, v47, s[80:81]
	v_cndmask_b32_e64 v30, v30, v32, s[74:75]
	v_cndmask_b32_e64 v26, v26, v28, s[72:73]
	v_cndmask_b32_e64 v9, v14, v20, s[46:47]
	v_cndmask_b32_e64 v10, v13, v19, s[46:47]
	v_cndmask_b32_e64 v13, v19, v13, s[46:47]
	v_cndmask_b32_e64 v14, v20, v14, s[46:47]
	v_cndmask_b32_e64 v19, v2, v4, s[48:49]
	v_cndmask_b32_e64 v20, v1, v3, s[48:49]
	v_cndmask_b32_e64 v3, v3, v1, s[48:49]
	v_cndmask_b32_e64 v4, v4, v2, s[48:49]
	v_cndmask_b32_e64 v28, v6, v8, s[50:51]
	v_cndmask_b32_e64 v32, v5, v7, s[50:51]
	v_cndmask_b32_e64 v6, v8, v6, s[50:51]
	v_cndmask_b32_e64 v5, v7, v5, s[50:51]
	v_cmp_ge_i32_e64 s[14:15], v48, v58
	v_cndmask_b32_e64 v7, v14, v16, s[52:53]
	v_cndmask_b32_e64 v8, v13, v15, s[52:53]
	;; [unrolled: 1-line block ×12, first 2 shown]
	v_cmp_lt_i32_e64 s[10:11], v47, v59
	s_or_b64 s[12:13], s[14:15], s[12:13]
	v_cndmask_b32_e64 v42, v42, v44, s[78:79]
	v_cndmask_b32_e64 v36, v36, v40, s[76:77]
	;; [unrolled: 1-line block ×20, first 2 shown]
	s_and_b64 s[10:11], s[10:11], s[12:13]
	v_cndmask_b32_e64 v107, v108, v107, s[80:81]
	v_cndmask_b32_e64 v41, v41, v43, s[78:79]
	;; [unrolled: 1-line block ×16, first 2 shown]
	; wave barrier
	ds_write2_b64 v92, v[1:2], v[7:8] offset1:1
	ds_write2_b64 v92, v[5:6], v[11:12] offset0:2 offset1:3
	ds_write2_b64 v92, v[9:10], v[15:16] offset0:4 offset1:5
	;; [unrolled: 1-line block ×3, first 2 shown]
	v_lshlrev_b32_e32 v1, 3, v24
	v_lshlrev_b32_e32 v2, 3, v23
	;; [unrolled: 1-line block ×4, first 2 shown]
	s_waitcnt lgkmcnt(0)
	; wave barrier
	ds_read_b64 v[9:10], v1
	ds_read_b64 v[13:14], v2
	;; [unrolled: 1-line block ×4, first 2 shown]
	v_lshlrev_b32_e32 v3, 3, v39
	v_lshlrev_b32_e32 v4, 3, v43
	;; [unrolled: 1-line block ×4, first 2 shown]
	ds_read_b64 v[11:12], v3
	ds_read_b64 v[15:16], v4
	;; [unrolled: 1-line block ×4, first 2 shown]
	v_cndmask_b32_e64 v20, v34, v38, s[10:11]
	v_cndmask_b32_e64 v19, v33, v37, s[10:11]
	s_waitcnt lgkmcnt(0)
	; wave barrier
	ds_write2_b64 v92, v[17:18], v[21:22] offset1:1
	ds_write2_b64 v92, v[25:26], v[29:30] offset0:2 offset1:3
	ds_write2_b64 v92, v[35:36], v[41:42] offset0:4 offset1:5
	;; [unrolled: 1-line block ×3, first 2 shown]
	v_mov_b32_e32 v21, v71
	s_waitcnt lgkmcnt(0)
	; wave barrier
	s_and_saveexec_b64 s[12:13], s[0:1]
	s_cbranch_execz .LBB129_38
; %bb.35:                               ;   in Loop: Header=BB129_2 Depth=1
	s_mov_b64 s[14:15], 0
	v_mov_b32_e32 v21, v71
	v_mov_b32_e32 v17, v69
.LBB129_36:                             ;   Parent Loop BB129_2 Depth=1
                                        ; =>  This Inner Loop Header: Depth=2
	v_sub_u32_e32 v18, v17, v21
	v_lshrrev_b32_e32 v18, 1, v18
	v_add_u32_e32 v20, v18, v21
	v_not_b32_e32 v19, v20
	v_lshl_add_u32 v18, v20, 3, v94
	v_lshl_add_u32 v22, v19, 3, v85
	ds_read_b64 v[18:19], v18
	ds_read_b64 v[22:23], v22
	v_add_u32_e32 v24, 1, v20
	s_waitcnt lgkmcnt(0)
	v_cmp_lt_i64_e64 s[10:11], v[22:23], v[18:19]
	v_cndmask_b32_e64 v17, v17, v20, s[10:11]
	v_cndmask_b32_e64 v21, v24, v21, s[10:11]
	v_cmp_ge_i32_e64 s[10:11], v21, v17
	s_or_b64 s[14:15], s[10:11], s[14:15]
	s_andn2_b64 exec, exec, s[14:15]
	s_cbranch_execnz .LBB129_36
; %bb.37:                               ;   in Loop: Header=BB129_2 Depth=1
	s_or_b64 exec, exec, s[14:15]
.LBB129_38:                             ;   in Loop: Header=BB129_2 Depth=1
	s_or_b64 exec, exec, s[12:13]
	v_sub_u32_e32 v49, v84, v21
	v_lshl_add_u32 v23, v21, 3, v94
	v_lshlrev_b32_e32 v25, 3, v49
	ds_read_b64 v[17:18], v23
	ds_read_b64 v[19:20], v25
	v_add_u32_e32 v50, v21, v54
	v_cmp_le_i32_e64 s[14:15], v60, v50
	v_cmp_gt_i32_e64 s[10:11], v61, v49
                                        ; implicit-def: $vgpr21_vgpr22
	s_waitcnt lgkmcnt(0)
	v_cmp_lt_i64_e64 s[12:13], v[19:20], v[17:18]
	s_or_b64 s[12:13], s[14:15], s[12:13]
	s_and_b64 s[10:11], s[10:11], s[12:13]
	s_xor_b64 s[12:13], s[10:11], -1
	s_and_saveexec_b64 s[14:15], s[12:13]
	s_xor_b64 s[12:13], exec, s[14:15]
; %bb.39:                               ;   in Loop: Header=BB129_2 Depth=1
	ds_read_b64 v[21:22], v23 offset:8
                                        ; implicit-def: $vgpr25
; %bb.40:                               ;   in Loop: Header=BB129_2 Depth=1
	s_or_saveexec_b64 s[12:13], s[12:13]
	v_mov_b32_e32 v24, v20
	v_mov_b32_e32 v23, v19
	s_xor_b64 exec, exec, s[12:13]
	s_cbranch_execz .LBB129_42
; %bb.41:                               ;   in Loop: Header=BB129_2 Depth=1
	ds_read_b64 v[23:24], v25 offset:8
	s_waitcnt lgkmcnt(1)
	v_mov_b32_e32 v22, v18
	v_mov_b32_e32 v21, v17
.LBB129_42:                             ;   in Loop: Header=BB129_2 Depth=1
	s_or_b64 exec, exec, s[12:13]
	v_add_u32_e32 v26, 1, v50
	v_add_u32_e32 v25, 1, v49
	v_cndmask_b32_e64 v52, v26, v50, s[10:11]
	s_waitcnt lgkmcnt(0)
	v_cmp_lt_i64_e64 s[14:15], v[23:24], v[21:22]
	v_cndmask_b32_e64 v51, v49, v25, s[10:11]
	v_cmp_ge_i32_e64 s[16:17], v52, v60
	v_cmp_lt_i32_e64 s[12:13], v51, v61
	s_or_b64 s[14:15], s[16:17], s[14:15]
	s_and_b64 s[12:13], s[12:13], s[14:15]
	s_xor_b64 s[14:15], s[12:13], -1
                                        ; implicit-def: $vgpr25_vgpr26
	s_and_saveexec_b64 s[16:17], s[14:15]
	s_xor_b64 s[14:15], exec, s[16:17]
; %bb.43:                               ;   in Loop: Header=BB129_2 Depth=1
	v_lshlrev_b32_e32 v25, 3, v52
	ds_read_b64 v[25:26], v25 offset:8
; %bb.44:                               ;   in Loop: Header=BB129_2 Depth=1
	s_or_saveexec_b64 s[14:15], s[14:15]
	v_mov_b32_e32 v28, v24
	v_mov_b32_e32 v27, v23
	s_xor_b64 exec, exec, s[14:15]
	s_cbranch_execz .LBB129_46
; %bb.45:                               ;   in Loop: Header=BB129_2 Depth=1
	s_waitcnt lgkmcnt(0)
	v_lshlrev_b32_e32 v25, 3, v51
	ds_read_b64 v[27:28], v25 offset:8
	v_mov_b32_e32 v26, v22
	v_mov_b32_e32 v25, v21
.LBB129_46:                             ;   in Loop: Header=BB129_2 Depth=1
	s_or_b64 exec, exec, s[14:15]
	v_add_u32_e32 v30, 1, v52
	v_add_u32_e32 v29, 1, v51
	v_cndmask_b32_e64 v100, v30, v52, s[12:13]
	s_waitcnt lgkmcnt(0)
	v_cmp_lt_i64_e64 s[16:17], v[27:28], v[25:26]
	v_cndmask_b32_e64 v99, v51, v29, s[12:13]
	v_cmp_ge_i32_e64 s[18:19], v100, v60
	v_cmp_lt_i32_e64 s[14:15], v99, v61
	s_or_b64 s[16:17], s[18:19], s[16:17]
	s_and_b64 s[14:15], s[14:15], s[16:17]
	s_xor_b64 s[16:17], s[14:15], -1
                                        ; implicit-def: $vgpr29_vgpr30
	s_and_saveexec_b64 s[18:19], s[16:17]
	s_xor_b64 s[16:17], exec, s[18:19]
; %bb.47:                               ;   in Loop: Header=BB129_2 Depth=1
	v_lshlrev_b32_e32 v29, 3, v100
	ds_read_b64 v[29:30], v29 offset:8
; %bb.48:                               ;   in Loop: Header=BB129_2 Depth=1
	s_or_saveexec_b64 s[16:17], s[16:17]
	v_mov_b32_e32 v32, v28
	v_mov_b32_e32 v31, v27
	s_xor_b64 exec, exec, s[16:17]
	s_cbranch_execz .LBB129_50
; %bb.49:                               ;   in Loop: Header=BB129_2 Depth=1
	s_waitcnt lgkmcnt(0)
	v_lshlrev_b32_e32 v29, 3, v99
	ds_read_b64 v[31:32], v29 offset:8
	v_mov_b32_e32 v30, v26
	v_mov_b32_e32 v29, v25
.LBB129_50:                             ;   in Loop: Header=BB129_2 Depth=1
	s_or_b64 exec, exec, s[16:17]
	v_add_u32_e32 v34, 1, v100
	v_add_u32_e32 v33, 1, v99
	v_cndmask_b32_e64 v102, v34, v100, s[14:15]
	s_waitcnt lgkmcnt(0)
	v_cmp_lt_i64_e64 s[18:19], v[31:32], v[29:30]
	v_cndmask_b32_e64 v101, v99, v33, s[14:15]
	v_cmp_ge_i32_e64 s[20:21], v102, v60
	v_cmp_lt_i32_e64 s[16:17], v101, v61
	s_or_b64 s[18:19], s[20:21], s[18:19]
	s_and_b64 s[16:17], s[16:17], s[18:19]
	s_xor_b64 s[18:19], s[16:17], -1
                                        ; implicit-def: $vgpr33_vgpr34
	s_and_saveexec_b64 s[20:21], s[18:19]
	s_xor_b64 s[18:19], exec, s[20:21]
; %bb.51:                               ;   in Loop: Header=BB129_2 Depth=1
	v_lshlrev_b32_e32 v33, 3, v102
	ds_read_b64 v[33:34], v33 offset:8
; %bb.52:                               ;   in Loop: Header=BB129_2 Depth=1
	s_or_saveexec_b64 s[18:19], s[18:19]
	v_mov_b32_e32 v36, v32
	v_mov_b32_e32 v35, v31
	s_xor_b64 exec, exec, s[18:19]
	s_cbranch_execz .LBB129_54
; %bb.53:                               ;   in Loop: Header=BB129_2 Depth=1
	s_waitcnt lgkmcnt(0)
	v_lshlrev_b32_e32 v33, 3, v101
	ds_read_b64 v[35:36], v33 offset:8
	v_mov_b32_e32 v34, v30
	v_mov_b32_e32 v33, v29
.LBB129_54:                             ;   in Loop: Header=BB129_2 Depth=1
	s_or_b64 exec, exec, s[18:19]
	v_add_u32_e32 v38, 1, v102
	v_add_u32_e32 v37, 1, v101
	v_cndmask_b32_e64 v104, v38, v102, s[16:17]
	s_waitcnt lgkmcnt(0)
	v_cmp_lt_i64_e64 s[20:21], v[35:36], v[33:34]
	v_cndmask_b32_e64 v103, v101, v37, s[16:17]
	v_cmp_ge_i32_e64 s[22:23], v104, v60
	v_cmp_lt_i32_e64 s[18:19], v103, v61
	s_or_b64 s[20:21], s[22:23], s[20:21]
	s_and_b64 s[18:19], s[18:19], s[20:21]
	s_xor_b64 s[20:21], s[18:19], -1
                                        ; implicit-def: $vgpr37_vgpr38
	s_and_saveexec_b64 s[22:23], s[20:21]
	s_xor_b64 s[20:21], exec, s[22:23]
; %bb.55:                               ;   in Loop: Header=BB129_2 Depth=1
	v_lshlrev_b32_e32 v37, 3, v104
	ds_read_b64 v[37:38], v37 offset:8
; %bb.56:                               ;   in Loop: Header=BB129_2 Depth=1
	s_or_saveexec_b64 s[20:21], s[20:21]
	v_mov_b32_e32 v40, v36
	v_mov_b32_e32 v39, v35
	s_xor_b64 exec, exec, s[20:21]
	s_cbranch_execz .LBB129_58
; %bb.57:                               ;   in Loop: Header=BB129_2 Depth=1
	s_waitcnt lgkmcnt(0)
	v_lshlrev_b32_e32 v37, 3, v103
	ds_read_b64 v[39:40], v37 offset:8
	v_mov_b32_e32 v38, v34
	v_mov_b32_e32 v37, v33
.LBB129_58:                             ;   in Loop: Header=BB129_2 Depth=1
	s_or_b64 exec, exec, s[20:21]
	v_add_u32_e32 v42, 1, v104
	v_add_u32_e32 v41, 1, v103
	v_cndmask_b32_e64 v106, v42, v104, s[18:19]
	s_waitcnt lgkmcnt(0)
	v_cmp_lt_i64_e64 s[22:23], v[39:40], v[37:38]
	v_cndmask_b32_e64 v105, v103, v41, s[18:19]
	v_cmp_ge_i32_e64 s[24:25], v106, v60
	v_cmp_lt_i32_e64 s[20:21], v105, v61
	s_or_b64 s[22:23], s[24:25], s[22:23]
	s_and_b64 s[20:21], s[20:21], s[22:23]
	s_xor_b64 s[22:23], s[20:21], -1
                                        ; implicit-def: $vgpr41_vgpr42
	s_and_saveexec_b64 s[24:25], s[22:23]
	s_xor_b64 s[22:23], exec, s[24:25]
; %bb.59:                               ;   in Loop: Header=BB129_2 Depth=1
	v_lshlrev_b32_e32 v41, 3, v106
	ds_read_b64 v[41:42], v41 offset:8
; %bb.60:                               ;   in Loop: Header=BB129_2 Depth=1
	s_or_saveexec_b64 s[22:23], s[22:23]
	v_mov_b32_e32 v46, v40
	v_mov_b32_e32 v45, v39
	s_xor_b64 exec, exec, s[22:23]
	s_cbranch_execz .LBB129_62
; %bb.61:                               ;   in Loop: Header=BB129_2 Depth=1
	s_waitcnt lgkmcnt(0)
	v_lshlrev_b32_e32 v41, 3, v105
	ds_read_b64 v[45:46], v41 offset:8
	v_mov_b32_e32 v42, v38
	v_mov_b32_e32 v41, v37
.LBB129_62:                             ;   in Loop: Header=BB129_2 Depth=1
	s_or_b64 exec, exec, s[22:23]
	v_add_u32_e32 v44, 1, v106
	v_add_u32_e32 v43, 1, v105
	v_cndmask_b32_e64 v108, v44, v106, s[20:21]
	s_waitcnt lgkmcnt(0)
	v_cmp_lt_i64_e64 s[24:25], v[45:46], v[41:42]
	v_cndmask_b32_e64 v107, v105, v43, s[20:21]
	v_cmp_ge_i32_e64 s[26:27], v108, v60
	v_cmp_lt_i32_e64 s[22:23], v107, v61
	s_or_b64 s[24:25], s[26:27], s[24:25]
	s_and_b64 s[22:23], s[22:23], s[24:25]
	s_xor_b64 s[24:25], s[22:23], -1
                                        ; implicit-def: $vgpr43_vgpr44
	s_and_saveexec_b64 s[26:27], s[24:25]
	s_xor_b64 s[24:25], exec, s[26:27]
; %bb.63:                               ;   in Loop: Header=BB129_2 Depth=1
	v_lshlrev_b32_e32 v43, 3, v108
	ds_read_b64 v[43:44], v43 offset:8
; %bb.64:                               ;   in Loop: Header=BB129_2 Depth=1
	s_or_saveexec_b64 s[24:25], s[24:25]
	v_mov_b32_e32 v48, v46
	v_mov_b32_e32 v47, v45
	s_xor_b64 exec, exec, s[24:25]
	s_cbranch_execz .LBB129_66
; %bb.65:                               ;   in Loop: Header=BB129_2 Depth=1
	s_waitcnt lgkmcnt(0)
	v_lshlrev_b32_e32 v43, 3, v107
	ds_read_b64 v[47:48], v43 offset:8
	v_mov_b32_e32 v44, v42
	v_mov_b32_e32 v43, v41
.LBB129_66:                             ;   in Loop: Header=BB129_2 Depth=1
	s_or_b64 exec, exec, s[24:25]
	v_cndmask_b32_e64 v42, v42, v46, s[22:23]
	v_add_u32_e32 v46, 1, v108
	v_cndmask_b32_e64 v41, v41, v45, s[22:23]
	v_add_u32_e32 v45, 1, v107
	v_cndmask_b32_e64 v46, v46, v108, s[22:23]
	v_cndmask_b32_e64 v22, v22, v24, s[12:13]
	;; [unrolled: 1-line block ×4, first 2 shown]
	s_waitcnt lgkmcnt(0)
	v_cmp_lt_i64_e64 s[12:13], v[47:48], v[43:44]
	v_cndmask_b32_e64 v45, v107, v45, s[22:23]
	v_cndmask_b32_e64 v26, v26, v28, s[14:15]
	;; [unrolled: 1-line block ×4, first 2 shown]
	v_cmp_ge_i32_e64 s[14:15], v46, v60
	v_cndmask_b32_e64 v18, v18, v20, s[10:11]
	v_cndmask_b32_e64 v17, v17, v19, s[10:11]
	;; [unrolled: 1-line block ×3, first 2 shown]
	v_cmp_lt_i32_e64 s[10:11], v45, v61
	s_or_b64 s[12:13], s[14:15], s[12:13]
	v_cndmask_b32_e64 v29, v29, v31, s[16:17]
	v_cndmask_b32_e64 v31, v102, v101, s[16:17]
	s_and_b64 s[10:11], s[10:11], s[12:13]
	v_cndmask_b32_e64 v107, v108, v107, s[22:23]
	v_cndmask_b32_e64 v37, v37, v39, s[20:21]
	;; [unrolled: 1-line block ×6, first 2 shown]
	; wave barrier
	ds_write2_b64 v92, v[9:10], v[13:14] offset1:1
	ds_write2_b64 v92, v[1:2], v[5:6] offset0:2 offset1:3
	ds_write2_b64 v92, v[11:12], v[15:16] offset0:4 offset1:5
	;; [unrolled: 1-line block ×3, first 2 shown]
	v_lshlrev_b32_e32 v1, 3, v24
	v_lshlrev_b32_e32 v2, 3, v23
	;; [unrolled: 1-line block ×4, first 2 shown]
	s_waitcnt lgkmcnt(0)
	; wave barrier
	ds_read_b64 v[9:10], v1
	ds_read_b64 v[13:14], v2
	;; [unrolled: 1-line block ×4, first 2 shown]
	v_lshlrev_b32_e32 v3, 3, v35
	v_lshlrev_b32_e32 v4, 3, v39
	;; [unrolled: 1-line block ×4, first 2 shown]
	ds_read_b64 v[11:12], v3
	ds_read_b64 v[15:16], v4
	ds_read_b64 v[3:4], v7
	ds_read_b64 v[7:8], v8
	v_cndmask_b32_e64 v38, v38, v40, s[20:21]
	v_cndmask_b32_e64 v34, v34, v36, s[18:19]
	;; [unrolled: 1-line block ×5, first 2 shown]
	s_waitcnt lgkmcnt(0)
	; wave barrier
	ds_write2_b64 v92, v[17:18], v[21:22] offset1:1
	ds_write2_b64 v92, v[25:26], v[29:30] offset0:2 offset1:3
	ds_write2_b64 v92, v[33:34], v[37:38] offset0:4 offset1:5
	;; [unrolled: 1-line block ×3, first 2 shown]
	v_mov_b32_e32 v21, v72
	s_waitcnt lgkmcnt(0)
	; wave barrier
	s_and_saveexec_b64 s[12:13], s[2:3]
	s_cbranch_execz .LBB129_70
; %bb.67:                               ;   in Loop: Header=BB129_2 Depth=1
	s_mov_b64 s[14:15], 0
	v_mov_b32_e32 v21, v72
	v_mov_b32_e32 v17, v73
.LBB129_68:                             ;   Parent Loop BB129_2 Depth=1
                                        ; =>  This Inner Loop Header: Depth=2
	v_sub_u32_e32 v18, v17, v21
	v_lshrrev_b32_e32 v18, 1, v18
	v_add_u32_e32 v20, v18, v21
	v_not_b32_e32 v19, v20
	v_lshl_add_u32 v18, v20, 3, v95
	v_lshl_add_u32 v22, v19, 3, v87
	ds_read_b64 v[18:19], v18
	ds_read_b64 v[22:23], v22
	v_add_u32_e32 v24, 1, v20
	s_waitcnt lgkmcnt(0)
	v_cmp_lt_i64_e64 s[10:11], v[22:23], v[18:19]
	v_cndmask_b32_e64 v17, v17, v20, s[10:11]
	v_cndmask_b32_e64 v21, v24, v21, s[10:11]
	v_cmp_ge_i32_e64 s[10:11], v21, v17
	s_or_b64 s[14:15], s[10:11], s[14:15]
	s_andn2_b64 exec, exec, s[14:15]
	s_cbranch_execnz .LBB129_68
; %bb.69:                               ;   in Loop: Header=BB129_2 Depth=1
	s_or_b64 exec, exec, s[14:15]
.LBB129_70:                             ;   in Loop: Header=BB129_2 Depth=1
	s_or_b64 exec, exec, s[12:13]
	v_sub_u32_e32 v49, v86, v21
	v_lshl_add_u32 v23, v21, 3, v95
	v_lshlrev_b32_e32 v25, 3, v49
	ds_read_b64 v[17:18], v23
	ds_read_b64 v[19:20], v25
	v_add_u32_e32 v50, v21, v55
	v_cmp_le_i32_e64 s[14:15], v62, v50
	v_cmp_gt_i32_e64 s[10:11], v63, v49
                                        ; implicit-def: $vgpr21_vgpr22
	s_waitcnt lgkmcnt(0)
	v_cmp_lt_i64_e64 s[12:13], v[19:20], v[17:18]
	s_or_b64 s[12:13], s[14:15], s[12:13]
	s_and_b64 s[10:11], s[10:11], s[12:13]
	s_xor_b64 s[12:13], s[10:11], -1
	s_and_saveexec_b64 s[14:15], s[12:13]
	s_xor_b64 s[12:13], exec, s[14:15]
; %bb.71:                               ;   in Loop: Header=BB129_2 Depth=1
	ds_read_b64 v[21:22], v23 offset:8
                                        ; implicit-def: $vgpr25
; %bb.72:                               ;   in Loop: Header=BB129_2 Depth=1
	s_or_saveexec_b64 s[12:13], s[12:13]
	v_mov_b32_e32 v24, v20
	v_mov_b32_e32 v23, v19
	s_xor_b64 exec, exec, s[12:13]
	s_cbranch_execz .LBB129_74
; %bb.73:                               ;   in Loop: Header=BB129_2 Depth=1
	ds_read_b64 v[23:24], v25 offset:8
	s_waitcnt lgkmcnt(1)
	v_mov_b32_e32 v22, v18
	v_mov_b32_e32 v21, v17
.LBB129_74:                             ;   in Loop: Header=BB129_2 Depth=1
	s_or_b64 exec, exec, s[12:13]
	v_add_u32_e32 v26, 1, v50
	v_add_u32_e32 v25, 1, v49
	v_cndmask_b32_e64 v52, v26, v50, s[10:11]
	s_waitcnt lgkmcnt(0)
	v_cmp_lt_i64_e64 s[14:15], v[23:24], v[21:22]
	v_cndmask_b32_e64 v51, v49, v25, s[10:11]
	v_cmp_ge_i32_e64 s[16:17], v52, v62
	v_cmp_lt_i32_e64 s[12:13], v51, v63
	s_or_b64 s[14:15], s[16:17], s[14:15]
	s_and_b64 s[12:13], s[12:13], s[14:15]
	s_xor_b64 s[14:15], s[12:13], -1
                                        ; implicit-def: $vgpr25_vgpr26
	s_and_saveexec_b64 s[16:17], s[14:15]
	s_xor_b64 s[14:15], exec, s[16:17]
; %bb.75:                               ;   in Loop: Header=BB129_2 Depth=1
	v_lshlrev_b32_e32 v25, 3, v52
	ds_read_b64 v[25:26], v25 offset:8
; %bb.76:                               ;   in Loop: Header=BB129_2 Depth=1
	s_or_saveexec_b64 s[14:15], s[14:15]
	v_mov_b32_e32 v28, v24
	v_mov_b32_e32 v27, v23
	s_xor_b64 exec, exec, s[14:15]
	s_cbranch_execz .LBB129_78
; %bb.77:                               ;   in Loop: Header=BB129_2 Depth=1
	s_waitcnt lgkmcnt(0)
	v_lshlrev_b32_e32 v25, 3, v51
	ds_read_b64 v[27:28], v25 offset:8
	v_mov_b32_e32 v26, v22
	v_mov_b32_e32 v25, v21
.LBB129_78:                             ;   in Loop: Header=BB129_2 Depth=1
	s_or_b64 exec, exec, s[14:15]
	v_add_u32_e32 v30, 1, v52
	v_add_u32_e32 v29, 1, v51
	v_cndmask_b32_e64 v100, v30, v52, s[12:13]
	s_waitcnt lgkmcnt(0)
	v_cmp_lt_i64_e64 s[16:17], v[27:28], v[25:26]
	v_cndmask_b32_e64 v99, v51, v29, s[12:13]
	v_cmp_ge_i32_e64 s[18:19], v100, v62
	v_cmp_lt_i32_e64 s[14:15], v99, v63
	s_or_b64 s[16:17], s[18:19], s[16:17]
	s_and_b64 s[14:15], s[14:15], s[16:17]
	s_xor_b64 s[16:17], s[14:15], -1
                                        ; implicit-def: $vgpr29_vgpr30
	s_and_saveexec_b64 s[18:19], s[16:17]
	s_xor_b64 s[16:17], exec, s[18:19]
; %bb.79:                               ;   in Loop: Header=BB129_2 Depth=1
	v_lshlrev_b32_e32 v29, 3, v100
	ds_read_b64 v[29:30], v29 offset:8
; %bb.80:                               ;   in Loop: Header=BB129_2 Depth=1
	s_or_saveexec_b64 s[16:17], s[16:17]
	v_mov_b32_e32 v32, v28
	v_mov_b32_e32 v31, v27
	s_xor_b64 exec, exec, s[16:17]
	s_cbranch_execz .LBB129_82
; %bb.81:                               ;   in Loop: Header=BB129_2 Depth=1
	s_waitcnt lgkmcnt(0)
	v_lshlrev_b32_e32 v29, 3, v99
	ds_read_b64 v[31:32], v29 offset:8
	v_mov_b32_e32 v30, v26
	v_mov_b32_e32 v29, v25
.LBB129_82:                             ;   in Loop: Header=BB129_2 Depth=1
	s_or_b64 exec, exec, s[16:17]
	v_add_u32_e32 v34, 1, v100
	v_add_u32_e32 v33, 1, v99
	v_cndmask_b32_e64 v102, v34, v100, s[14:15]
	s_waitcnt lgkmcnt(0)
	v_cmp_lt_i64_e64 s[18:19], v[31:32], v[29:30]
	v_cndmask_b32_e64 v101, v99, v33, s[14:15]
	v_cmp_ge_i32_e64 s[20:21], v102, v62
	v_cmp_lt_i32_e64 s[16:17], v101, v63
	s_or_b64 s[18:19], s[20:21], s[18:19]
	s_and_b64 s[16:17], s[16:17], s[18:19]
	s_xor_b64 s[18:19], s[16:17], -1
                                        ; implicit-def: $vgpr33_vgpr34
	s_and_saveexec_b64 s[20:21], s[18:19]
	s_xor_b64 s[18:19], exec, s[20:21]
; %bb.83:                               ;   in Loop: Header=BB129_2 Depth=1
	v_lshlrev_b32_e32 v33, 3, v102
	ds_read_b64 v[33:34], v33 offset:8
; %bb.84:                               ;   in Loop: Header=BB129_2 Depth=1
	s_or_saveexec_b64 s[18:19], s[18:19]
	v_mov_b32_e32 v36, v32
	v_mov_b32_e32 v35, v31
	s_xor_b64 exec, exec, s[18:19]
	s_cbranch_execz .LBB129_86
; %bb.85:                               ;   in Loop: Header=BB129_2 Depth=1
	s_waitcnt lgkmcnt(0)
	v_lshlrev_b32_e32 v33, 3, v101
	ds_read_b64 v[35:36], v33 offset:8
	v_mov_b32_e32 v34, v30
	v_mov_b32_e32 v33, v29
.LBB129_86:                             ;   in Loop: Header=BB129_2 Depth=1
	s_or_b64 exec, exec, s[18:19]
	v_add_u32_e32 v38, 1, v102
	v_add_u32_e32 v37, 1, v101
	v_cndmask_b32_e64 v104, v38, v102, s[16:17]
	s_waitcnt lgkmcnt(0)
	v_cmp_lt_i64_e64 s[20:21], v[35:36], v[33:34]
	v_cndmask_b32_e64 v103, v101, v37, s[16:17]
	v_cmp_ge_i32_e64 s[22:23], v104, v62
	v_cmp_lt_i32_e64 s[18:19], v103, v63
	s_or_b64 s[20:21], s[22:23], s[20:21]
	s_and_b64 s[18:19], s[18:19], s[20:21]
	s_xor_b64 s[20:21], s[18:19], -1
                                        ; implicit-def: $vgpr37_vgpr38
	s_and_saveexec_b64 s[22:23], s[20:21]
	s_xor_b64 s[20:21], exec, s[22:23]
; %bb.87:                               ;   in Loop: Header=BB129_2 Depth=1
	v_lshlrev_b32_e32 v37, 3, v104
	ds_read_b64 v[37:38], v37 offset:8
; %bb.88:                               ;   in Loop: Header=BB129_2 Depth=1
	s_or_saveexec_b64 s[20:21], s[20:21]
	v_mov_b32_e32 v40, v36
	v_mov_b32_e32 v39, v35
	s_xor_b64 exec, exec, s[20:21]
	s_cbranch_execz .LBB129_90
; %bb.89:                               ;   in Loop: Header=BB129_2 Depth=1
	s_waitcnt lgkmcnt(0)
	v_lshlrev_b32_e32 v37, 3, v103
	ds_read_b64 v[39:40], v37 offset:8
	v_mov_b32_e32 v38, v34
	v_mov_b32_e32 v37, v33
.LBB129_90:                             ;   in Loop: Header=BB129_2 Depth=1
	s_or_b64 exec, exec, s[20:21]
	v_add_u32_e32 v42, 1, v104
	v_add_u32_e32 v41, 1, v103
	v_cndmask_b32_e64 v106, v42, v104, s[18:19]
	s_waitcnt lgkmcnt(0)
	v_cmp_lt_i64_e64 s[22:23], v[39:40], v[37:38]
	v_cndmask_b32_e64 v105, v103, v41, s[18:19]
	v_cmp_ge_i32_e64 s[24:25], v106, v62
	v_cmp_lt_i32_e64 s[20:21], v105, v63
	s_or_b64 s[22:23], s[24:25], s[22:23]
	s_and_b64 s[20:21], s[20:21], s[22:23]
	s_xor_b64 s[22:23], s[20:21], -1
                                        ; implicit-def: $vgpr41_vgpr42
	s_and_saveexec_b64 s[24:25], s[22:23]
	s_xor_b64 s[22:23], exec, s[24:25]
; %bb.91:                               ;   in Loop: Header=BB129_2 Depth=1
	v_lshlrev_b32_e32 v41, 3, v106
	ds_read_b64 v[41:42], v41 offset:8
; %bb.92:                               ;   in Loop: Header=BB129_2 Depth=1
	s_or_saveexec_b64 s[22:23], s[22:23]
	v_mov_b32_e32 v46, v40
	v_mov_b32_e32 v45, v39
	s_xor_b64 exec, exec, s[22:23]
	s_cbranch_execz .LBB129_94
; %bb.93:                               ;   in Loop: Header=BB129_2 Depth=1
	s_waitcnt lgkmcnt(0)
	v_lshlrev_b32_e32 v41, 3, v105
	ds_read_b64 v[45:46], v41 offset:8
	v_mov_b32_e32 v42, v38
	v_mov_b32_e32 v41, v37
.LBB129_94:                             ;   in Loop: Header=BB129_2 Depth=1
	s_or_b64 exec, exec, s[22:23]
	v_add_u32_e32 v44, 1, v106
	v_add_u32_e32 v43, 1, v105
	v_cndmask_b32_e64 v108, v44, v106, s[20:21]
	s_waitcnt lgkmcnt(0)
	v_cmp_lt_i64_e64 s[24:25], v[45:46], v[41:42]
	v_cndmask_b32_e64 v107, v105, v43, s[20:21]
	v_cmp_ge_i32_e64 s[26:27], v108, v62
	v_cmp_lt_i32_e64 s[22:23], v107, v63
	s_or_b64 s[24:25], s[26:27], s[24:25]
	s_and_b64 s[22:23], s[22:23], s[24:25]
	s_xor_b64 s[24:25], s[22:23], -1
                                        ; implicit-def: $vgpr43_vgpr44
	s_and_saveexec_b64 s[26:27], s[24:25]
	s_xor_b64 s[24:25], exec, s[26:27]
; %bb.95:                               ;   in Loop: Header=BB129_2 Depth=1
	v_lshlrev_b32_e32 v43, 3, v108
	ds_read_b64 v[43:44], v43 offset:8
; %bb.96:                               ;   in Loop: Header=BB129_2 Depth=1
	s_or_saveexec_b64 s[24:25], s[24:25]
	v_mov_b32_e32 v48, v46
	v_mov_b32_e32 v47, v45
	s_xor_b64 exec, exec, s[24:25]
	s_cbranch_execz .LBB129_98
; %bb.97:                               ;   in Loop: Header=BB129_2 Depth=1
	s_waitcnt lgkmcnt(0)
	v_lshlrev_b32_e32 v43, 3, v107
	ds_read_b64 v[47:48], v43 offset:8
	v_mov_b32_e32 v44, v42
	v_mov_b32_e32 v43, v41
.LBB129_98:                             ;   in Loop: Header=BB129_2 Depth=1
	s_or_b64 exec, exec, s[24:25]
	v_cndmask_b32_e64 v42, v42, v46, s[22:23]
	v_add_u32_e32 v46, 1, v108
	v_cndmask_b32_e64 v41, v41, v45, s[22:23]
	v_add_u32_e32 v45, 1, v107
	v_cndmask_b32_e64 v46, v46, v108, s[22:23]
	v_cndmask_b32_e64 v22, v22, v24, s[12:13]
	;; [unrolled: 1-line block ×4, first 2 shown]
	s_waitcnt lgkmcnt(0)
	v_cmp_lt_i64_e64 s[12:13], v[47:48], v[43:44]
	v_cndmask_b32_e64 v45, v107, v45, s[22:23]
	v_cndmask_b32_e64 v26, v26, v28, s[14:15]
	;; [unrolled: 1-line block ×4, first 2 shown]
	v_cmp_ge_i32_e64 s[14:15], v46, v62
	v_cndmask_b32_e64 v18, v18, v20, s[10:11]
	v_cndmask_b32_e64 v17, v17, v19, s[10:11]
	;; [unrolled: 1-line block ×3, first 2 shown]
	v_cmp_lt_i32_e64 s[10:11], v45, v63
	s_or_b64 s[12:13], s[14:15], s[12:13]
	v_cndmask_b32_e64 v29, v29, v31, s[16:17]
	v_cndmask_b32_e64 v31, v102, v101, s[16:17]
	s_and_b64 s[10:11], s[10:11], s[12:13]
	v_cndmask_b32_e64 v107, v108, v107, s[22:23]
	v_cndmask_b32_e64 v37, v37, v39, s[20:21]
	;; [unrolled: 1-line block ×6, first 2 shown]
	; wave barrier
	ds_write2_b64 v92, v[9:10], v[13:14] offset1:1
	ds_write2_b64 v92, v[1:2], v[5:6] offset0:2 offset1:3
	ds_write2_b64 v92, v[11:12], v[15:16] offset0:4 offset1:5
	;; [unrolled: 1-line block ×3, first 2 shown]
	v_lshlrev_b32_e32 v1, 3, v24
	v_lshlrev_b32_e32 v2, 3, v23
	;; [unrolled: 1-line block ×4, first 2 shown]
	s_waitcnt lgkmcnt(0)
	; wave barrier
	ds_read_b64 v[9:10], v1
	ds_read_b64 v[13:14], v2
	;; [unrolled: 1-line block ×4, first 2 shown]
	v_lshlrev_b32_e32 v3, 3, v35
	v_lshlrev_b32_e32 v4, 3, v39
	;; [unrolled: 1-line block ×4, first 2 shown]
	ds_read_b64 v[11:12], v3
	ds_read_b64 v[15:16], v4
	ds_read_b64 v[3:4], v7
	ds_read_b64 v[7:8], v8
	v_cndmask_b32_e64 v38, v38, v40, s[20:21]
	v_cndmask_b32_e64 v34, v34, v36, s[18:19]
	v_cndmask_b32_e64 v30, v30, v32, s[16:17]
	v_cndmask_b32_e64 v20, v44, v48, s[10:11]
	v_cndmask_b32_e64 v19, v43, v47, s[10:11]
	s_waitcnt lgkmcnt(0)
	; wave barrier
	ds_write2_b64 v92, v[17:18], v[21:22] offset1:1
	ds_write2_b64 v92, v[25:26], v[29:30] offset0:2 offset1:3
	ds_write2_b64 v92, v[33:34], v[37:38] offset0:4 offset1:5
	;; [unrolled: 1-line block ×3, first 2 shown]
	v_mov_b32_e32 v21, v74
	s_waitcnt lgkmcnt(0)
	; wave barrier
	s_and_saveexec_b64 s[12:13], s[4:5]
	s_cbranch_execz .LBB129_102
; %bb.99:                               ;   in Loop: Header=BB129_2 Depth=1
	s_mov_b64 s[14:15], 0
	v_mov_b32_e32 v21, v74
	v_mov_b32_e32 v17, v75
.LBB129_100:                            ;   Parent Loop BB129_2 Depth=1
                                        ; =>  This Inner Loop Header: Depth=2
	v_sub_u32_e32 v18, v17, v21
	v_lshrrev_b32_e32 v18, 1, v18
	v_add_u32_e32 v20, v18, v21
	v_not_b32_e32 v19, v20
	v_lshl_add_u32 v18, v20, 3, v96
	v_lshl_add_u32 v22, v19, 3, v89
	ds_read_b64 v[18:19], v18
	ds_read_b64 v[22:23], v22
	v_add_u32_e32 v24, 1, v20
	s_waitcnt lgkmcnt(0)
	v_cmp_lt_i64_e64 s[10:11], v[22:23], v[18:19]
	v_cndmask_b32_e64 v17, v17, v20, s[10:11]
	v_cndmask_b32_e64 v21, v24, v21, s[10:11]
	v_cmp_ge_i32_e64 s[10:11], v21, v17
	s_or_b64 s[14:15], s[10:11], s[14:15]
	s_andn2_b64 exec, exec, s[14:15]
	s_cbranch_execnz .LBB129_100
; %bb.101:                              ;   in Loop: Header=BB129_2 Depth=1
	s_or_b64 exec, exec, s[14:15]
.LBB129_102:                            ;   in Loop: Header=BB129_2 Depth=1
	s_or_b64 exec, exec, s[12:13]
	v_sub_u32_e32 v49, v88, v21
	v_lshl_add_u32 v23, v21, 3, v96
	v_lshlrev_b32_e32 v25, 3, v49
	ds_read_b64 v[17:18], v23
	ds_read_b64 v[19:20], v25
	v_add_u32_e32 v50, v21, v56
	v_cmp_le_i32_e64 s[14:15], v64, v50
	v_cmp_gt_i32_e64 s[10:11], v65, v49
                                        ; implicit-def: $vgpr21_vgpr22
	s_waitcnt lgkmcnt(0)
	v_cmp_lt_i64_e64 s[12:13], v[19:20], v[17:18]
	s_or_b64 s[12:13], s[14:15], s[12:13]
	s_and_b64 s[10:11], s[10:11], s[12:13]
	s_xor_b64 s[12:13], s[10:11], -1
	s_and_saveexec_b64 s[14:15], s[12:13]
	s_xor_b64 s[12:13], exec, s[14:15]
; %bb.103:                              ;   in Loop: Header=BB129_2 Depth=1
	ds_read_b64 v[21:22], v23 offset:8
                                        ; implicit-def: $vgpr25
; %bb.104:                              ;   in Loop: Header=BB129_2 Depth=1
	s_or_saveexec_b64 s[12:13], s[12:13]
	v_mov_b32_e32 v24, v20
	v_mov_b32_e32 v23, v19
	s_xor_b64 exec, exec, s[12:13]
	s_cbranch_execz .LBB129_106
; %bb.105:                              ;   in Loop: Header=BB129_2 Depth=1
	ds_read_b64 v[23:24], v25 offset:8
	s_waitcnt lgkmcnt(1)
	v_mov_b32_e32 v22, v18
	v_mov_b32_e32 v21, v17
.LBB129_106:                            ;   in Loop: Header=BB129_2 Depth=1
	s_or_b64 exec, exec, s[12:13]
	v_add_u32_e32 v26, 1, v50
	v_add_u32_e32 v25, 1, v49
	v_cndmask_b32_e64 v52, v26, v50, s[10:11]
	s_waitcnt lgkmcnt(0)
	v_cmp_lt_i64_e64 s[14:15], v[23:24], v[21:22]
	v_cndmask_b32_e64 v51, v49, v25, s[10:11]
	v_cmp_ge_i32_e64 s[16:17], v52, v64
	v_cmp_lt_i32_e64 s[12:13], v51, v65
	s_or_b64 s[14:15], s[16:17], s[14:15]
	s_and_b64 s[12:13], s[12:13], s[14:15]
	s_xor_b64 s[14:15], s[12:13], -1
                                        ; implicit-def: $vgpr25_vgpr26
	s_and_saveexec_b64 s[16:17], s[14:15]
	s_xor_b64 s[14:15], exec, s[16:17]
; %bb.107:                              ;   in Loop: Header=BB129_2 Depth=1
	v_lshlrev_b32_e32 v25, 3, v52
	ds_read_b64 v[25:26], v25 offset:8
; %bb.108:                              ;   in Loop: Header=BB129_2 Depth=1
	s_or_saveexec_b64 s[14:15], s[14:15]
	v_mov_b32_e32 v28, v24
	v_mov_b32_e32 v27, v23
	s_xor_b64 exec, exec, s[14:15]
	s_cbranch_execz .LBB129_110
; %bb.109:                              ;   in Loop: Header=BB129_2 Depth=1
	s_waitcnt lgkmcnt(0)
	v_lshlrev_b32_e32 v25, 3, v51
	ds_read_b64 v[27:28], v25 offset:8
	v_mov_b32_e32 v26, v22
	v_mov_b32_e32 v25, v21
.LBB129_110:                            ;   in Loop: Header=BB129_2 Depth=1
	s_or_b64 exec, exec, s[14:15]
	v_add_u32_e32 v30, 1, v52
	v_add_u32_e32 v29, 1, v51
	v_cndmask_b32_e64 v100, v30, v52, s[12:13]
	s_waitcnt lgkmcnt(0)
	v_cmp_lt_i64_e64 s[16:17], v[27:28], v[25:26]
	v_cndmask_b32_e64 v99, v51, v29, s[12:13]
	v_cmp_ge_i32_e64 s[18:19], v100, v64
	v_cmp_lt_i32_e64 s[14:15], v99, v65
	s_or_b64 s[16:17], s[18:19], s[16:17]
	s_and_b64 s[14:15], s[14:15], s[16:17]
	s_xor_b64 s[16:17], s[14:15], -1
                                        ; implicit-def: $vgpr29_vgpr30
	s_and_saveexec_b64 s[18:19], s[16:17]
	s_xor_b64 s[16:17], exec, s[18:19]
; %bb.111:                              ;   in Loop: Header=BB129_2 Depth=1
	v_lshlrev_b32_e32 v29, 3, v100
	ds_read_b64 v[29:30], v29 offset:8
; %bb.112:                              ;   in Loop: Header=BB129_2 Depth=1
	s_or_saveexec_b64 s[16:17], s[16:17]
	v_mov_b32_e32 v32, v28
	v_mov_b32_e32 v31, v27
	s_xor_b64 exec, exec, s[16:17]
	s_cbranch_execz .LBB129_114
; %bb.113:                              ;   in Loop: Header=BB129_2 Depth=1
	s_waitcnt lgkmcnt(0)
	v_lshlrev_b32_e32 v29, 3, v99
	ds_read_b64 v[31:32], v29 offset:8
	v_mov_b32_e32 v30, v26
	v_mov_b32_e32 v29, v25
.LBB129_114:                            ;   in Loop: Header=BB129_2 Depth=1
	s_or_b64 exec, exec, s[16:17]
	v_add_u32_e32 v34, 1, v100
	v_add_u32_e32 v33, 1, v99
	v_cndmask_b32_e64 v102, v34, v100, s[14:15]
	s_waitcnt lgkmcnt(0)
	v_cmp_lt_i64_e64 s[18:19], v[31:32], v[29:30]
	v_cndmask_b32_e64 v101, v99, v33, s[14:15]
	v_cmp_ge_i32_e64 s[20:21], v102, v64
	v_cmp_lt_i32_e64 s[16:17], v101, v65
	s_or_b64 s[18:19], s[20:21], s[18:19]
	s_and_b64 s[16:17], s[16:17], s[18:19]
	s_xor_b64 s[18:19], s[16:17], -1
                                        ; implicit-def: $vgpr33_vgpr34
	s_and_saveexec_b64 s[20:21], s[18:19]
	s_xor_b64 s[18:19], exec, s[20:21]
; %bb.115:                              ;   in Loop: Header=BB129_2 Depth=1
	v_lshlrev_b32_e32 v33, 3, v102
	ds_read_b64 v[33:34], v33 offset:8
; %bb.116:                              ;   in Loop: Header=BB129_2 Depth=1
	s_or_saveexec_b64 s[18:19], s[18:19]
	v_mov_b32_e32 v36, v32
	v_mov_b32_e32 v35, v31
	s_xor_b64 exec, exec, s[18:19]
	s_cbranch_execz .LBB129_118
; %bb.117:                              ;   in Loop: Header=BB129_2 Depth=1
	s_waitcnt lgkmcnt(0)
	v_lshlrev_b32_e32 v33, 3, v101
	ds_read_b64 v[35:36], v33 offset:8
	v_mov_b32_e32 v34, v30
	v_mov_b32_e32 v33, v29
.LBB129_118:                            ;   in Loop: Header=BB129_2 Depth=1
	s_or_b64 exec, exec, s[18:19]
	v_add_u32_e32 v38, 1, v102
	v_add_u32_e32 v37, 1, v101
	v_cndmask_b32_e64 v104, v38, v102, s[16:17]
	s_waitcnt lgkmcnt(0)
	v_cmp_lt_i64_e64 s[20:21], v[35:36], v[33:34]
	v_cndmask_b32_e64 v103, v101, v37, s[16:17]
	v_cmp_ge_i32_e64 s[22:23], v104, v64
	v_cmp_lt_i32_e64 s[18:19], v103, v65
	s_or_b64 s[20:21], s[22:23], s[20:21]
	s_and_b64 s[18:19], s[18:19], s[20:21]
	s_xor_b64 s[20:21], s[18:19], -1
                                        ; implicit-def: $vgpr37_vgpr38
	s_and_saveexec_b64 s[22:23], s[20:21]
	s_xor_b64 s[20:21], exec, s[22:23]
; %bb.119:                              ;   in Loop: Header=BB129_2 Depth=1
	v_lshlrev_b32_e32 v37, 3, v104
	ds_read_b64 v[37:38], v37 offset:8
; %bb.120:                              ;   in Loop: Header=BB129_2 Depth=1
	s_or_saveexec_b64 s[20:21], s[20:21]
	v_mov_b32_e32 v40, v36
	v_mov_b32_e32 v39, v35
	s_xor_b64 exec, exec, s[20:21]
	s_cbranch_execz .LBB129_122
; %bb.121:                              ;   in Loop: Header=BB129_2 Depth=1
	s_waitcnt lgkmcnt(0)
	v_lshlrev_b32_e32 v37, 3, v103
	ds_read_b64 v[39:40], v37 offset:8
	v_mov_b32_e32 v38, v34
	v_mov_b32_e32 v37, v33
.LBB129_122:                            ;   in Loop: Header=BB129_2 Depth=1
	s_or_b64 exec, exec, s[20:21]
	v_add_u32_e32 v42, 1, v104
	v_add_u32_e32 v41, 1, v103
	v_cndmask_b32_e64 v106, v42, v104, s[18:19]
	s_waitcnt lgkmcnt(0)
	v_cmp_lt_i64_e64 s[22:23], v[39:40], v[37:38]
	v_cndmask_b32_e64 v105, v103, v41, s[18:19]
	v_cmp_ge_i32_e64 s[24:25], v106, v64
	v_cmp_lt_i32_e64 s[20:21], v105, v65
	s_or_b64 s[22:23], s[24:25], s[22:23]
	s_and_b64 s[20:21], s[20:21], s[22:23]
	s_xor_b64 s[22:23], s[20:21], -1
                                        ; implicit-def: $vgpr41_vgpr42
	s_and_saveexec_b64 s[24:25], s[22:23]
	s_xor_b64 s[22:23], exec, s[24:25]
; %bb.123:                              ;   in Loop: Header=BB129_2 Depth=1
	v_lshlrev_b32_e32 v41, 3, v106
	ds_read_b64 v[41:42], v41 offset:8
; %bb.124:                              ;   in Loop: Header=BB129_2 Depth=1
	s_or_saveexec_b64 s[22:23], s[22:23]
	v_mov_b32_e32 v46, v40
	v_mov_b32_e32 v45, v39
	s_xor_b64 exec, exec, s[22:23]
	s_cbranch_execz .LBB129_126
; %bb.125:                              ;   in Loop: Header=BB129_2 Depth=1
	s_waitcnt lgkmcnt(0)
	v_lshlrev_b32_e32 v41, 3, v105
	ds_read_b64 v[45:46], v41 offset:8
	v_mov_b32_e32 v42, v38
	v_mov_b32_e32 v41, v37
.LBB129_126:                            ;   in Loop: Header=BB129_2 Depth=1
	s_or_b64 exec, exec, s[22:23]
	v_add_u32_e32 v44, 1, v106
	v_add_u32_e32 v43, 1, v105
	v_cndmask_b32_e64 v108, v44, v106, s[20:21]
	s_waitcnt lgkmcnt(0)
	v_cmp_lt_i64_e64 s[24:25], v[45:46], v[41:42]
	v_cndmask_b32_e64 v107, v105, v43, s[20:21]
	v_cmp_ge_i32_e64 s[26:27], v108, v64
	v_cmp_lt_i32_e64 s[22:23], v107, v65
	s_or_b64 s[24:25], s[26:27], s[24:25]
	s_and_b64 s[22:23], s[22:23], s[24:25]
	s_xor_b64 s[24:25], s[22:23], -1
                                        ; implicit-def: $vgpr43_vgpr44
	s_and_saveexec_b64 s[26:27], s[24:25]
	s_xor_b64 s[24:25], exec, s[26:27]
; %bb.127:                              ;   in Loop: Header=BB129_2 Depth=1
	v_lshlrev_b32_e32 v43, 3, v108
	ds_read_b64 v[43:44], v43 offset:8
; %bb.128:                              ;   in Loop: Header=BB129_2 Depth=1
	s_or_saveexec_b64 s[24:25], s[24:25]
	v_mov_b32_e32 v48, v46
	v_mov_b32_e32 v47, v45
	s_xor_b64 exec, exec, s[24:25]
	s_cbranch_execz .LBB129_130
; %bb.129:                              ;   in Loop: Header=BB129_2 Depth=1
	s_waitcnt lgkmcnt(0)
	v_lshlrev_b32_e32 v43, 3, v107
	ds_read_b64 v[47:48], v43 offset:8
	v_mov_b32_e32 v44, v42
	v_mov_b32_e32 v43, v41
.LBB129_130:                            ;   in Loop: Header=BB129_2 Depth=1
	s_or_b64 exec, exec, s[24:25]
	v_cndmask_b32_e64 v42, v42, v46, s[22:23]
	v_add_u32_e32 v46, 1, v108
	v_cndmask_b32_e64 v41, v41, v45, s[22:23]
	v_add_u32_e32 v45, 1, v107
	v_cndmask_b32_e64 v46, v46, v108, s[22:23]
	v_cndmask_b32_e64 v22, v22, v24, s[12:13]
	;; [unrolled: 1-line block ×4, first 2 shown]
	s_waitcnt lgkmcnt(0)
	v_cmp_lt_i64_e64 s[12:13], v[47:48], v[43:44]
	v_cndmask_b32_e64 v45, v107, v45, s[22:23]
	v_cndmask_b32_e64 v26, v26, v28, s[14:15]
	;; [unrolled: 1-line block ×4, first 2 shown]
	v_cmp_ge_i32_e64 s[14:15], v46, v64
	v_cndmask_b32_e64 v18, v18, v20, s[10:11]
	v_cndmask_b32_e64 v17, v17, v19, s[10:11]
	;; [unrolled: 1-line block ×3, first 2 shown]
	v_cmp_lt_i32_e64 s[10:11], v45, v65
	s_or_b64 s[12:13], s[14:15], s[12:13]
	v_cndmask_b32_e64 v29, v29, v31, s[16:17]
	v_cndmask_b32_e64 v31, v102, v101, s[16:17]
	s_and_b64 s[10:11], s[10:11], s[12:13]
	v_cndmask_b32_e64 v107, v108, v107, s[22:23]
	v_cndmask_b32_e64 v37, v37, v39, s[20:21]
	;; [unrolled: 1-line block ×6, first 2 shown]
	; wave barrier
	ds_write2_b64 v92, v[9:10], v[13:14] offset1:1
	ds_write2_b64 v92, v[1:2], v[5:6] offset0:2 offset1:3
	ds_write2_b64 v92, v[11:12], v[15:16] offset0:4 offset1:5
	;; [unrolled: 1-line block ×3, first 2 shown]
	v_lshlrev_b32_e32 v1, 3, v24
	v_lshlrev_b32_e32 v2, 3, v23
	;; [unrolled: 1-line block ×4, first 2 shown]
	s_waitcnt lgkmcnt(0)
	; wave barrier
	ds_read_b64 v[9:10], v1
	ds_read_b64 v[13:14], v2
	;; [unrolled: 1-line block ×4, first 2 shown]
	v_lshlrev_b32_e32 v3, 3, v35
	v_lshlrev_b32_e32 v4, 3, v39
	v_lshlrev_b32_e32 v7, 3, v107
	v_lshlrev_b32_e32 v8, 3, v28
	ds_read_b64 v[11:12], v3
	ds_read_b64 v[15:16], v4
	;; [unrolled: 1-line block ×4, first 2 shown]
	v_cndmask_b32_e64 v38, v38, v40, s[20:21]
	v_cndmask_b32_e64 v34, v34, v36, s[18:19]
	;; [unrolled: 1-line block ×5, first 2 shown]
	s_waitcnt lgkmcnt(0)
	; wave barrier
	ds_write2_b64 v92, v[17:18], v[21:22] offset1:1
	ds_write2_b64 v92, v[25:26], v[29:30] offset0:2 offset1:3
	ds_write2_b64 v92, v[33:34], v[37:38] offset0:4 offset1:5
	;; [unrolled: 1-line block ×3, first 2 shown]
	v_mov_b32_e32 v21, v76
	s_waitcnt lgkmcnt(0)
	; wave barrier
	s_and_saveexec_b64 s[12:13], s[6:7]
	s_cbranch_execz .LBB129_134
; %bb.131:                              ;   in Loop: Header=BB129_2 Depth=1
	s_mov_b64 s[14:15], 0
	v_mov_b32_e32 v21, v76
	v_mov_b32_e32 v17, v77
.LBB129_132:                            ;   Parent Loop BB129_2 Depth=1
                                        ; =>  This Inner Loop Header: Depth=2
	v_sub_u32_e32 v18, v17, v21
	v_lshrrev_b32_e32 v18, 1, v18
	v_add_u32_e32 v20, v18, v21
	v_not_b32_e32 v19, v20
	v_lshl_add_u32 v18, v20, 3, v97
	v_lshl_add_u32 v22, v19, 3, v91
	ds_read_b64 v[18:19], v18
	ds_read_b64 v[22:23], v22
	v_add_u32_e32 v24, 1, v20
	s_waitcnt lgkmcnt(0)
	v_cmp_lt_i64_e64 s[10:11], v[22:23], v[18:19]
	v_cndmask_b32_e64 v17, v17, v20, s[10:11]
	v_cndmask_b32_e64 v21, v24, v21, s[10:11]
	v_cmp_ge_i32_e64 s[10:11], v21, v17
	s_or_b64 s[14:15], s[10:11], s[14:15]
	s_andn2_b64 exec, exec, s[14:15]
	s_cbranch_execnz .LBB129_132
; %bb.133:                              ;   in Loop: Header=BB129_2 Depth=1
	s_or_b64 exec, exec, s[14:15]
.LBB129_134:                            ;   in Loop: Header=BB129_2 Depth=1
	s_or_b64 exec, exec, s[12:13]
	v_sub_u32_e32 v49, v90, v21
	v_lshl_add_u32 v23, v21, 3, v97
	v_lshlrev_b32_e32 v25, 3, v49
	ds_read_b64 v[17:18], v23
	ds_read_b64 v[19:20], v25
	v_add_u32_e32 v50, v21, v57
	v_cmp_le_i32_e64 s[14:15], v66, v50
	v_cmp_gt_i32_e64 s[10:11], v67, v49
                                        ; implicit-def: $vgpr21_vgpr22
	s_waitcnt lgkmcnt(0)
	v_cmp_lt_i64_e64 s[12:13], v[19:20], v[17:18]
	s_or_b64 s[12:13], s[14:15], s[12:13]
	s_and_b64 s[10:11], s[10:11], s[12:13]
	s_xor_b64 s[12:13], s[10:11], -1
	s_and_saveexec_b64 s[14:15], s[12:13]
	s_xor_b64 s[12:13], exec, s[14:15]
; %bb.135:                              ;   in Loop: Header=BB129_2 Depth=1
	ds_read_b64 v[21:22], v23 offset:8
                                        ; implicit-def: $vgpr25
; %bb.136:                              ;   in Loop: Header=BB129_2 Depth=1
	s_or_saveexec_b64 s[12:13], s[12:13]
	v_mov_b32_e32 v24, v20
	v_mov_b32_e32 v23, v19
	s_xor_b64 exec, exec, s[12:13]
	s_cbranch_execz .LBB129_138
; %bb.137:                              ;   in Loop: Header=BB129_2 Depth=1
	ds_read_b64 v[23:24], v25 offset:8
	s_waitcnt lgkmcnt(1)
	v_mov_b32_e32 v22, v18
	v_mov_b32_e32 v21, v17
.LBB129_138:                            ;   in Loop: Header=BB129_2 Depth=1
	s_or_b64 exec, exec, s[12:13]
	v_add_u32_e32 v26, 1, v50
	v_add_u32_e32 v25, 1, v49
	v_cndmask_b32_e64 v52, v26, v50, s[10:11]
	s_waitcnt lgkmcnt(0)
	v_cmp_lt_i64_e64 s[14:15], v[23:24], v[21:22]
	v_cndmask_b32_e64 v51, v49, v25, s[10:11]
	v_cmp_ge_i32_e64 s[16:17], v52, v66
	v_cmp_lt_i32_e64 s[12:13], v51, v67
	s_or_b64 s[14:15], s[16:17], s[14:15]
	s_and_b64 s[12:13], s[12:13], s[14:15]
	s_xor_b64 s[14:15], s[12:13], -1
                                        ; implicit-def: $vgpr25_vgpr26
	s_and_saveexec_b64 s[16:17], s[14:15]
	s_xor_b64 s[14:15], exec, s[16:17]
; %bb.139:                              ;   in Loop: Header=BB129_2 Depth=1
	v_lshlrev_b32_e32 v25, 3, v52
	ds_read_b64 v[25:26], v25 offset:8
; %bb.140:                              ;   in Loop: Header=BB129_2 Depth=1
	s_or_saveexec_b64 s[14:15], s[14:15]
	v_mov_b32_e32 v28, v24
	v_mov_b32_e32 v27, v23
	s_xor_b64 exec, exec, s[14:15]
	s_cbranch_execz .LBB129_142
; %bb.141:                              ;   in Loop: Header=BB129_2 Depth=1
	s_waitcnt lgkmcnt(0)
	v_lshlrev_b32_e32 v25, 3, v51
	ds_read_b64 v[27:28], v25 offset:8
	v_mov_b32_e32 v26, v22
	v_mov_b32_e32 v25, v21
.LBB129_142:                            ;   in Loop: Header=BB129_2 Depth=1
	s_or_b64 exec, exec, s[14:15]
	v_add_u32_e32 v30, 1, v52
	v_add_u32_e32 v29, 1, v51
	v_cndmask_b32_e64 v100, v30, v52, s[12:13]
	s_waitcnt lgkmcnt(0)
	v_cmp_lt_i64_e64 s[16:17], v[27:28], v[25:26]
	v_cndmask_b32_e64 v99, v51, v29, s[12:13]
	v_cmp_ge_i32_e64 s[18:19], v100, v66
	v_cmp_lt_i32_e64 s[14:15], v99, v67
	s_or_b64 s[16:17], s[18:19], s[16:17]
	s_and_b64 s[14:15], s[14:15], s[16:17]
	s_xor_b64 s[16:17], s[14:15], -1
                                        ; implicit-def: $vgpr29_vgpr30
	s_and_saveexec_b64 s[18:19], s[16:17]
	s_xor_b64 s[16:17], exec, s[18:19]
; %bb.143:                              ;   in Loop: Header=BB129_2 Depth=1
	v_lshlrev_b32_e32 v29, 3, v100
	ds_read_b64 v[29:30], v29 offset:8
; %bb.144:                              ;   in Loop: Header=BB129_2 Depth=1
	s_or_saveexec_b64 s[16:17], s[16:17]
	v_mov_b32_e32 v32, v28
	v_mov_b32_e32 v31, v27
	s_xor_b64 exec, exec, s[16:17]
	s_cbranch_execz .LBB129_146
; %bb.145:                              ;   in Loop: Header=BB129_2 Depth=1
	s_waitcnt lgkmcnt(0)
	v_lshlrev_b32_e32 v29, 3, v99
	ds_read_b64 v[31:32], v29 offset:8
	v_mov_b32_e32 v30, v26
	v_mov_b32_e32 v29, v25
.LBB129_146:                            ;   in Loop: Header=BB129_2 Depth=1
	s_or_b64 exec, exec, s[16:17]
	v_add_u32_e32 v34, 1, v100
	v_add_u32_e32 v33, 1, v99
	v_cndmask_b32_e64 v102, v34, v100, s[14:15]
	s_waitcnt lgkmcnt(0)
	v_cmp_lt_i64_e64 s[18:19], v[31:32], v[29:30]
	v_cndmask_b32_e64 v101, v99, v33, s[14:15]
	v_cmp_ge_i32_e64 s[20:21], v102, v66
	v_cmp_lt_i32_e64 s[16:17], v101, v67
	s_or_b64 s[18:19], s[20:21], s[18:19]
	s_and_b64 s[16:17], s[16:17], s[18:19]
	s_xor_b64 s[18:19], s[16:17], -1
                                        ; implicit-def: $vgpr33_vgpr34
	s_and_saveexec_b64 s[20:21], s[18:19]
	s_xor_b64 s[18:19], exec, s[20:21]
; %bb.147:                              ;   in Loop: Header=BB129_2 Depth=1
	v_lshlrev_b32_e32 v33, 3, v102
	ds_read_b64 v[33:34], v33 offset:8
; %bb.148:                              ;   in Loop: Header=BB129_2 Depth=1
	s_or_saveexec_b64 s[18:19], s[18:19]
	v_mov_b32_e32 v36, v32
	v_mov_b32_e32 v35, v31
	s_xor_b64 exec, exec, s[18:19]
	s_cbranch_execz .LBB129_150
; %bb.149:                              ;   in Loop: Header=BB129_2 Depth=1
	s_waitcnt lgkmcnt(0)
	v_lshlrev_b32_e32 v33, 3, v101
	ds_read_b64 v[35:36], v33 offset:8
	v_mov_b32_e32 v34, v30
	v_mov_b32_e32 v33, v29
.LBB129_150:                            ;   in Loop: Header=BB129_2 Depth=1
	s_or_b64 exec, exec, s[18:19]
	v_add_u32_e32 v38, 1, v102
	v_add_u32_e32 v37, 1, v101
	v_cndmask_b32_e64 v104, v38, v102, s[16:17]
	s_waitcnt lgkmcnt(0)
	v_cmp_lt_i64_e64 s[20:21], v[35:36], v[33:34]
	v_cndmask_b32_e64 v103, v101, v37, s[16:17]
	v_cmp_ge_i32_e64 s[22:23], v104, v66
	v_cmp_lt_i32_e64 s[18:19], v103, v67
	s_or_b64 s[20:21], s[22:23], s[20:21]
	s_and_b64 s[18:19], s[18:19], s[20:21]
	s_xor_b64 s[20:21], s[18:19], -1
                                        ; implicit-def: $vgpr37_vgpr38
	s_and_saveexec_b64 s[22:23], s[20:21]
	s_xor_b64 s[20:21], exec, s[22:23]
; %bb.151:                              ;   in Loop: Header=BB129_2 Depth=1
	v_lshlrev_b32_e32 v37, 3, v104
	ds_read_b64 v[37:38], v37 offset:8
; %bb.152:                              ;   in Loop: Header=BB129_2 Depth=1
	s_or_saveexec_b64 s[20:21], s[20:21]
	v_mov_b32_e32 v40, v36
	v_mov_b32_e32 v39, v35
	s_xor_b64 exec, exec, s[20:21]
	s_cbranch_execz .LBB129_154
; %bb.153:                              ;   in Loop: Header=BB129_2 Depth=1
	s_waitcnt lgkmcnt(0)
	v_lshlrev_b32_e32 v37, 3, v103
	ds_read_b64 v[39:40], v37 offset:8
	v_mov_b32_e32 v38, v34
	v_mov_b32_e32 v37, v33
.LBB129_154:                            ;   in Loop: Header=BB129_2 Depth=1
	s_or_b64 exec, exec, s[20:21]
	v_add_u32_e32 v42, 1, v104
	v_add_u32_e32 v41, 1, v103
	v_cndmask_b32_e64 v106, v42, v104, s[18:19]
	s_waitcnt lgkmcnt(0)
	v_cmp_lt_i64_e64 s[22:23], v[39:40], v[37:38]
	v_cndmask_b32_e64 v105, v103, v41, s[18:19]
	v_cmp_ge_i32_e64 s[24:25], v106, v66
	v_cmp_lt_i32_e64 s[20:21], v105, v67
	s_or_b64 s[22:23], s[24:25], s[22:23]
	s_and_b64 s[20:21], s[20:21], s[22:23]
	s_xor_b64 s[22:23], s[20:21], -1
                                        ; implicit-def: $vgpr41_vgpr42
	s_and_saveexec_b64 s[24:25], s[22:23]
	s_xor_b64 s[22:23], exec, s[24:25]
; %bb.155:                              ;   in Loop: Header=BB129_2 Depth=1
	v_lshlrev_b32_e32 v41, 3, v106
	ds_read_b64 v[41:42], v41 offset:8
; %bb.156:                              ;   in Loop: Header=BB129_2 Depth=1
	s_or_saveexec_b64 s[22:23], s[22:23]
	v_mov_b32_e32 v46, v40
	v_mov_b32_e32 v45, v39
	s_xor_b64 exec, exec, s[22:23]
	s_cbranch_execz .LBB129_158
; %bb.157:                              ;   in Loop: Header=BB129_2 Depth=1
	s_waitcnt lgkmcnt(0)
	v_lshlrev_b32_e32 v41, 3, v105
	ds_read_b64 v[45:46], v41 offset:8
	v_mov_b32_e32 v42, v38
	v_mov_b32_e32 v41, v37
.LBB129_158:                            ;   in Loop: Header=BB129_2 Depth=1
	s_or_b64 exec, exec, s[22:23]
	v_add_u32_e32 v44, 1, v106
	v_add_u32_e32 v43, 1, v105
	v_cndmask_b32_e64 v108, v44, v106, s[20:21]
	s_waitcnt lgkmcnt(0)
	v_cmp_lt_i64_e64 s[24:25], v[45:46], v[41:42]
	v_cndmask_b32_e64 v107, v105, v43, s[20:21]
	v_cmp_ge_i32_e64 s[26:27], v108, v66
	v_cmp_lt_i32_e64 s[22:23], v107, v67
	s_or_b64 s[24:25], s[26:27], s[24:25]
	s_and_b64 s[22:23], s[22:23], s[24:25]
	s_xor_b64 s[24:25], s[22:23], -1
                                        ; implicit-def: $vgpr43_vgpr44
	s_and_saveexec_b64 s[26:27], s[24:25]
	s_xor_b64 s[24:25], exec, s[26:27]
; %bb.159:                              ;   in Loop: Header=BB129_2 Depth=1
	v_lshlrev_b32_e32 v43, 3, v108
	ds_read_b64 v[43:44], v43 offset:8
; %bb.160:                              ;   in Loop: Header=BB129_2 Depth=1
	s_or_saveexec_b64 s[24:25], s[24:25]
	v_mov_b32_e32 v48, v46
	v_mov_b32_e32 v47, v45
	s_xor_b64 exec, exec, s[24:25]
	s_cbranch_execz .LBB129_162
; %bb.161:                              ;   in Loop: Header=BB129_2 Depth=1
	s_waitcnt lgkmcnt(0)
	v_lshlrev_b32_e32 v43, 3, v107
	ds_read_b64 v[47:48], v43 offset:8
	v_mov_b32_e32 v44, v42
	v_mov_b32_e32 v43, v41
.LBB129_162:                            ;   in Loop: Header=BB129_2 Depth=1
	s_or_b64 exec, exec, s[24:25]
	v_cndmask_b32_e64 v42, v42, v46, s[22:23]
	v_add_u32_e32 v46, 1, v108
	v_cndmask_b32_e64 v41, v41, v45, s[22:23]
	v_add_u32_e32 v45, 1, v107
	v_cndmask_b32_e64 v46, v46, v108, s[22:23]
	v_cndmask_b32_e64 v22, v22, v24, s[12:13]
	;; [unrolled: 1-line block ×4, first 2 shown]
	s_waitcnt lgkmcnt(0)
	v_cmp_lt_i64_e64 s[12:13], v[47:48], v[43:44]
	v_cndmask_b32_e64 v45, v107, v45, s[22:23]
	v_cndmask_b32_e64 v26, v26, v28, s[14:15]
	;; [unrolled: 1-line block ×4, first 2 shown]
	v_cmp_ge_i32_e64 s[14:15], v46, v66
	v_cndmask_b32_e64 v18, v18, v20, s[10:11]
	v_cndmask_b32_e64 v17, v17, v19, s[10:11]
	;; [unrolled: 1-line block ×3, first 2 shown]
	v_cmp_lt_i32_e64 s[10:11], v45, v67
	s_or_b64 s[12:13], s[14:15], s[12:13]
	v_cndmask_b32_e64 v29, v29, v31, s[16:17]
	v_cndmask_b32_e64 v31, v102, v101, s[16:17]
	s_and_b64 s[10:11], s[10:11], s[12:13]
	v_cndmask_b32_e64 v107, v108, v107, s[22:23]
	v_cndmask_b32_e64 v37, v37, v39, s[20:21]
	;; [unrolled: 1-line block ×6, first 2 shown]
	; wave barrier
	ds_write2_b64 v92, v[9:10], v[13:14] offset1:1
	ds_write2_b64 v92, v[1:2], v[5:6] offset0:2 offset1:3
	ds_write2_b64 v92, v[11:12], v[15:16] offset0:4 offset1:5
	;; [unrolled: 1-line block ×3, first 2 shown]
	v_lshlrev_b32_e32 v1, 3, v24
	v_lshlrev_b32_e32 v2, 3, v23
	;; [unrolled: 1-line block ×4, first 2 shown]
	s_waitcnt lgkmcnt(0)
	; wave barrier
	ds_read_b64 v[9:10], v1
	ds_read_b64 v[13:14], v2
	;; [unrolled: 1-line block ×4, first 2 shown]
	v_lshlrev_b32_e32 v3, 3, v35
	v_lshlrev_b32_e32 v4, 3, v39
	;; [unrolled: 1-line block ×4, first 2 shown]
	ds_read_b64 v[11:12], v3
	ds_read_b64 v[15:16], v4
	ds_read_b64 v[3:4], v7
	ds_read_b64 v[7:8], v8
	v_mov_b32_e32 v99, v79
	v_cndmask_b32_e64 v38, v38, v40, s[20:21]
	v_cndmask_b32_e64 v34, v34, v36, s[18:19]
	;; [unrolled: 1-line block ×5, first 2 shown]
	s_waitcnt lgkmcnt(0)
	; wave barrier
	ds_write2_b64 v92, v[17:18], v[21:22] offset1:1
	ds_write2_b64 v92, v[25:26], v[29:30] offset0:2 offset1:3
	ds_write2_b64 v92, v[33:34], v[37:38] offset0:4 offset1:5
	;; [unrolled: 1-line block ×3, first 2 shown]
	s_waitcnt lgkmcnt(0)
	; wave barrier
	s_and_saveexec_b64 s[12:13], s[8:9]
	s_cbranch_execz .LBB129_166
; %bb.163:                              ;   in Loop: Header=BB129_2 Depth=1
	s_mov_b64 s[14:15], 0
	v_mov_b32_e32 v99, v79
	v_mov_b32_e32 v17, v80
.LBB129_164:                            ;   Parent Loop BB129_2 Depth=1
                                        ; =>  This Inner Loop Header: Depth=2
	v_sub_u32_e32 v18, v17, v99
	v_lshrrev_b32_e32 v18, 1, v18
	v_add_u32_e32 v22, v18, v99
	v_not_b32_e32 v19, v22
	v_lshlrev_b32_e32 v18, 3, v22
	v_lshl_add_u32 v20, v19, 3, v98
	ds_read_b64 v[18:19], v18
	ds_read_b64 v[20:21], v20
	v_add_u32_e32 v23, 1, v22
	s_waitcnt lgkmcnt(0)
	v_cmp_lt_i64_e64 s[10:11], v[20:21], v[18:19]
	v_cndmask_b32_e64 v17, v17, v22, s[10:11]
	v_cndmask_b32_e64 v99, v23, v99, s[10:11]
	v_cmp_ge_i32_e64 s[10:11], v99, v17
	s_or_b64 s[14:15], s[10:11], s[14:15]
	s_andn2_b64 exec, exec, s[14:15]
	s_cbranch_execnz .LBB129_164
; %bb.165:                              ;   in Loop: Header=BB129_2 Depth=1
	s_or_b64 exec, exec, s[14:15]
.LBB129_166:                            ;   in Loop: Header=BB129_2 Depth=1
	s_or_b64 exec, exec, s[12:13]
	v_sub_u32_e32 v100, v81, v99
	v_lshlrev_b32_e32 v23, 3, v99
	v_lshlrev_b32_e32 v25, 3, v100
	ds_read_b64 v[17:18], v23
	ds_read_b64 v[19:20], v25
	v_cmp_le_i32_e64 s[14:15], v78, v99
	v_cmp_gt_i32_e64 s[10:11], s33, v100
                                        ; implicit-def: $vgpr21_vgpr22
	s_waitcnt lgkmcnt(0)
	v_cmp_lt_i64_e64 s[12:13], v[19:20], v[17:18]
	s_or_b64 s[12:13], s[14:15], s[12:13]
	s_and_b64 s[10:11], s[10:11], s[12:13]
	s_xor_b64 s[12:13], s[10:11], -1
	s_and_saveexec_b64 s[14:15], s[12:13]
	s_xor_b64 s[12:13], exec, s[14:15]
; %bb.167:                              ;   in Loop: Header=BB129_2 Depth=1
	ds_read_b64 v[21:22], v23 offset:8
                                        ; implicit-def: $vgpr25
; %bb.168:                              ;   in Loop: Header=BB129_2 Depth=1
	s_or_saveexec_b64 s[12:13], s[12:13]
	v_mov_b32_e32 v24, v20
	v_mov_b32_e32 v23, v19
	s_xor_b64 exec, exec, s[12:13]
	s_cbranch_execz .LBB129_170
; %bb.169:                              ;   in Loop: Header=BB129_2 Depth=1
	ds_read_b64 v[23:24], v25 offset:8
	s_waitcnt lgkmcnt(1)
	v_mov_b32_e32 v22, v18
	v_mov_b32_e32 v21, v17
.LBB129_170:                            ;   in Loop: Header=BB129_2 Depth=1
	s_or_b64 exec, exec, s[12:13]
	v_add_u32_e32 v26, 1, v99
	v_add_u32_e32 v25, 1, v100
	v_cndmask_b32_e64 v102, v26, v99, s[10:11]
	s_waitcnt lgkmcnt(0)
	v_cmp_lt_i64_e64 s[14:15], v[23:24], v[21:22]
	v_cndmask_b32_e64 v101, v100, v25, s[10:11]
	v_cmp_ge_i32_e64 s[16:17], v102, v78
	v_cmp_gt_i32_e64 s[12:13], s33, v101
	s_or_b64 s[14:15], s[16:17], s[14:15]
	s_and_b64 s[12:13], s[12:13], s[14:15]
	s_xor_b64 s[14:15], s[12:13], -1
                                        ; implicit-def: $vgpr25_vgpr26
	s_and_saveexec_b64 s[16:17], s[14:15]
	s_xor_b64 s[14:15], exec, s[16:17]
; %bb.171:                              ;   in Loop: Header=BB129_2 Depth=1
	v_lshlrev_b32_e32 v25, 3, v102
	ds_read_b64 v[25:26], v25 offset:8
; %bb.172:                              ;   in Loop: Header=BB129_2 Depth=1
	s_or_saveexec_b64 s[14:15], s[14:15]
	v_mov_b32_e32 v28, v24
	v_mov_b32_e32 v27, v23
	s_xor_b64 exec, exec, s[14:15]
	s_cbranch_execz .LBB129_174
; %bb.173:                              ;   in Loop: Header=BB129_2 Depth=1
	s_waitcnt lgkmcnt(0)
	v_lshlrev_b32_e32 v25, 3, v101
	ds_read_b64 v[27:28], v25 offset:8
	v_mov_b32_e32 v26, v22
	v_mov_b32_e32 v25, v21
.LBB129_174:                            ;   in Loop: Header=BB129_2 Depth=1
	s_or_b64 exec, exec, s[14:15]
	v_add_u32_e32 v30, 1, v102
	v_add_u32_e32 v29, 1, v101
	v_cndmask_b32_e64 v104, v30, v102, s[12:13]
	s_waitcnt lgkmcnt(0)
	v_cmp_lt_i64_e64 s[16:17], v[27:28], v[25:26]
	v_cndmask_b32_e64 v103, v101, v29, s[12:13]
	v_cmp_ge_i32_e64 s[18:19], v104, v78
	v_cmp_gt_i32_e64 s[14:15], s33, v103
	s_or_b64 s[16:17], s[18:19], s[16:17]
	s_and_b64 s[14:15], s[14:15], s[16:17]
	s_xor_b64 s[16:17], s[14:15], -1
                                        ; implicit-def: $vgpr33_vgpr34
	s_and_saveexec_b64 s[18:19], s[16:17]
	s_xor_b64 s[16:17], exec, s[18:19]
; %bb.175:                              ;   in Loop: Header=BB129_2 Depth=1
	v_lshlrev_b32_e32 v29, 3, v104
	ds_read_b64 v[33:34], v29 offset:8
; %bb.176:                              ;   in Loop: Header=BB129_2 Depth=1
	s_or_saveexec_b64 s[16:17], s[16:17]
	v_mov_b32_e32 v36, v28
	v_mov_b32_e32 v35, v27
	s_xor_b64 exec, exec, s[16:17]
	s_cbranch_execz .LBB129_178
; %bb.177:                              ;   in Loop: Header=BB129_2 Depth=1
	v_lshlrev_b32_e32 v29, 3, v103
	ds_read_b64 v[35:36], v29 offset:8
	s_waitcnt lgkmcnt(1)
	v_mov_b32_e32 v34, v26
	v_mov_b32_e32 v33, v25
.LBB129_178:                            ;   in Loop: Header=BB129_2 Depth=1
	s_or_b64 exec, exec, s[16:17]
	v_add_u32_e32 v30, 1, v104
	v_add_u32_e32 v29, 1, v103
	v_cndmask_b32_e64 v106, v30, v104, s[14:15]
	s_waitcnt lgkmcnt(0)
	v_cmp_lt_i64_e64 s[18:19], v[35:36], v[33:34]
	v_cndmask_b32_e64 v105, v103, v29, s[14:15]
	v_cmp_ge_i32_e64 s[20:21], v106, v78
	v_cmp_gt_i32_e64 s[16:17], s33, v105
	s_or_b64 s[18:19], s[20:21], s[18:19]
	s_and_b64 s[16:17], s[16:17], s[18:19]
	s_xor_b64 s[18:19], s[16:17], -1
                                        ; implicit-def: $vgpr37_vgpr38
	s_and_saveexec_b64 s[20:21], s[18:19]
	s_xor_b64 s[18:19], exec, s[20:21]
; %bb.179:                              ;   in Loop: Header=BB129_2 Depth=1
	v_lshlrev_b32_e32 v29, 3, v106
	ds_read_b64 v[37:38], v29 offset:8
; %bb.180:                              ;   in Loop: Header=BB129_2 Depth=1
	s_or_saveexec_b64 s[18:19], s[18:19]
	v_mov_b32_e32 v42, v36
	v_mov_b32_e32 v41, v35
	s_xor_b64 exec, exec, s[18:19]
	s_cbranch_execz .LBB129_182
; %bb.181:                              ;   in Loop: Header=BB129_2 Depth=1
	v_lshlrev_b32_e32 v29, 3, v105
	ds_read_b64 v[41:42], v29 offset:8
	s_waitcnt lgkmcnt(1)
	v_mov_b32_e32 v38, v34
	v_mov_b32_e32 v37, v33
.LBB129_182:                            ;   in Loop: Header=BB129_2 Depth=1
	s_or_b64 exec, exec, s[18:19]
	v_add_u32_e32 v30, 1, v106
	v_add_u32_e32 v29, 1, v105
	v_cndmask_b32_e64 v108, v30, v106, s[16:17]
	s_waitcnt lgkmcnt(0)
	v_cmp_lt_i64_e64 s[20:21], v[41:42], v[37:38]
	v_cndmask_b32_e64 v107, v105, v29, s[16:17]
	v_cmp_ge_i32_e64 s[22:23], v108, v78
	v_cmp_gt_i32_e64 s[18:19], s33, v107
	s_or_b64 s[20:21], s[22:23], s[20:21]
	s_and_b64 s[18:19], s[18:19], s[20:21]
	s_xor_b64 s[20:21], s[18:19], -1
                                        ; implicit-def: $vgpr45_vgpr46
	s_and_saveexec_b64 s[22:23], s[20:21]
	s_xor_b64 s[20:21], exec, s[22:23]
; %bb.183:                              ;   in Loop: Header=BB129_2 Depth=1
	v_lshlrev_b32_e32 v29, 3, v108
	ds_read_b64 v[45:46], v29 offset:8
; %bb.184:                              ;   in Loop: Header=BB129_2 Depth=1
	s_or_saveexec_b64 s[20:21], s[20:21]
	v_mov_b32_e32 v50, v42
	v_mov_b32_e32 v49, v41
	s_xor_b64 exec, exec, s[20:21]
	s_cbranch_execz .LBB129_186
; %bb.185:                              ;   in Loop: Header=BB129_2 Depth=1
	v_lshlrev_b32_e32 v29, 3, v107
	ds_read_b64 v[49:50], v29 offset:8
	s_waitcnt lgkmcnt(1)
	v_mov_b32_e32 v46, v38
	v_mov_b32_e32 v45, v37
.LBB129_186:                            ;   in Loop: Header=BB129_2 Depth=1
	s_or_b64 exec, exec, s[20:21]
	v_add_u32_e32 v30, 1, v108
	v_add_u32_e32 v29, 1, v107
	v_cndmask_b32_e64 v110, v30, v108, s[18:19]
	s_waitcnt lgkmcnt(0)
	v_cmp_lt_i64_e64 s[22:23], v[49:50], v[45:46]
	v_cndmask_b32_e64 v109, v107, v29, s[18:19]
	v_cmp_ge_i32_e64 s[24:25], v110, v78
	v_cmp_gt_i32_e64 s[20:21], s33, v109
	s_or_b64 s[22:23], s[24:25], s[22:23]
	s_and_b64 s[22:23], s[20:21], s[22:23]
	s_xor_b64 s[20:21], s[22:23], -1
                                        ; implicit-def: $vgpr39_vgpr40
	s_and_saveexec_b64 s[24:25], s[20:21]
	s_xor_b64 s[20:21], exec, s[24:25]
; %bb.187:                              ;   in Loop: Header=BB129_2 Depth=1
	v_lshlrev_b32_e32 v29, 3, v110
	ds_read_b64 v[39:40], v29 offset:8
; %bb.188:                              ;   in Loop: Header=BB129_2 Depth=1
	s_or_saveexec_b64 s[20:21], s[20:21]
	v_mov_b32_e32 v43, v49
	v_mov_b32_e32 v44, v50
	s_xor_b64 exec, exec, s[20:21]
	s_cbranch_execz .LBB129_190
; %bb.189:                              ;   in Loop: Header=BB129_2 Depth=1
	v_lshlrev_b32_e32 v29, 3, v109
	ds_read_b64 v[43:44], v29 offset:8
	s_waitcnt lgkmcnt(1)
	v_mov_b32_e32 v39, v45
	v_mov_b32_e32 v40, v46
.LBB129_190:                            ;   in Loop: Header=BB129_2 Depth=1
	s_or_b64 exec, exec, s[20:21]
	v_add_u32_e32 v29, 1, v109
	v_add_u32_e32 v30, 1, v110
	v_cndmask_b32_e64 v112, v109, v29, s[22:23]
	v_cndmask_b32_e64 v29, v30, v110, s[22:23]
	s_waitcnt lgkmcnt(0)
	v_cmp_lt_i64_e64 s[24:25], v[43:44], v[39:40]
	v_cmp_ge_i32_e64 s[26:27], v29, v78
	v_cmp_gt_i32_e64 s[20:21], s33, v112
	s_or_b64 s[24:25], s[26:27], s[24:25]
	s_and_b64 s[20:21], s[20:21], s[24:25]
	s_xor_b64 s[24:25], s[20:21], -1
                                        ; implicit-def: $vgpr47_vgpr48
                                        ; implicit-def: $vgpr113
	s_and_saveexec_b64 s[26:27], s[24:25]
	s_xor_b64 s[24:25], exec, s[26:27]
; %bb.191:                              ;   in Loop: Header=BB129_2 Depth=1
	v_lshlrev_b32_e32 v30, 3, v29
	ds_read_b64 v[47:48], v30 offset:8
	v_add_u32_e32 v113, 1, v29
; %bb.192:                              ;   in Loop: Header=BB129_2 Depth=1
	s_or_saveexec_b64 s[24:25], s[24:25]
	v_mov_b32_e32 v52, v44
	v_mov_b32_e32 v111, v29
	;; [unrolled: 1-line block ×3, first 2 shown]
	s_xor_b64 exec, exec, s[24:25]
	s_cbranch_execz .LBB129_1
; %bb.193:                              ;   in Loop: Header=BB129_2 Depth=1
	v_lshlrev_b32_e32 v31, 3, v112
	ds_read_b64 v[51:52], v31 offset:8
	v_add_u32_e32 v30, 1, v112
	s_waitcnt lgkmcnt(1)
	v_mov_b32_e32 v48, v40
	v_mov_b32_e32 v111, v112
	;; [unrolled: 1-line block ×5, first 2 shown]
	s_branch .LBB129_1
.LBB129_194:
	s_waitcnt lgkmcnt(7)
	v_add_co_u32_e32 v15, vcc, v29, v15
	v_addc_co_u32_e32 v16, vcc, v30, v16, vcc
	s_waitcnt lgkmcnt(6)
	v_add_co_u32_e32 v13, vcc, v31, v13
	v_addc_co_u32_e32 v14, vcc, v32, v14, vcc
	;; [unrolled: 3-line block ×7, first 2 shown]
	s_add_u32 s0, s86, s88
	s_waitcnt lgkmcnt(0)
	v_add_co_u32_e32 v1, vcc, v27, v1
	s_addc_u32 s1, s87, s89
	v_lshlrev_b32_e32 v0, 3, v0
	v_addc_co_u32_e32 v2, vcc, v28, v2, vcc
	global_store_dwordx2 v0, v[15:16], s[0:1]
	global_store_dwordx2 v0, v[13:14], s[0:1] offset:512
	global_store_dwordx2 v0, v[7:8], s[0:1] offset:1024
	;; [unrolled: 1-line block ×7, first 2 shown]
	s_endpgm
	.section	.rodata,"a",@progbits
	.p2align	6, 0x0
	.amdhsa_kernel _Z17sort_pairs_kernelIxLj64ELj8EN10test_utils4lessELj10EEvPKT_PS2_T2_
		.amdhsa_group_segment_fixed_size 4104
		.amdhsa_private_segment_fixed_size 0
		.amdhsa_kernarg_size 20
		.amdhsa_user_sgpr_count 6
		.amdhsa_user_sgpr_private_segment_buffer 1
		.amdhsa_user_sgpr_dispatch_ptr 0
		.amdhsa_user_sgpr_queue_ptr 0
		.amdhsa_user_sgpr_kernarg_segment_ptr 1
		.amdhsa_user_sgpr_dispatch_id 0
		.amdhsa_user_sgpr_flat_scratch_init 0
		.amdhsa_user_sgpr_private_segment_size 0
		.amdhsa_uses_dynamic_stack 0
		.amdhsa_system_sgpr_private_segment_wavefront_offset 0
		.amdhsa_system_sgpr_workgroup_id_x 1
		.amdhsa_system_sgpr_workgroup_id_y 0
		.amdhsa_system_sgpr_workgroup_id_z 0
		.amdhsa_system_sgpr_workgroup_info 0
		.amdhsa_system_vgpr_workitem_id 0
		.amdhsa_next_free_vgpr 114
		.amdhsa_next_free_sgpr 98
		.amdhsa_reserve_vcc 1
		.amdhsa_reserve_flat_scratch 0
		.amdhsa_float_round_mode_32 0
		.amdhsa_float_round_mode_16_64 0
		.amdhsa_float_denorm_mode_32 3
		.amdhsa_float_denorm_mode_16_64 3
		.amdhsa_dx10_clamp 1
		.amdhsa_ieee_mode 1
		.amdhsa_fp16_overflow 0
		.amdhsa_exception_fp_ieee_invalid_op 0
		.amdhsa_exception_fp_denorm_src 0
		.amdhsa_exception_fp_ieee_div_zero 0
		.amdhsa_exception_fp_ieee_overflow 0
		.amdhsa_exception_fp_ieee_underflow 0
		.amdhsa_exception_fp_ieee_inexact 0
		.amdhsa_exception_int_div_zero 0
	.end_amdhsa_kernel
	.section	.text._Z17sort_pairs_kernelIxLj64ELj8EN10test_utils4lessELj10EEvPKT_PS2_T2_,"axG",@progbits,_Z17sort_pairs_kernelIxLj64ELj8EN10test_utils4lessELj10EEvPKT_PS2_T2_,comdat
.Lfunc_end129:
	.size	_Z17sort_pairs_kernelIxLj64ELj8EN10test_utils4lessELj10EEvPKT_PS2_T2_, .Lfunc_end129-_Z17sort_pairs_kernelIxLj64ELj8EN10test_utils4lessELj10EEvPKT_PS2_T2_
                                        ; -- End function
	.set _Z17sort_pairs_kernelIxLj64ELj8EN10test_utils4lessELj10EEvPKT_PS2_T2_.num_vgpr, 114
	.set _Z17sort_pairs_kernelIxLj64ELj8EN10test_utils4lessELj10EEvPKT_PS2_T2_.num_agpr, 0
	.set _Z17sort_pairs_kernelIxLj64ELj8EN10test_utils4lessELj10EEvPKT_PS2_T2_.numbered_sgpr, 92
	.set _Z17sort_pairs_kernelIxLj64ELj8EN10test_utils4lessELj10EEvPKT_PS2_T2_.num_named_barrier, 0
	.set _Z17sort_pairs_kernelIxLj64ELj8EN10test_utils4lessELj10EEvPKT_PS2_T2_.private_seg_size, 0
	.set _Z17sort_pairs_kernelIxLj64ELj8EN10test_utils4lessELj10EEvPKT_PS2_T2_.uses_vcc, 1
	.set _Z17sort_pairs_kernelIxLj64ELj8EN10test_utils4lessELj10EEvPKT_PS2_T2_.uses_flat_scratch, 0
	.set _Z17sort_pairs_kernelIxLj64ELj8EN10test_utils4lessELj10EEvPKT_PS2_T2_.has_dyn_sized_stack, 0
	.set _Z17sort_pairs_kernelIxLj64ELj8EN10test_utils4lessELj10EEvPKT_PS2_T2_.has_recursion, 0
	.set _Z17sort_pairs_kernelIxLj64ELj8EN10test_utils4lessELj10EEvPKT_PS2_T2_.has_indirect_call, 0
	.section	.AMDGPU.csdata,"",@progbits
; Kernel info:
; codeLenInByte = 11808
; TotalNumSgprs: 96
; NumVgprs: 114
; ScratchSize: 0
; MemoryBound: 0
; FloatMode: 240
; IeeeMode: 1
; LDSByteSize: 4104 bytes/workgroup (compile time only)
; SGPRBlocks: 12
; VGPRBlocks: 28
; NumSGPRsForWavesPerEU: 102
; NumVGPRsForWavesPerEU: 114
; Occupancy: 2
; WaveLimiterHint : 1
; COMPUTE_PGM_RSRC2:SCRATCH_EN: 0
; COMPUTE_PGM_RSRC2:USER_SGPR: 6
; COMPUTE_PGM_RSRC2:TRAP_HANDLER: 0
; COMPUTE_PGM_RSRC2:TGID_X_EN: 1
; COMPUTE_PGM_RSRC2:TGID_Y_EN: 0
; COMPUTE_PGM_RSRC2:TGID_Z_EN: 0
; COMPUTE_PGM_RSRC2:TIDIG_COMP_CNT: 0
	.section	.text._Z16sort_keys_kernelIxLj128ELj1EN10test_utils4lessELj10EEvPKT_PS2_T2_,"axG",@progbits,_Z16sort_keys_kernelIxLj128ELj1EN10test_utils4lessELj10EEvPKT_PS2_T2_,comdat
	.protected	_Z16sort_keys_kernelIxLj128ELj1EN10test_utils4lessELj10EEvPKT_PS2_T2_ ; -- Begin function _Z16sort_keys_kernelIxLj128ELj1EN10test_utils4lessELj10EEvPKT_PS2_T2_
	.globl	_Z16sort_keys_kernelIxLj128ELj1EN10test_utils4lessELj10EEvPKT_PS2_T2_
	.p2align	8
	.type	_Z16sort_keys_kernelIxLj128ELj1EN10test_utils4lessELj10EEvPKT_PS2_T2_,@function
_Z16sort_keys_kernelIxLj128ELj1EN10test_utils4lessELj10EEvPKT_PS2_T2_: ; @_Z16sort_keys_kernelIxLj128ELj1EN10test_utils4lessELj10EEvPKT_PS2_T2_
; %bb.0:
	s_load_dwordx4 s[16:19], s[4:5], 0x0
	s_lshl_b32 s22, s6, 7
	s_mov_b32 s23, 0
	s_lshl_b64 s[20:21], s[22:23], 3
	v_lshlrev_b32_e32 v5, 3, v0
	s_waitcnt lgkmcnt(0)
	s_add_u32 s0, s16, s20
	s_addc_u32 s1, s17, s21
	global_load_dwordx2 v[1:2], v5, s[0:1]
	v_and_b32_e32 v15, 0x7c, v0
	v_and_b32_e32 v21, 0x78, v0
	;; [unrolled: 1-line block ×5, first 2 shown]
	v_or_b32_e32 v18, 2, v15
	v_add_u32_e32 v3, 4, v15
	v_or_b32_e32 v24, 4, v21
	v_add_u32_e32 v4, 8, v21
	v_or_b32_e32 v30, 8, v27
	v_add_u32_e32 v6, 16, v27
	v_or_b32_e32 v36, 16, v33
	v_add_u32_e32 v7, 32, v33
	v_or_b32_e32 v42, 32, v39
	v_add_u32_e32 v8, 64, v39
	v_and_b32_e32 v19, 3, v0
	v_sub_u32_e32 v16, v3, v18
	v_and_b32_e32 v25, 7, v0
	v_sub_u32_e32 v22, v4, v24
	;; [unrolled: 2-line block ×6, first 2 shown]
	v_sub_u32_e32 v23, v25, v22
	v_sub_u32_e32 v29, v31, v28
	;; [unrolled: 1-line block ×4, first 2 shown]
	v_or_b32_e32 v9, 1, v11
	v_and_b32_e32 v47, 1, v0
	v_cmp_ge_i32_e64 s[0:1], v19, v16
	v_cmp_ge_i32_e64 s[2:3], v25, v22
	v_cmp_ge_i32_e64 s[4:5], v31, v28
	v_cmp_ge_i32_e64 s[6:7], v37, v34
	v_cmp_ge_i32_e64 s[8:9], v43, v40
	v_sub_u32_e32 v10, v9, v11
	v_add_u32_e32 v12, -1, v47
	v_cmp_lt_i32_e32 vcc, 0, v47
	v_sub_u32_e32 v14, v18, v15
	v_cndmask_b32_e64 v16, 0, v17, s[0:1]
	v_lshlrev_b32_e32 v17, 3, v19
	v_sub_u32_e32 v20, v24, v21
	v_cndmask_b32_e64 v22, 0, v23, s[2:3]
	v_lshlrev_b32_e32 v23, 3, v25
	;; [unrolled: 3-line block ×5, first 2 shown]
	v_cndmask_b32_e32 v12, 0, v12, vcc
	v_min_i32_e32 v13, v47, v10
	v_lshl_add_u32 v17, v18, 3, v17
	v_add_u32_e32 v18, v18, v19
	v_min_i32_e32 v19, v19, v14
	v_lshl_add_u32 v23, v24, 3, v23
	v_add_u32_e32 v24, v24, v25
	;; [unrolled: 3-line block ×5, first 2 shown]
	v_min_i32_e32 v43, v43, v38
	v_sub_u32_e64 v44, v0, 64 clamp
	v_min_i32_e32 v45, 64, v0
	v_add_u32_e32 v46, v9, v47
	v_lshlrev_b32_e32 v47, 3, v47
	v_lshlrev_b32_e32 v11, 3, v11
	v_cmp_lt_i32_e32 vcc, v12, v13
	v_lshlrev_b32_e32 v15, 3, v15
	v_cmp_lt_i32_e64 s[0:1], v16, v19
	v_lshlrev_b32_e32 v21, 3, v21
	v_cmp_lt_i32_e64 s[2:3], v22, v25
	;; [unrolled: 2-line block ×5, first 2 shown]
	v_cmp_lt_i32_e64 s[10:11], v44, v45
	v_lshl_add_u32 v47, v9, 3, v47
	s_movk_i32 s22, 0x80
	v_add_u32_e32 v48, 64, v0
	v_add_u32_e32 v49, 0x200, v5
	s_branch .LBB130_2
.LBB130_1:                              ;   in Loop: Header=BB130_2 Depth=1
	s_or_b64 exec, exec, s[14:15]
	v_sub_u32_e32 v2, v48, v1
	v_lshlrev_b32_e32 v50, 3, v1
	v_lshlrev_b32_e32 v52, 3, v2
	ds_read_b64 v[50:51], v50
	ds_read_b64 v[52:53], v52
	v_cmp_le_i32_e64 s[12:13], 64, v1
	v_cmp_gt_i32_e64 s[16:17], s22, v2
	s_add_i32 s23, s23, 1
	s_waitcnt lgkmcnt(0)
	v_cmp_lt_i64_e64 s[14:15], v[52:53], v[50:51]
	s_or_b64 s[12:13], s[12:13], s[14:15]
	s_and_b64 s[12:13], s[16:17], s[12:13]
	v_cndmask_b32_e64 v2, v51, v53, s[12:13]
	s_cmp_eq_u32 s23, 10
	v_cndmask_b32_e64 v1, v50, v52, s[12:13]
	s_cbranch_scc1 .LBB130_30
.LBB130_2:                              ; =>This Loop Header: Depth=1
                                        ;     Child Loop BB130_4 Depth 2
                                        ;     Child Loop BB130_8 Depth 2
	;; [unrolled: 1-line block ×7, first 2 shown]
	s_waitcnt vmcnt(0)
	s_barrier
	ds_write_b64 v5, v[1:2]
	v_mov_b32_e32 v1, v12
	s_waitcnt lgkmcnt(0)
	s_barrier
	s_and_saveexec_b64 s[14:15], vcc
	s_cbranch_execz .LBB130_6
; %bb.3:                                ;   in Loop: Header=BB130_2 Depth=1
	s_mov_b64 s[16:17], 0
	v_mov_b32_e32 v1, v12
	v_mov_b32_e32 v2, v13
.LBB130_4:                              ;   Parent Loop BB130_2 Depth=1
                                        ; =>  This Inner Loop Header: Depth=2
	v_sub_u32_e32 v50, v2, v1
	v_lshrrev_b32_e32 v50, 1, v50
	v_add_u32_e32 v54, v50, v1
	v_not_b32_e32 v51, v54
	v_lshl_add_u32 v50, v54, 3, v11
	v_lshl_add_u32 v52, v51, 3, v47
	ds_read_b64 v[50:51], v50
	ds_read_b64 v[52:53], v52
	v_add_u32_e32 v55, 1, v54
	s_waitcnt lgkmcnt(0)
	v_cmp_lt_i64_e64 s[12:13], v[52:53], v[50:51]
	v_cndmask_b32_e64 v2, v2, v54, s[12:13]
	v_cndmask_b32_e64 v1, v55, v1, s[12:13]
	v_cmp_ge_i32_e64 s[12:13], v1, v2
	s_or_b64 s[16:17], s[12:13], s[16:17]
	s_andn2_b64 exec, exec, s[16:17]
	s_cbranch_execnz .LBB130_4
; %bb.5:                                ;   in Loop: Header=BB130_2 Depth=1
	s_or_b64 exec, exec, s[16:17]
.LBB130_6:                              ;   in Loop: Header=BB130_2 Depth=1
	s_or_b64 exec, exec, s[14:15]
	v_sub_u32_e32 v2, v46, v1
	v_lshl_add_u32 v50, v1, 3, v11
	v_lshlrev_b32_e32 v52, 3, v2
	ds_read_b64 v[50:51], v50
	ds_read_b64 v[52:53], v52
	v_cmp_ge_i32_e64 s[12:13], v1, v10
	v_cmp_ge_i32_e64 s[16:17], v9, v2
	s_waitcnt lgkmcnt(0)
	s_barrier
	v_cmp_lt_i64_e64 s[14:15], v[52:53], v[50:51]
	s_or_b64 s[12:13], s[12:13], s[14:15]
	s_and_b64 s[12:13], s[16:17], s[12:13]
	v_cndmask_b32_e64 v2, v51, v53, s[12:13]
	v_cndmask_b32_e64 v1, v50, v52, s[12:13]
	ds_write_b64 v5, v[1:2]
	v_mov_b32_e32 v1, v16
	s_waitcnt lgkmcnt(0)
	s_barrier
	s_and_saveexec_b64 s[14:15], s[0:1]
	s_cbranch_execz .LBB130_10
; %bb.7:                                ;   in Loop: Header=BB130_2 Depth=1
	s_mov_b64 s[16:17], 0
	v_mov_b32_e32 v1, v16
	v_mov_b32_e32 v2, v19
.LBB130_8:                              ;   Parent Loop BB130_2 Depth=1
                                        ; =>  This Inner Loop Header: Depth=2
	v_sub_u32_e32 v50, v2, v1
	v_lshrrev_b32_e32 v50, 1, v50
	v_add_u32_e32 v54, v50, v1
	v_not_b32_e32 v51, v54
	v_lshl_add_u32 v50, v54, 3, v15
	v_lshl_add_u32 v52, v51, 3, v17
	ds_read_b64 v[50:51], v50
	ds_read_b64 v[52:53], v52
	v_add_u32_e32 v55, 1, v54
	s_waitcnt lgkmcnt(0)
	v_cmp_lt_i64_e64 s[12:13], v[52:53], v[50:51]
	v_cndmask_b32_e64 v2, v2, v54, s[12:13]
	v_cndmask_b32_e64 v1, v55, v1, s[12:13]
	v_cmp_ge_i32_e64 s[12:13], v1, v2
	s_or_b64 s[16:17], s[12:13], s[16:17]
	s_andn2_b64 exec, exec, s[16:17]
	s_cbranch_execnz .LBB130_8
; %bb.9:                                ;   in Loop: Header=BB130_2 Depth=1
	s_or_b64 exec, exec, s[16:17]
.LBB130_10:                             ;   in Loop: Header=BB130_2 Depth=1
	s_or_b64 exec, exec, s[14:15]
	v_sub_u32_e32 v2, v18, v1
	v_lshl_add_u32 v50, v1, 3, v15
	v_lshlrev_b32_e32 v52, 3, v2
	ds_read_b64 v[50:51], v50
	ds_read_b64 v[52:53], v52
	v_cmp_ge_i32_e64 s[12:13], v1, v14
	v_cmp_gt_i32_e64 s[16:17], v3, v2
	s_waitcnt lgkmcnt(0)
	s_barrier
	v_cmp_lt_i64_e64 s[14:15], v[52:53], v[50:51]
	s_or_b64 s[12:13], s[12:13], s[14:15]
	s_and_b64 s[12:13], s[16:17], s[12:13]
	v_cndmask_b32_e64 v2, v51, v53, s[12:13]
	v_cndmask_b32_e64 v1, v50, v52, s[12:13]
	ds_write_b64 v5, v[1:2]
	v_mov_b32_e32 v1, v22
	s_waitcnt lgkmcnt(0)
	s_barrier
	s_and_saveexec_b64 s[14:15], s[2:3]
	s_cbranch_execz .LBB130_14
; %bb.11:                               ;   in Loop: Header=BB130_2 Depth=1
	s_mov_b64 s[16:17], 0
	v_mov_b32_e32 v1, v22
	v_mov_b32_e32 v2, v25
.LBB130_12:                             ;   Parent Loop BB130_2 Depth=1
                                        ; =>  This Inner Loop Header: Depth=2
	v_sub_u32_e32 v50, v2, v1
	v_lshrrev_b32_e32 v50, 1, v50
	v_add_u32_e32 v54, v50, v1
	v_not_b32_e32 v51, v54
	v_lshl_add_u32 v50, v54, 3, v21
	v_lshl_add_u32 v52, v51, 3, v23
	ds_read_b64 v[50:51], v50
	ds_read_b64 v[52:53], v52
	v_add_u32_e32 v55, 1, v54
	s_waitcnt lgkmcnt(0)
	v_cmp_lt_i64_e64 s[12:13], v[52:53], v[50:51]
	v_cndmask_b32_e64 v2, v2, v54, s[12:13]
	v_cndmask_b32_e64 v1, v55, v1, s[12:13]
	v_cmp_ge_i32_e64 s[12:13], v1, v2
	s_or_b64 s[16:17], s[12:13], s[16:17]
	s_andn2_b64 exec, exec, s[16:17]
	s_cbranch_execnz .LBB130_12
; %bb.13:                               ;   in Loop: Header=BB130_2 Depth=1
	s_or_b64 exec, exec, s[16:17]
.LBB130_14:                             ;   in Loop: Header=BB130_2 Depth=1
	s_or_b64 exec, exec, s[14:15]
	v_sub_u32_e32 v2, v24, v1
	v_lshl_add_u32 v50, v1, 3, v21
	v_lshlrev_b32_e32 v52, 3, v2
	ds_read_b64 v[50:51], v50
	ds_read_b64 v[52:53], v52
	v_cmp_ge_i32_e64 s[12:13], v1, v20
	v_cmp_gt_i32_e64 s[16:17], v4, v2
	s_waitcnt lgkmcnt(0)
	s_barrier
	v_cmp_lt_i64_e64 s[14:15], v[52:53], v[50:51]
	s_or_b64 s[12:13], s[12:13], s[14:15]
	s_and_b64 s[12:13], s[16:17], s[12:13]
	v_cndmask_b32_e64 v2, v51, v53, s[12:13]
	v_cndmask_b32_e64 v1, v50, v52, s[12:13]
	ds_write_b64 v5, v[1:2]
	v_mov_b32_e32 v1, v28
	s_waitcnt lgkmcnt(0)
	s_barrier
	s_and_saveexec_b64 s[14:15], s[4:5]
	s_cbranch_execz .LBB130_18
; %bb.15:                               ;   in Loop: Header=BB130_2 Depth=1
	s_mov_b64 s[16:17], 0
	v_mov_b32_e32 v1, v28
	v_mov_b32_e32 v2, v31
.LBB130_16:                             ;   Parent Loop BB130_2 Depth=1
                                        ; =>  This Inner Loop Header: Depth=2
	v_sub_u32_e32 v50, v2, v1
	v_lshrrev_b32_e32 v50, 1, v50
	v_add_u32_e32 v54, v50, v1
	v_not_b32_e32 v51, v54
	v_lshl_add_u32 v50, v54, 3, v27
	v_lshl_add_u32 v52, v51, 3, v29
	ds_read_b64 v[50:51], v50
	ds_read_b64 v[52:53], v52
	v_add_u32_e32 v55, 1, v54
	s_waitcnt lgkmcnt(0)
	v_cmp_lt_i64_e64 s[12:13], v[52:53], v[50:51]
	v_cndmask_b32_e64 v2, v2, v54, s[12:13]
	v_cndmask_b32_e64 v1, v55, v1, s[12:13]
	v_cmp_ge_i32_e64 s[12:13], v1, v2
	s_or_b64 s[16:17], s[12:13], s[16:17]
	s_andn2_b64 exec, exec, s[16:17]
	s_cbranch_execnz .LBB130_16
; %bb.17:                               ;   in Loop: Header=BB130_2 Depth=1
	s_or_b64 exec, exec, s[16:17]
.LBB130_18:                             ;   in Loop: Header=BB130_2 Depth=1
	s_or_b64 exec, exec, s[14:15]
	v_sub_u32_e32 v2, v30, v1
	v_lshl_add_u32 v50, v1, 3, v27
	v_lshlrev_b32_e32 v52, 3, v2
	ds_read_b64 v[50:51], v50
	ds_read_b64 v[52:53], v52
	v_cmp_ge_i32_e64 s[12:13], v1, v26
	v_cmp_gt_i32_e64 s[16:17], v6, v2
	s_waitcnt lgkmcnt(0)
	s_barrier
	v_cmp_lt_i64_e64 s[14:15], v[52:53], v[50:51]
	s_or_b64 s[12:13], s[12:13], s[14:15]
	s_and_b64 s[12:13], s[16:17], s[12:13]
	v_cndmask_b32_e64 v2, v51, v53, s[12:13]
	v_cndmask_b32_e64 v1, v50, v52, s[12:13]
	ds_write_b64 v5, v[1:2]
	v_mov_b32_e32 v1, v34
	s_waitcnt lgkmcnt(0)
	s_barrier
	s_and_saveexec_b64 s[14:15], s[6:7]
	s_cbranch_execz .LBB130_22
; %bb.19:                               ;   in Loop: Header=BB130_2 Depth=1
	s_mov_b64 s[16:17], 0
	v_mov_b32_e32 v1, v34
	v_mov_b32_e32 v2, v37
.LBB130_20:                             ;   Parent Loop BB130_2 Depth=1
                                        ; =>  This Inner Loop Header: Depth=2
	v_sub_u32_e32 v50, v2, v1
	v_lshrrev_b32_e32 v50, 1, v50
	v_add_u32_e32 v54, v50, v1
	v_not_b32_e32 v51, v54
	v_lshl_add_u32 v50, v54, 3, v33
	v_lshl_add_u32 v52, v51, 3, v35
	ds_read_b64 v[50:51], v50
	ds_read_b64 v[52:53], v52
	v_add_u32_e32 v55, 1, v54
	s_waitcnt lgkmcnt(0)
	v_cmp_lt_i64_e64 s[12:13], v[52:53], v[50:51]
	v_cndmask_b32_e64 v2, v2, v54, s[12:13]
	v_cndmask_b32_e64 v1, v55, v1, s[12:13]
	v_cmp_ge_i32_e64 s[12:13], v1, v2
	s_or_b64 s[16:17], s[12:13], s[16:17]
	s_andn2_b64 exec, exec, s[16:17]
	s_cbranch_execnz .LBB130_20
; %bb.21:                               ;   in Loop: Header=BB130_2 Depth=1
	s_or_b64 exec, exec, s[16:17]
.LBB130_22:                             ;   in Loop: Header=BB130_2 Depth=1
	s_or_b64 exec, exec, s[14:15]
	v_sub_u32_e32 v2, v36, v1
	v_lshl_add_u32 v50, v1, 3, v33
	v_lshlrev_b32_e32 v52, 3, v2
	ds_read_b64 v[50:51], v50
	ds_read_b64 v[52:53], v52
	v_cmp_ge_i32_e64 s[12:13], v1, v32
	v_cmp_gt_i32_e64 s[16:17], v7, v2
	s_waitcnt lgkmcnt(0)
	s_barrier
	v_cmp_lt_i64_e64 s[14:15], v[52:53], v[50:51]
	s_or_b64 s[12:13], s[12:13], s[14:15]
	s_and_b64 s[12:13], s[16:17], s[12:13]
	v_cndmask_b32_e64 v2, v51, v53, s[12:13]
	v_cndmask_b32_e64 v1, v50, v52, s[12:13]
	ds_write_b64 v5, v[1:2]
	v_mov_b32_e32 v1, v40
	s_waitcnt lgkmcnt(0)
	s_barrier
	s_and_saveexec_b64 s[14:15], s[8:9]
	s_cbranch_execz .LBB130_26
; %bb.23:                               ;   in Loop: Header=BB130_2 Depth=1
	s_mov_b64 s[16:17], 0
	v_mov_b32_e32 v1, v40
	v_mov_b32_e32 v2, v43
.LBB130_24:                             ;   Parent Loop BB130_2 Depth=1
                                        ; =>  This Inner Loop Header: Depth=2
	v_sub_u32_e32 v50, v2, v1
	v_lshrrev_b32_e32 v50, 1, v50
	v_add_u32_e32 v54, v50, v1
	v_not_b32_e32 v51, v54
	v_lshl_add_u32 v50, v54, 3, v39
	v_lshl_add_u32 v52, v51, 3, v41
	ds_read_b64 v[50:51], v50
	ds_read_b64 v[52:53], v52
	v_add_u32_e32 v55, 1, v54
	s_waitcnt lgkmcnt(0)
	v_cmp_lt_i64_e64 s[12:13], v[52:53], v[50:51]
	v_cndmask_b32_e64 v2, v2, v54, s[12:13]
	v_cndmask_b32_e64 v1, v55, v1, s[12:13]
	v_cmp_ge_i32_e64 s[12:13], v1, v2
	s_or_b64 s[16:17], s[12:13], s[16:17]
	s_andn2_b64 exec, exec, s[16:17]
	s_cbranch_execnz .LBB130_24
; %bb.25:                               ;   in Loop: Header=BB130_2 Depth=1
	s_or_b64 exec, exec, s[16:17]
.LBB130_26:                             ;   in Loop: Header=BB130_2 Depth=1
	s_or_b64 exec, exec, s[14:15]
	v_sub_u32_e32 v2, v42, v1
	v_lshl_add_u32 v50, v1, 3, v39
	v_lshlrev_b32_e32 v52, 3, v2
	ds_read_b64 v[50:51], v50
	ds_read_b64 v[52:53], v52
	v_cmp_ge_i32_e64 s[12:13], v1, v38
	v_cmp_gt_i32_e64 s[16:17], v8, v2
	s_waitcnt lgkmcnt(0)
	s_barrier
	v_cmp_lt_i64_e64 s[14:15], v[52:53], v[50:51]
	s_or_b64 s[12:13], s[12:13], s[14:15]
	s_and_b64 s[12:13], s[16:17], s[12:13]
	v_cndmask_b32_e64 v2, v51, v53, s[12:13]
	v_cndmask_b32_e64 v1, v50, v52, s[12:13]
	ds_write_b64 v5, v[1:2]
	v_mov_b32_e32 v1, v44
	s_waitcnt lgkmcnt(0)
	s_barrier
	s_and_saveexec_b64 s[14:15], s[10:11]
	s_cbranch_execz .LBB130_1
; %bb.27:                               ;   in Loop: Header=BB130_2 Depth=1
	s_mov_b64 s[16:17], 0
	v_mov_b32_e32 v1, v44
	v_mov_b32_e32 v2, v45
.LBB130_28:                             ;   Parent Loop BB130_2 Depth=1
                                        ; =>  This Inner Loop Header: Depth=2
	v_sub_u32_e32 v50, v2, v1
	v_lshrrev_b32_e32 v50, 1, v50
	v_add_u32_e32 v54, v50, v1
	v_not_b32_e32 v51, v54
	v_lshlrev_b32_e32 v50, 3, v54
	v_lshl_add_u32 v52, v51, 3, v49
	ds_read_b64 v[50:51], v50
	ds_read_b64 v[52:53], v52
	v_add_u32_e32 v55, 1, v54
	s_waitcnt lgkmcnt(0)
	v_cmp_lt_i64_e64 s[12:13], v[52:53], v[50:51]
	v_cndmask_b32_e64 v2, v2, v54, s[12:13]
	v_cndmask_b32_e64 v1, v55, v1, s[12:13]
	v_cmp_ge_i32_e64 s[12:13], v1, v2
	s_or_b64 s[16:17], s[12:13], s[16:17]
	s_andn2_b64 exec, exec, s[16:17]
	s_cbranch_execnz .LBB130_28
; %bb.29:                               ;   in Loop: Header=BB130_2 Depth=1
	s_or_b64 exec, exec, s[16:17]
	s_branch .LBB130_1
.LBB130_30:
	s_add_u32 s0, s18, s20
	s_addc_u32 s1, s19, s21
	v_lshlrev_b32_e32 v0, 3, v0
	global_store_dwordx2 v0, v[1:2], s[0:1]
	s_endpgm
	.section	.rodata,"a",@progbits
	.p2align	6, 0x0
	.amdhsa_kernel _Z16sort_keys_kernelIxLj128ELj1EN10test_utils4lessELj10EEvPKT_PS2_T2_
		.amdhsa_group_segment_fixed_size 1032
		.amdhsa_private_segment_fixed_size 0
		.amdhsa_kernarg_size 20
		.amdhsa_user_sgpr_count 6
		.amdhsa_user_sgpr_private_segment_buffer 1
		.amdhsa_user_sgpr_dispatch_ptr 0
		.amdhsa_user_sgpr_queue_ptr 0
		.amdhsa_user_sgpr_kernarg_segment_ptr 1
		.amdhsa_user_sgpr_dispatch_id 0
		.amdhsa_user_sgpr_flat_scratch_init 0
		.amdhsa_user_sgpr_private_segment_size 0
		.amdhsa_uses_dynamic_stack 0
		.amdhsa_system_sgpr_private_segment_wavefront_offset 0
		.amdhsa_system_sgpr_workgroup_id_x 1
		.amdhsa_system_sgpr_workgroup_id_y 0
		.amdhsa_system_sgpr_workgroup_id_z 0
		.amdhsa_system_sgpr_workgroup_info 0
		.amdhsa_system_vgpr_workitem_id 0
		.amdhsa_next_free_vgpr 56
		.amdhsa_next_free_sgpr 24
		.amdhsa_reserve_vcc 1
		.amdhsa_reserve_flat_scratch 0
		.amdhsa_float_round_mode_32 0
		.amdhsa_float_round_mode_16_64 0
		.amdhsa_float_denorm_mode_32 3
		.amdhsa_float_denorm_mode_16_64 3
		.amdhsa_dx10_clamp 1
		.amdhsa_ieee_mode 1
		.amdhsa_fp16_overflow 0
		.amdhsa_exception_fp_ieee_invalid_op 0
		.amdhsa_exception_fp_denorm_src 0
		.amdhsa_exception_fp_ieee_div_zero 0
		.amdhsa_exception_fp_ieee_overflow 0
		.amdhsa_exception_fp_ieee_underflow 0
		.amdhsa_exception_fp_ieee_inexact 0
		.amdhsa_exception_int_div_zero 0
	.end_amdhsa_kernel
	.section	.text._Z16sort_keys_kernelIxLj128ELj1EN10test_utils4lessELj10EEvPKT_PS2_T2_,"axG",@progbits,_Z16sort_keys_kernelIxLj128ELj1EN10test_utils4lessELj10EEvPKT_PS2_T2_,comdat
.Lfunc_end130:
	.size	_Z16sort_keys_kernelIxLj128ELj1EN10test_utils4lessELj10EEvPKT_PS2_T2_, .Lfunc_end130-_Z16sort_keys_kernelIxLj128ELj1EN10test_utils4lessELj10EEvPKT_PS2_T2_
                                        ; -- End function
	.set _Z16sort_keys_kernelIxLj128ELj1EN10test_utils4lessELj10EEvPKT_PS2_T2_.num_vgpr, 56
	.set _Z16sort_keys_kernelIxLj128ELj1EN10test_utils4lessELj10EEvPKT_PS2_T2_.num_agpr, 0
	.set _Z16sort_keys_kernelIxLj128ELj1EN10test_utils4lessELj10EEvPKT_PS2_T2_.numbered_sgpr, 24
	.set _Z16sort_keys_kernelIxLj128ELj1EN10test_utils4lessELj10EEvPKT_PS2_T2_.num_named_barrier, 0
	.set _Z16sort_keys_kernelIxLj128ELj1EN10test_utils4lessELj10EEvPKT_PS2_T2_.private_seg_size, 0
	.set _Z16sort_keys_kernelIxLj128ELj1EN10test_utils4lessELj10EEvPKT_PS2_T2_.uses_vcc, 1
	.set _Z16sort_keys_kernelIxLj128ELj1EN10test_utils4lessELj10EEvPKT_PS2_T2_.uses_flat_scratch, 0
	.set _Z16sort_keys_kernelIxLj128ELj1EN10test_utils4lessELj10EEvPKT_PS2_T2_.has_dyn_sized_stack, 0
	.set _Z16sort_keys_kernelIxLj128ELj1EN10test_utils4lessELj10EEvPKT_PS2_T2_.has_recursion, 0
	.set _Z16sort_keys_kernelIxLj128ELj1EN10test_utils4lessELj10EEvPKT_PS2_T2_.has_indirect_call, 0
	.section	.AMDGPU.csdata,"",@progbits
; Kernel info:
; codeLenInByte = 2228
; TotalNumSgprs: 28
; NumVgprs: 56
; ScratchSize: 0
; MemoryBound: 0
; FloatMode: 240
; IeeeMode: 1
; LDSByteSize: 1032 bytes/workgroup (compile time only)
; SGPRBlocks: 3
; VGPRBlocks: 13
; NumSGPRsForWavesPerEU: 28
; NumVGPRsForWavesPerEU: 56
; Occupancy: 4
; WaveLimiterHint : 0
; COMPUTE_PGM_RSRC2:SCRATCH_EN: 0
; COMPUTE_PGM_RSRC2:USER_SGPR: 6
; COMPUTE_PGM_RSRC2:TRAP_HANDLER: 0
; COMPUTE_PGM_RSRC2:TGID_X_EN: 1
; COMPUTE_PGM_RSRC2:TGID_Y_EN: 0
; COMPUTE_PGM_RSRC2:TGID_Z_EN: 0
; COMPUTE_PGM_RSRC2:TIDIG_COMP_CNT: 0
	.section	.text._Z17sort_pairs_kernelIxLj128ELj1EN10test_utils4lessELj10EEvPKT_PS2_T2_,"axG",@progbits,_Z17sort_pairs_kernelIxLj128ELj1EN10test_utils4lessELj10EEvPKT_PS2_T2_,comdat
	.protected	_Z17sort_pairs_kernelIxLj128ELj1EN10test_utils4lessELj10EEvPKT_PS2_T2_ ; -- Begin function _Z17sort_pairs_kernelIxLj128ELj1EN10test_utils4lessELj10EEvPKT_PS2_T2_
	.globl	_Z17sort_pairs_kernelIxLj128ELj1EN10test_utils4lessELj10EEvPKT_PS2_T2_
	.p2align	8
	.type	_Z17sort_pairs_kernelIxLj128ELj1EN10test_utils4lessELj10EEvPKT_PS2_T2_,@function
_Z17sort_pairs_kernelIxLj128ELj1EN10test_utils4lessELj10EEvPKT_PS2_T2_: ; @_Z17sort_pairs_kernelIxLj128ELj1EN10test_utils4lessELj10EEvPKT_PS2_T2_
; %bb.0:
	s_load_dwordx4 s[16:19], s[4:5], 0x0
	s_lshl_b32 s22, s6, 7
	s_mov_b32 s23, 0
	s_lshl_b64 s[20:21], s[22:23], 3
	v_lshlrev_b32_e32 v5, 3, v0
	s_waitcnt lgkmcnt(0)
	s_add_u32 s0, s16, s20
	s_addc_u32 s1, s17, s21
	global_load_dwordx2 v[1:2], v5, s[0:1]
	v_and_b32_e32 v6, 0x7c, v0
	v_and_b32_e32 v7, 0x78, v0
	v_or_b32_e32 v14, 2, v6
	v_add_u32_e32 v15, 4, v6
	v_and_b32_e32 v3, 3, v0
	v_and_b32_e32 v8, 0x70, v0
	v_or_b32_e32 v16, 4, v7
	v_add_u32_e32 v17, 8, v7
	v_sub_u32_e32 v37, v15, v14
	v_and_b32_e32 v4, 7, v0
	v_and_b32_e32 v9, 0x60, v0
	v_or_b32_e32 v18, 8, v8
	v_add_u32_e32 v19, 16, v8
	v_sub_u32_e32 v38, v17, v16
	v_sub_u32_e32 v45, v3, v37
	v_cmp_ge_i32_e64 s[2:3], v3, v37
	v_and_b32_e32 v44, 15, v0
	v_and_b32_e32 v10, 64, v0
	v_or_b32_e32 v20, 16, v9
	v_add_u32_e32 v21, 32, v9
	v_sub_u32_e32 v39, v19, v18
	v_sub_u32_e32 v47, v4, v38
	v_cndmask_b32_e64 v37, 0, v45, s[2:3]
	v_cmp_ge_i32_e64 s[2:3], v4, v38
	v_and_b32_e32 v46, 31, v0
	v_and_b32_e32 v11, 0x7e, v0
	v_or_b32_e32 v22, 32, v10
	v_add_u32_e32 v23, 64, v10
	v_sub_u32_e32 v40, v21, v20
	v_sub_u32_e32 v49, v44, v39
	v_cndmask_b32_e64 v38, 0, v47, s[2:3]
	v_cmp_ge_i32_e64 s[2:3], v44, v39
	v_and_b32_e32 v48, 63, v0
	v_and_b32_e32 v31, 1, v0
	v_or_b32_e32 v24, 1, v11
	v_sub_u32_e32 v41, v23, v22
	v_sub_u32_e32 v50, v46, v40
	v_cndmask_b32_e64 v39, 0, v49, s[2:3]
	v_cmp_ge_i32_e64 s[2:3], v46, v40
	v_add_u32_e32 v25, -1, v31
	v_cmp_lt_i32_e64 s[0:1], 0, v31
	v_sub_u32_e32 v32, v24, v11
	v_sub_u32_e32 v33, v14, v6
	v_sub_u32_e32 v34, v16, v7
	v_sub_u32_e32 v35, v18, v8
	v_sub_u32_e32 v36, v20, v9
	v_sub_u32_e32 v43, v22, v10
	v_sub_u32_e32 v51, v48, v41
	v_cndmask_b32_e64 v40, 0, v50, s[2:3]
	v_cmp_ge_i32_e64 s[2:3], v48, v41
	v_sub_u32_e64 v12, v0, 64 clamp
	v_min_i32_e32 v13, 64, v0
	v_lshlrev_b32_e32 v27, 3, v31
	v_lshlrev_b32_e32 v29, 3, v3
	;; [unrolled: 1-line block ×3, first 2 shown]
	v_cndmask_b32_e64 v25, 0, v25, s[0:1]
	v_add_u32_e32 v26, v24, v31
	v_add_u32_e32 v28, v14, v3
	v_min_i32_e32 v31, v31, v32
	v_min_i32_e32 v32, v3, v33
	;; [unrolled: 1-line block ×6, first 2 shown]
	v_cndmask_b32_e64 v41, 0, v51, s[2:3]
	v_add_u32_e32 v43, v18, v44
	v_lshlrev_b32_e32 v44, 3, v44
	v_add_u32_e32 v45, v20, v46
	v_lshlrev_b32_e32 v46, 3, v46
	;; [unrolled: 2-line block ×3, first 2 shown]
	v_cmp_lt_i32_e32 vcc, v12, v13
	v_lshl_add_u32 v27, v24, 3, v27
	v_lshl_add_u32 v29, v14, 3, v29
	v_add_u32_e32 v30, v16, v4
	v_cmp_lt_i32_e64 s[0:1], v25, v31
	v_cmp_lt_i32_e64 s[2:3], v37, v32
	;; [unrolled: 1-line block ×4, first 2 shown]
	s_waitcnt vmcnt(0)
	v_add_co_u32_e64 v3, s[12:13], 1, v1
	v_cmp_lt_i32_e64 s[8:9], v40, v35
	v_cmp_lt_i32_e64 s[10:11], v41, v36
	v_addc_co_u32_e64 v4, s[12:13], 0, v2, s[12:13]
	v_lshl_add_u32 v42, v16, 3, v42
	v_lshl_add_u32 v44, v18, 3, v44
	;; [unrolled: 1-line block ×4, first 2 shown]
	s_movk_i32 s22, 0x80
	v_lshlrev_b32_e32 v49, 3, v11
	v_lshlrev_b32_e32 v50, 3, v6
	;; [unrolled: 1-line block ×6, first 2 shown]
	v_add_u32_e32 v55, 64, v0
	v_add_u32_e32 v56, 0x200, v5
	s_branch .LBB131_2
.LBB131_1:                              ;   in Loop: Header=BB131_2 Depth=1
	s_or_b64 exec, exec, s[14:15]
	v_sub_u32_e32 v61, v55, v1
	v_lshlrev_b32_e32 v2, 3, v1
	v_lshlrev_b32_e32 v59, 3, v61
	ds_read_b64 v[57:58], v2
	ds_read_b64 v[59:60], v59
	v_cmp_le_i32_e64 s[12:13], 64, v1
	v_cmp_gt_i32_e64 s[16:17], s22, v61
	s_waitcnt lgkmcnt(0)
	s_barrier
	v_cmp_lt_i64_e64 s[14:15], v[59:60], v[57:58]
	s_or_b64 s[12:13], s[12:13], s[14:15]
	s_and_b64 s[12:13], s[16:17], s[12:13]
	v_cndmask_b32_e64 v1, v1, v61, s[12:13]
	v_lshlrev_b32_e32 v1, 3, v1
	ds_write_b64 v5, v[3:4]
	s_waitcnt lgkmcnt(0)
	s_barrier
	ds_read_b64 v[3:4], v1
	s_add_i32 s23, s23, 1
	v_cndmask_b32_e64 v2, v58, v60, s[12:13]
	s_cmp_eq_u32 s23, 10
	v_cndmask_b32_e64 v1, v57, v59, s[12:13]
	s_cbranch_scc1 .LBB131_30
.LBB131_2:                              ; =>This Loop Header: Depth=1
                                        ;     Child Loop BB131_4 Depth 2
                                        ;     Child Loop BB131_8 Depth 2
	;; [unrolled: 1-line block ×7, first 2 shown]
	s_waitcnt lgkmcnt(0)
	s_barrier
	ds_write_b64 v5, v[1:2]
	v_mov_b32_e32 v1, v25
	s_waitcnt lgkmcnt(0)
	s_barrier
	s_and_saveexec_b64 s[14:15], s[0:1]
	s_cbranch_execz .LBB131_6
; %bb.3:                                ;   in Loop: Header=BB131_2 Depth=1
	s_mov_b64 s[16:17], 0
	v_mov_b32_e32 v1, v25
	v_mov_b32_e32 v2, v31
.LBB131_4:                              ;   Parent Loop BB131_2 Depth=1
                                        ; =>  This Inner Loop Header: Depth=2
	v_sub_u32_e32 v57, v2, v1
	v_lshrrev_b32_e32 v57, 1, v57
	v_add_u32_e32 v61, v57, v1
	v_not_b32_e32 v58, v61
	v_lshl_add_u32 v57, v61, 3, v49
	v_lshl_add_u32 v59, v58, 3, v27
	ds_read_b64 v[57:58], v57
	ds_read_b64 v[59:60], v59
	v_add_u32_e32 v62, 1, v61
	s_waitcnt lgkmcnt(0)
	v_cmp_lt_i64_e64 s[12:13], v[59:60], v[57:58]
	v_cndmask_b32_e64 v2, v2, v61, s[12:13]
	v_cndmask_b32_e64 v1, v62, v1, s[12:13]
	v_cmp_ge_i32_e64 s[12:13], v1, v2
	s_or_b64 s[16:17], s[12:13], s[16:17]
	s_andn2_b64 exec, exec, s[16:17]
	s_cbranch_execnz .LBB131_4
; %bb.5:                                ;   in Loop: Header=BB131_2 Depth=1
	s_or_b64 exec, exec, s[16:17]
.LBB131_6:                              ;   in Loop: Header=BB131_2 Depth=1
	s_or_b64 exec, exec, s[14:15]
	v_sub_u32_e32 v2, v26, v1
	v_lshl_add_u32 v57, v1, 3, v49
	v_lshlrev_b32_e32 v59, 3, v2
	ds_read_b64 v[57:58], v57
	ds_read_b64 v[59:60], v59
	v_add_u32_e32 v1, v1, v11
	v_cmp_le_i32_e64 s[16:17], v24, v1
	v_cmp_ge_i32_e64 s[12:13], v24, v2
	s_waitcnt lgkmcnt(0)
	v_cmp_lt_i64_e64 s[14:15], v[59:60], v[57:58]
	s_barrier
	s_or_b64 s[14:15], s[16:17], s[14:15]
	s_and_b64 s[12:13], s[12:13], s[14:15]
	v_cndmask_b32_e64 v1, v1, v2, s[12:13]
	v_lshlrev_b32_e32 v1, 3, v1
	ds_write_b64 v5, v[3:4]
	s_waitcnt lgkmcnt(0)
	s_barrier
	ds_read_b64 v[1:2], v1
	v_cndmask_b32_e64 v58, v58, v60, s[12:13]
	v_cndmask_b32_e64 v57, v57, v59, s[12:13]
	v_mov_b32_e32 v3, v37
	s_waitcnt lgkmcnt(0)
	s_barrier
	ds_write_b64 v5, v[57:58]
	s_waitcnt lgkmcnt(0)
	s_barrier
	s_and_saveexec_b64 s[14:15], s[2:3]
	s_cbranch_execz .LBB131_10
; %bb.7:                                ;   in Loop: Header=BB131_2 Depth=1
	s_mov_b64 s[16:17], 0
	v_mov_b32_e32 v3, v37
	v_mov_b32_e32 v4, v32
.LBB131_8:                              ;   Parent Loop BB131_2 Depth=1
                                        ; =>  This Inner Loop Header: Depth=2
	v_sub_u32_e32 v57, v4, v3
	v_lshrrev_b32_e32 v57, 1, v57
	v_add_u32_e32 v61, v57, v3
	v_not_b32_e32 v58, v61
	v_lshl_add_u32 v57, v61, 3, v50
	v_lshl_add_u32 v59, v58, 3, v29
	ds_read_b64 v[57:58], v57
	ds_read_b64 v[59:60], v59
	v_add_u32_e32 v62, 1, v61
	s_waitcnt lgkmcnt(0)
	v_cmp_lt_i64_e64 s[12:13], v[59:60], v[57:58]
	v_cndmask_b32_e64 v4, v4, v61, s[12:13]
	v_cndmask_b32_e64 v3, v62, v3, s[12:13]
	v_cmp_ge_i32_e64 s[12:13], v3, v4
	s_or_b64 s[16:17], s[12:13], s[16:17]
	s_andn2_b64 exec, exec, s[16:17]
	s_cbranch_execnz .LBB131_8
; %bb.9:                                ;   in Loop: Header=BB131_2 Depth=1
	s_or_b64 exec, exec, s[16:17]
.LBB131_10:                             ;   in Loop: Header=BB131_2 Depth=1
	s_or_b64 exec, exec, s[14:15]
	v_sub_u32_e32 v61, v28, v3
	v_lshl_add_u32 v4, v3, 3, v50
	v_lshlrev_b32_e32 v59, 3, v61
	ds_read_b64 v[57:58], v4
	ds_read_b64 v[59:60], v59
	v_add_u32_e32 v62, v3, v6
	v_cmp_le_i32_e64 s[16:17], v14, v62
	v_cmp_gt_i32_e64 s[12:13], v15, v61
	s_waitcnt lgkmcnt(0)
	v_cmp_lt_i64_e64 s[14:15], v[59:60], v[57:58]
	s_barrier
	s_or_b64 s[14:15], s[16:17], s[14:15]
	s_and_b64 s[12:13], s[12:13], s[14:15]
	v_cndmask_b32_e64 v3, v57, v59, s[12:13]
	v_cndmask_b32_e64 v57, v62, v61, s[12:13]
	ds_write_b64 v5, v[1:2]
	v_lshlrev_b32_e32 v1, 3, v57
	s_waitcnt lgkmcnt(0)
	s_barrier
	ds_read_b64 v[1:2], v1
	v_cndmask_b32_e64 v4, v58, v60, s[12:13]
	s_waitcnt lgkmcnt(0)
	s_barrier
	ds_write_b64 v5, v[3:4]
	v_mov_b32_e32 v3, v38
	s_waitcnt lgkmcnt(0)
	s_barrier
	s_and_saveexec_b64 s[14:15], s[4:5]
	s_cbranch_execz .LBB131_14
; %bb.11:                               ;   in Loop: Header=BB131_2 Depth=1
	s_mov_b64 s[16:17], 0
	v_mov_b32_e32 v3, v38
	v_mov_b32_e32 v4, v33
.LBB131_12:                             ;   Parent Loop BB131_2 Depth=1
                                        ; =>  This Inner Loop Header: Depth=2
	v_sub_u32_e32 v57, v4, v3
	v_lshrrev_b32_e32 v57, 1, v57
	v_add_u32_e32 v61, v57, v3
	v_not_b32_e32 v58, v61
	v_lshl_add_u32 v57, v61, 3, v51
	v_lshl_add_u32 v59, v58, 3, v42
	ds_read_b64 v[57:58], v57
	ds_read_b64 v[59:60], v59
	v_add_u32_e32 v62, 1, v61
	s_waitcnt lgkmcnt(0)
	v_cmp_lt_i64_e64 s[12:13], v[59:60], v[57:58]
	v_cndmask_b32_e64 v4, v4, v61, s[12:13]
	v_cndmask_b32_e64 v3, v62, v3, s[12:13]
	v_cmp_ge_i32_e64 s[12:13], v3, v4
	s_or_b64 s[16:17], s[12:13], s[16:17]
	s_andn2_b64 exec, exec, s[16:17]
	s_cbranch_execnz .LBB131_12
; %bb.13:                               ;   in Loop: Header=BB131_2 Depth=1
	s_or_b64 exec, exec, s[16:17]
.LBB131_14:                             ;   in Loop: Header=BB131_2 Depth=1
	s_or_b64 exec, exec, s[14:15]
	v_sub_u32_e32 v61, v30, v3
	v_lshl_add_u32 v4, v3, 3, v51
	v_lshlrev_b32_e32 v59, 3, v61
	ds_read_b64 v[57:58], v4
	ds_read_b64 v[59:60], v59
	v_add_u32_e32 v62, v3, v7
	v_cmp_le_i32_e64 s[16:17], v16, v62
	v_cmp_gt_i32_e64 s[12:13], v17, v61
	s_waitcnt lgkmcnt(0)
	v_cmp_lt_i64_e64 s[14:15], v[59:60], v[57:58]
	s_barrier
	s_or_b64 s[14:15], s[16:17], s[14:15]
	s_and_b64 s[12:13], s[12:13], s[14:15]
	v_cndmask_b32_e64 v3, v57, v59, s[12:13]
	v_cndmask_b32_e64 v57, v62, v61, s[12:13]
	ds_write_b64 v5, v[1:2]
	v_lshlrev_b32_e32 v1, 3, v57
	s_waitcnt lgkmcnt(0)
	s_barrier
	ds_read_b64 v[1:2], v1
	v_cndmask_b32_e64 v4, v58, v60, s[12:13]
	s_waitcnt lgkmcnt(0)
	s_barrier
	ds_write_b64 v5, v[3:4]
	v_mov_b32_e32 v3, v39
	s_waitcnt lgkmcnt(0)
	s_barrier
	s_and_saveexec_b64 s[14:15], s[6:7]
	s_cbranch_execz .LBB131_18
; %bb.15:                               ;   in Loop: Header=BB131_2 Depth=1
	s_mov_b64 s[16:17], 0
	v_mov_b32_e32 v3, v39
	v_mov_b32_e32 v4, v34
.LBB131_16:                             ;   Parent Loop BB131_2 Depth=1
                                        ; =>  This Inner Loop Header: Depth=2
	v_sub_u32_e32 v57, v4, v3
	v_lshrrev_b32_e32 v57, 1, v57
	v_add_u32_e32 v61, v57, v3
	v_not_b32_e32 v58, v61
	v_lshl_add_u32 v57, v61, 3, v52
	v_lshl_add_u32 v59, v58, 3, v44
	ds_read_b64 v[57:58], v57
	ds_read_b64 v[59:60], v59
	v_add_u32_e32 v62, 1, v61
	s_waitcnt lgkmcnt(0)
	v_cmp_lt_i64_e64 s[12:13], v[59:60], v[57:58]
	v_cndmask_b32_e64 v4, v4, v61, s[12:13]
	v_cndmask_b32_e64 v3, v62, v3, s[12:13]
	v_cmp_ge_i32_e64 s[12:13], v3, v4
	s_or_b64 s[16:17], s[12:13], s[16:17]
	s_andn2_b64 exec, exec, s[16:17]
	s_cbranch_execnz .LBB131_16
; %bb.17:                               ;   in Loop: Header=BB131_2 Depth=1
	s_or_b64 exec, exec, s[16:17]
.LBB131_18:                             ;   in Loop: Header=BB131_2 Depth=1
	;; [unrolled: 56-line block ×4, first 2 shown]
	s_or_b64 exec, exec, s[14:15]
	v_sub_u32_e32 v4, v47, v3
	v_lshl_add_u32 v57, v3, 3, v54
	v_lshlrev_b32_e32 v59, 3, v4
	ds_read_b64 v[57:58], v57
	ds_read_b64 v[59:60], v59
	v_add_u32_e32 v3, v3, v10
	v_cmp_le_i32_e64 s[16:17], v22, v3
	v_cmp_gt_i32_e64 s[12:13], v23, v4
	s_waitcnt lgkmcnt(0)
	v_cmp_lt_i64_e64 s[14:15], v[59:60], v[57:58]
	s_barrier
	s_or_b64 s[14:15], s[16:17], s[14:15]
	s_and_b64 s[12:13], s[12:13], s[14:15]
	v_cndmask_b32_e64 v3, v3, v4, s[12:13]
	ds_write_b64 v5, v[1:2]
	v_lshlrev_b32_e32 v1, 3, v3
	s_waitcnt lgkmcnt(0)
	s_barrier
	ds_read_b64 v[3:4], v1
	v_cndmask_b32_e64 v58, v58, v60, s[12:13]
	v_cndmask_b32_e64 v57, v57, v59, s[12:13]
	v_mov_b32_e32 v1, v12
	s_waitcnt lgkmcnt(0)
	s_barrier
	ds_write_b64 v5, v[57:58]
	s_waitcnt lgkmcnt(0)
	s_barrier
	s_and_saveexec_b64 s[14:15], vcc
	s_cbranch_execz .LBB131_1
; %bb.27:                               ;   in Loop: Header=BB131_2 Depth=1
	s_mov_b64 s[16:17], 0
	v_mov_b32_e32 v1, v12
	v_mov_b32_e32 v2, v13
.LBB131_28:                             ;   Parent Loop BB131_2 Depth=1
                                        ; =>  This Inner Loop Header: Depth=2
	v_sub_u32_e32 v57, v2, v1
	v_lshrrev_b32_e32 v57, 1, v57
	v_add_u32_e32 v61, v57, v1
	v_not_b32_e32 v58, v61
	v_lshlrev_b32_e32 v57, 3, v61
	v_lshl_add_u32 v59, v58, 3, v56
	ds_read_b64 v[57:58], v57
	ds_read_b64 v[59:60], v59
	v_add_u32_e32 v62, 1, v61
	s_waitcnt lgkmcnt(0)
	v_cmp_lt_i64_e64 s[12:13], v[59:60], v[57:58]
	v_cndmask_b32_e64 v2, v2, v61, s[12:13]
	v_cndmask_b32_e64 v1, v62, v1, s[12:13]
	v_cmp_ge_i32_e64 s[12:13], v1, v2
	s_or_b64 s[16:17], s[12:13], s[16:17]
	s_andn2_b64 exec, exec, s[16:17]
	s_cbranch_execnz .LBB131_28
; %bb.29:                               ;   in Loop: Header=BB131_2 Depth=1
	s_or_b64 exec, exec, s[16:17]
	s_branch .LBB131_1
.LBB131_30:
	s_waitcnt lgkmcnt(0)
	v_add_co_u32_e32 v1, vcc, v1, v3
	s_add_u32 s0, s18, s20
	v_addc_co_u32_e32 v2, vcc, v2, v4, vcc
	s_addc_u32 s1, s19, s21
	v_lshlrev_b32_e32 v0, 3, v0
	global_store_dwordx2 v0, v[1:2], s[0:1]
	s_endpgm
	.section	.rodata,"a",@progbits
	.p2align	6, 0x0
	.amdhsa_kernel _Z17sort_pairs_kernelIxLj128ELj1EN10test_utils4lessELj10EEvPKT_PS2_T2_
		.amdhsa_group_segment_fixed_size 1032
		.amdhsa_private_segment_fixed_size 0
		.amdhsa_kernarg_size 20
		.amdhsa_user_sgpr_count 6
		.amdhsa_user_sgpr_private_segment_buffer 1
		.amdhsa_user_sgpr_dispatch_ptr 0
		.amdhsa_user_sgpr_queue_ptr 0
		.amdhsa_user_sgpr_kernarg_segment_ptr 1
		.amdhsa_user_sgpr_dispatch_id 0
		.amdhsa_user_sgpr_flat_scratch_init 0
		.amdhsa_user_sgpr_private_segment_size 0
		.amdhsa_uses_dynamic_stack 0
		.amdhsa_system_sgpr_private_segment_wavefront_offset 0
		.amdhsa_system_sgpr_workgroup_id_x 1
		.amdhsa_system_sgpr_workgroup_id_y 0
		.amdhsa_system_sgpr_workgroup_id_z 0
		.amdhsa_system_sgpr_workgroup_info 0
		.amdhsa_system_vgpr_workitem_id 0
		.amdhsa_next_free_vgpr 63
		.amdhsa_next_free_sgpr 24
		.amdhsa_reserve_vcc 1
		.amdhsa_reserve_flat_scratch 0
		.amdhsa_float_round_mode_32 0
		.amdhsa_float_round_mode_16_64 0
		.amdhsa_float_denorm_mode_32 3
		.amdhsa_float_denorm_mode_16_64 3
		.amdhsa_dx10_clamp 1
		.amdhsa_ieee_mode 1
		.amdhsa_fp16_overflow 0
		.amdhsa_exception_fp_ieee_invalid_op 0
		.amdhsa_exception_fp_denorm_src 0
		.amdhsa_exception_fp_ieee_div_zero 0
		.amdhsa_exception_fp_ieee_overflow 0
		.amdhsa_exception_fp_ieee_underflow 0
		.amdhsa_exception_fp_ieee_inexact 0
		.amdhsa_exception_int_div_zero 0
	.end_amdhsa_kernel
	.section	.text._Z17sort_pairs_kernelIxLj128ELj1EN10test_utils4lessELj10EEvPKT_PS2_T2_,"axG",@progbits,_Z17sort_pairs_kernelIxLj128ELj1EN10test_utils4lessELj10EEvPKT_PS2_T2_,comdat
.Lfunc_end131:
	.size	_Z17sort_pairs_kernelIxLj128ELj1EN10test_utils4lessELj10EEvPKT_PS2_T2_, .Lfunc_end131-_Z17sort_pairs_kernelIxLj128ELj1EN10test_utils4lessELj10EEvPKT_PS2_T2_
                                        ; -- End function
	.set _Z17sort_pairs_kernelIxLj128ELj1EN10test_utils4lessELj10EEvPKT_PS2_T2_.num_vgpr, 63
	.set _Z17sort_pairs_kernelIxLj128ELj1EN10test_utils4lessELj10EEvPKT_PS2_T2_.num_agpr, 0
	.set _Z17sort_pairs_kernelIxLj128ELj1EN10test_utils4lessELj10EEvPKT_PS2_T2_.numbered_sgpr, 24
	.set _Z17sort_pairs_kernelIxLj128ELj1EN10test_utils4lessELj10EEvPKT_PS2_T2_.num_named_barrier, 0
	.set _Z17sort_pairs_kernelIxLj128ELj1EN10test_utils4lessELj10EEvPKT_PS2_T2_.private_seg_size, 0
	.set _Z17sort_pairs_kernelIxLj128ELj1EN10test_utils4lessELj10EEvPKT_PS2_T2_.uses_vcc, 1
	.set _Z17sort_pairs_kernelIxLj128ELj1EN10test_utils4lessELj10EEvPKT_PS2_T2_.uses_flat_scratch, 0
	.set _Z17sort_pairs_kernelIxLj128ELj1EN10test_utils4lessELj10EEvPKT_PS2_T2_.has_dyn_sized_stack, 0
	.set _Z17sort_pairs_kernelIxLj128ELj1EN10test_utils4lessELj10EEvPKT_PS2_T2_.has_recursion, 0
	.set _Z17sort_pairs_kernelIxLj128ELj1EN10test_utils4lessELj10EEvPKT_PS2_T2_.has_indirect_call, 0
	.section	.AMDGPU.csdata,"",@progbits
; Kernel info:
; codeLenInByte = 2596
; TotalNumSgprs: 28
; NumVgprs: 63
; ScratchSize: 0
; MemoryBound: 0
; FloatMode: 240
; IeeeMode: 1
; LDSByteSize: 1032 bytes/workgroup (compile time only)
; SGPRBlocks: 3
; VGPRBlocks: 15
; NumSGPRsForWavesPerEU: 28
; NumVGPRsForWavesPerEU: 63
; Occupancy: 4
; WaveLimiterHint : 0
; COMPUTE_PGM_RSRC2:SCRATCH_EN: 0
; COMPUTE_PGM_RSRC2:USER_SGPR: 6
; COMPUTE_PGM_RSRC2:TRAP_HANDLER: 0
; COMPUTE_PGM_RSRC2:TGID_X_EN: 1
; COMPUTE_PGM_RSRC2:TGID_Y_EN: 0
; COMPUTE_PGM_RSRC2:TGID_Z_EN: 0
; COMPUTE_PGM_RSRC2:TIDIG_COMP_CNT: 0
	.section	.text._Z16sort_keys_kernelIxLj128ELj2EN10test_utils4lessELj10EEvPKT_PS2_T2_,"axG",@progbits,_Z16sort_keys_kernelIxLj128ELj2EN10test_utils4lessELj10EEvPKT_PS2_T2_,comdat
	.protected	_Z16sort_keys_kernelIxLj128ELj2EN10test_utils4lessELj10EEvPKT_PS2_T2_ ; -- Begin function _Z16sort_keys_kernelIxLj128ELj2EN10test_utils4lessELj10EEvPKT_PS2_T2_
	.globl	_Z16sort_keys_kernelIxLj128ELj2EN10test_utils4lessELj10EEvPKT_PS2_T2_
	.p2align	8
	.type	_Z16sort_keys_kernelIxLj128ELj2EN10test_utils4lessELj10EEvPKT_PS2_T2_,@function
_Z16sort_keys_kernelIxLj128ELj2EN10test_utils4lessELj10EEvPKT_PS2_T2_: ; @_Z16sort_keys_kernelIxLj128ELj2EN10test_utils4lessELj10EEvPKT_PS2_T2_
; %bb.0:
	s_load_dwordx4 s[16:19], s[4:5], 0x0
	s_lshl_b32 s22, s6, 8
	s_mov_b32 s23, 0
	s_lshl_b64 s[20:21], s[22:23], 3
	v_lshlrev_b32_e32 v19, 3, v0
	s_waitcnt lgkmcnt(0)
	s_add_u32 s0, s16, s20
	s_addc_u32 s1, s17, s21
	global_load_dwordx2 v[1:2], v19, s[0:1]
	global_load_dwordx2 v[3:4], v19, s[0:1] offset:1024
	v_lshlrev_b32_e32 v5, 1, v0
	v_and_b32_e32 v9, 0xfc, v5
	v_or_b32_e32 v10, 2, v9
	v_add_u32_e32 v11, 4, v9
	v_and_b32_e32 v12, 0xf8, v5
	v_and_b32_e32 v6, 2, v5
	v_sub_u32_e32 v7, v11, v10
	v_or_b32_e32 v13, 4, v12
	v_add_u32_e32 v14, 8, v12
	v_and_b32_e32 v15, 0xf0, v5
	v_sub_u32_e32 v8, v6, v7
	v_and_b32_e32 v46, 6, v5
	v_sub_u32_e32 v29, v14, v13
	v_or_b32_e32 v16, 8, v15
	v_add_u32_e32 v17, 16, v15
	v_and_b32_e32 v18, 0xe0, v5
	v_cmp_ge_i32_e32 vcc, v6, v7
	v_sub_u32_e32 v7, v10, v9
	v_mov_b32_e32 v39, 0x80
	v_sub_u32_e32 v30, v46, v29
	v_and_b32_e32 v48, 14, v5
	v_sub_u32_e32 v31, v17, v16
	v_and_b32_e32 v50, 30, v5
	v_or_b32_e32 v19, 16, v18
	v_add_u32_e32 v20, 32, v18
	v_and_b32_e32 v21, 0xc0, v5
	v_and_b32_e32 v52, 62, v5
	;; [unrolled: 1-line block ×4, first 2 shown]
	v_min_i32_e32 v28, v6, v7
	v_cmp_ge_i32_e64 s[0:1], v46, v29
	v_sub_u32_e32 v7, v13, v12
	v_sub_u32_e64 v40, v5, v39 clamp
	v_min_i32_e32 v41, 0x80, v5
	v_add_u32_e32 v42, 0x80, v5
	v_lshlrev_b32_e32 v5, 3, v6
	v_sub_u32_e32 v32, v48, v31
	v_sub_u32_e32 v33, v20, v19
	v_or_b32_e32 v22, 32, v21
	v_add_u32_e32 v23, 64, v21
	v_cndmask_b32_e64 v29, 0, v30, s[0:1]
	v_min_i32_e32 v30, v46, v7
	v_cmp_ge_i32_e64 s[2:3], v48, v31
	v_sub_u32_e32 v7, v16, v15
	v_lshl_add_u32 v44, v10, 3, v5
	v_lshlrev_b32_e32 v5, 3, v46
	v_sub_u32_e32 v34, v50, v33
	v_sub_u32_e32 v35, v23, v22
	v_or_b32_e32 v25, 64, v24
	v_add_u32_e32 v26, 0x80, v24
	v_cndmask_b32_e64 v31, 0, v32, s[2:3]
	v_min_i32_e32 v32, v48, v7
	v_cmp_ge_i32_e64 s[4:5], v50, v33
	v_sub_u32_e32 v7, v19, v18
	v_add_u32_e32 v45, v13, v46
	v_lshl_add_u32 v46, v13, 3, v5
	v_lshlrev_b32_e32 v5, 3, v48
	v_sub_u32_e32 v36, v52, v35
	v_sub_u32_e32 v37, v26, v25
	v_cndmask_b32_e64 v33, 0, v34, s[4:5]
	v_min_i32_e32 v34, v50, v7
	v_cmp_ge_i32_e64 s[6:7], v52, v35
	v_sub_u32_e32 v7, v22, v21
	v_add_u32_e32 v47, v16, v48
	v_lshl_add_u32 v48, v16, 3, v5
	v_lshlrev_b32_e32 v5, 3, v50
	v_sub_u32_e32 v38, v54, v37
	v_cndmask_b32_e64 v35, 0, v36, s[6:7]
	v_min_i32_e32 v36, v52, v7
	v_cmp_ge_i32_e64 s[8:9], v54, v37
	v_sub_u32_e32 v7, v25, v24
	v_add_u32_e32 v49, v19, v50
	v_lshl_add_u32 v50, v19, 3, v5
	v_lshlrev_b32_e32 v5, 3, v52
	v_cndmask_b32_e32 v27, 0, v8, vcc
	v_cndmask_b32_e64 v37, 0, v38, s[8:9]
	v_min_i32_e32 v38, v54, v7
	v_add_u32_e32 v51, v22, v52
	v_lshl_add_u32 v52, v22, 3, v5
	v_lshlrev_b32_e32 v5, 3, v54
	v_lshlrev_b32_e32 v55, 4, v0
	v_cmp_lt_i32_e32 vcc, v27, v28
	v_cmp_lt_i32_e64 s[0:1], v29, v30
	v_cmp_lt_i32_e64 s[2:3], v31, v32
	;; [unrolled: 1-line block ×6, first 2 shown]
	v_add_u32_e32 v43, v10, v6
	v_add_u32_e32 v53, v25, v54
	v_lshl_add_u32 v54, v25, 3, v5
	s_movk_i32 s22, 0x100
	v_lshlrev_b32_e32 v56, 3, v9
	v_lshlrev_b32_e32 v57, 3, v12
	;; [unrolled: 1-line block ×6, first 2 shown]
	v_add_u32_e32 v62, 0x400, v55
	s_branch .LBB132_2
.LBB132_1:                              ;   in Loop: Header=BB132_2 Depth=1
	s_or_b64 exec, exec, s[14:15]
	s_waitcnt lgkmcnt(0)
	v_cmp_lt_i64_e64 s[14:15], v[7:8], v[5:6]
	v_cmp_ge_i32_e64 s[16:17], v63, v39
	v_cndmask_b32_e64 v2, v2, v4, s[12:13]
	v_cndmask_b32_e64 v1, v1, v3, s[12:13]
	v_cmp_gt_i32_e64 s[12:13], s22, v64
	s_or_b64 s[14:15], s[16:17], s[14:15]
	s_and_b64 s[12:13], s[12:13], s[14:15]
	s_add_i32 s23, s23, 1
	v_cndmask_b32_e64 v4, v6, v8, s[12:13]
	s_cmp_eq_u32 s23, 10
	v_cndmask_b32_e64 v3, v5, v7, s[12:13]
	s_cbranch_scc1 .LBB132_58
.LBB132_2:                              ; =>This Loop Header: Depth=1
                                        ;     Child Loop BB132_4 Depth 2
                                        ;     Child Loop BB132_12 Depth 2
	;; [unrolled: 1-line block ×7, first 2 shown]
	s_waitcnt vmcnt(0)
	v_cmp_lt_i64_e64 s[12:13], v[3:4], v[1:2]
	v_cndmask_b32_e64 v6, v4, v2, s[12:13]
	v_cndmask_b32_e64 v5, v3, v1, s[12:13]
	;; [unrolled: 1-line block ×4, first 2 shown]
	s_barrier
	ds_write2_b64 v55, v[1:2], v[5:6] offset1:1
	v_mov_b32_e32 v5, v27
	s_waitcnt lgkmcnt(0)
	s_barrier
	s_and_saveexec_b64 s[14:15], vcc
	s_cbranch_execz .LBB132_6
; %bb.3:                                ;   in Loop: Header=BB132_2 Depth=1
	s_mov_b64 s[16:17], 0
	v_mov_b32_e32 v5, v27
	v_mov_b32_e32 v1, v28
.LBB132_4:                              ;   Parent Loop BB132_2 Depth=1
                                        ; =>  This Inner Loop Header: Depth=2
	v_sub_u32_e32 v2, v1, v5
	v_lshrrev_b32_e32 v2, 1, v2
	v_add_u32_e32 v4, v2, v5
	v_not_b32_e32 v3, v4
	v_lshl_add_u32 v2, v4, 3, v56
	v_lshl_add_u32 v6, v3, 3, v44
	ds_read_b64 v[2:3], v2
	ds_read_b64 v[6:7], v6
	v_add_u32_e32 v8, 1, v4
	s_waitcnt lgkmcnt(0)
	v_cmp_lt_i64_e64 s[12:13], v[6:7], v[2:3]
	v_cndmask_b32_e64 v1, v1, v4, s[12:13]
	v_cndmask_b32_e64 v5, v8, v5, s[12:13]
	v_cmp_ge_i32_e64 s[12:13], v5, v1
	s_or_b64 s[16:17], s[12:13], s[16:17]
	s_andn2_b64 exec, exec, s[16:17]
	s_cbranch_execnz .LBB132_4
; %bb.5:                                ;   in Loop: Header=BB132_2 Depth=1
	s_or_b64 exec, exec, s[16:17]
.LBB132_6:                              ;   in Loop: Header=BB132_2 Depth=1
	s_or_b64 exec, exec, s[14:15]
	v_sub_u32_e32 v63, v43, v5
	v_lshl_add_u32 v7, v5, 3, v56
	v_lshlrev_b32_e32 v65, 3, v63
	ds_read_b64 v[1:2], v7
	ds_read_b64 v[3:4], v65
	v_add_u32_e32 v64, v5, v9
	v_cmp_le_i32_e64 s[16:17], v10, v64
	v_cmp_gt_i32_e64 s[12:13], v11, v63
                                        ; implicit-def: $vgpr5_vgpr6
	s_waitcnt lgkmcnt(0)
	v_cmp_lt_i64_e64 s[14:15], v[3:4], v[1:2]
	s_or_b64 s[14:15], s[16:17], s[14:15]
	s_and_b64 s[12:13], s[12:13], s[14:15]
	s_xor_b64 s[14:15], s[12:13], -1
	s_and_saveexec_b64 s[16:17], s[14:15]
	s_xor_b64 s[14:15], exec, s[16:17]
; %bb.7:                                ;   in Loop: Header=BB132_2 Depth=1
	ds_read_b64 v[5:6], v7 offset:8
                                        ; implicit-def: $vgpr65
; %bb.8:                                ;   in Loop: Header=BB132_2 Depth=1
	s_or_saveexec_b64 s[14:15], s[14:15]
	v_mov_b32_e32 v8, v4
	v_mov_b32_e32 v7, v3
	s_xor_b64 exec, exec, s[14:15]
	s_cbranch_execz .LBB132_10
; %bb.9:                                ;   in Loop: Header=BB132_2 Depth=1
	ds_read_b64 v[7:8], v65 offset:8
	s_waitcnt lgkmcnt(1)
	v_mov_b32_e32 v6, v2
	v_mov_b32_e32 v5, v1
.LBB132_10:                             ;   in Loop: Header=BB132_2 Depth=1
	s_or_b64 exec, exec, s[14:15]
	v_cndmask_b32_e64 v2, v2, v4, s[12:13]
	v_add_u32_e32 v4, 1, v64
	v_cndmask_b32_e64 v1, v1, v3, s[12:13]
	v_add_u32_e32 v3, 1, v63
	v_cndmask_b32_e64 v4, v4, v64, s[12:13]
	s_waitcnt lgkmcnt(0)
	v_cmp_lt_i64_e64 s[14:15], v[7:8], v[5:6]
	v_cndmask_b32_e64 v3, v63, v3, s[12:13]
	v_cmp_ge_i32_e64 s[16:17], v4, v10
	v_cmp_lt_i32_e64 s[12:13], v3, v11
	s_or_b64 s[14:15], s[16:17], s[14:15]
	s_and_b64 s[12:13], s[12:13], s[14:15]
	v_cndmask_b32_e64 v4, v6, v8, s[12:13]
	v_cndmask_b32_e64 v3, v5, v7, s[12:13]
	v_mov_b32_e32 v5, v29
	s_barrier
	ds_write2_b64 v55, v[1:2], v[3:4] offset1:1
	s_waitcnt lgkmcnt(0)
	s_barrier
	s_and_saveexec_b64 s[14:15], s[0:1]
	s_cbranch_execz .LBB132_14
; %bb.11:                               ;   in Loop: Header=BB132_2 Depth=1
	s_mov_b64 s[16:17], 0
	v_mov_b32_e32 v5, v29
	v_mov_b32_e32 v1, v30
.LBB132_12:                             ;   Parent Loop BB132_2 Depth=1
                                        ; =>  This Inner Loop Header: Depth=2
	v_sub_u32_e32 v2, v1, v5
	v_lshrrev_b32_e32 v2, 1, v2
	v_add_u32_e32 v4, v2, v5
	v_not_b32_e32 v3, v4
	v_lshl_add_u32 v2, v4, 3, v57
	v_lshl_add_u32 v6, v3, 3, v46
	ds_read_b64 v[2:3], v2
	ds_read_b64 v[6:7], v6
	v_add_u32_e32 v8, 1, v4
	s_waitcnt lgkmcnt(0)
	v_cmp_lt_i64_e64 s[12:13], v[6:7], v[2:3]
	v_cndmask_b32_e64 v1, v1, v4, s[12:13]
	v_cndmask_b32_e64 v5, v8, v5, s[12:13]
	v_cmp_ge_i32_e64 s[12:13], v5, v1
	s_or_b64 s[16:17], s[12:13], s[16:17]
	s_andn2_b64 exec, exec, s[16:17]
	s_cbranch_execnz .LBB132_12
; %bb.13:                               ;   in Loop: Header=BB132_2 Depth=1
	s_or_b64 exec, exec, s[16:17]
.LBB132_14:                             ;   in Loop: Header=BB132_2 Depth=1
	s_or_b64 exec, exec, s[14:15]
	v_sub_u32_e32 v63, v45, v5
	v_lshl_add_u32 v7, v5, 3, v57
	v_lshlrev_b32_e32 v65, 3, v63
	ds_read_b64 v[1:2], v7
	ds_read_b64 v[3:4], v65
	v_add_u32_e32 v64, v5, v12
	v_cmp_le_i32_e64 s[16:17], v13, v64
	v_cmp_gt_i32_e64 s[12:13], v14, v63
                                        ; implicit-def: $vgpr5_vgpr6
	s_waitcnt lgkmcnt(0)
	v_cmp_lt_i64_e64 s[14:15], v[3:4], v[1:2]
	s_or_b64 s[14:15], s[16:17], s[14:15]
	s_and_b64 s[12:13], s[12:13], s[14:15]
	s_xor_b64 s[14:15], s[12:13], -1
	s_and_saveexec_b64 s[16:17], s[14:15]
	s_xor_b64 s[14:15], exec, s[16:17]
; %bb.15:                               ;   in Loop: Header=BB132_2 Depth=1
	ds_read_b64 v[5:6], v7 offset:8
                                        ; implicit-def: $vgpr65
; %bb.16:                               ;   in Loop: Header=BB132_2 Depth=1
	s_or_saveexec_b64 s[14:15], s[14:15]
	v_mov_b32_e32 v8, v4
	v_mov_b32_e32 v7, v3
	s_xor_b64 exec, exec, s[14:15]
	s_cbranch_execz .LBB132_18
; %bb.17:                               ;   in Loop: Header=BB132_2 Depth=1
	ds_read_b64 v[7:8], v65 offset:8
	s_waitcnt lgkmcnt(1)
	v_mov_b32_e32 v6, v2
	v_mov_b32_e32 v5, v1
.LBB132_18:                             ;   in Loop: Header=BB132_2 Depth=1
	s_or_b64 exec, exec, s[14:15]
	v_cndmask_b32_e64 v2, v2, v4, s[12:13]
	v_add_u32_e32 v4, 1, v64
	v_cndmask_b32_e64 v1, v1, v3, s[12:13]
	v_add_u32_e32 v3, 1, v63
	v_cndmask_b32_e64 v4, v4, v64, s[12:13]
	s_waitcnt lgkmcnt(0)
	v_cmp_lt_i64_e64 s[14:15], v[7:8], v[5:6]
	v_cndmask_b32_e64 v3, v63, v3, s[12:13]
	v_cmp_ge_i32_e64 s[16:17], v4, v13
	v_cmp_lt_i32_e64 s[12:13], v3, v14
	s_or_b64 s[14:15], s[16:17], s[14:15]
	s_and_b64 s[12:13], s[12:13], s[14:15]
	v_cndmask_b32_e64 v4, v6, v8, s[12:13]
	v_cndmask_b32_e64 v3, v5, v7, s[12:13]
	v_mov_b32_e32 v5, v31
	s_barrier
	ds_write2_b64 v55, v[1:2], v[3:4] offset1:1
	s_waitcnt lgkmcnt(0)
	s_barrier
	s_and_saveexec_b64 s[14:15], s[2:3]
	s_cbranch_execz .LBB132_22
; %bb.19:                               ;   in Loop: Header=BB132_2 Depth=1
	s_mov_b64 s[16:17], 0
	v_mov_b32_e32 v5, v31
	v_mov_b32_e32 v1, v32
.LBB132_20:                             ;   Parent Loop BB132_2 Depth=1
                                        ; =>  This Inner Loop Header: Depth=2
	v_sub_u32_e32 v2, v1, v5
	v_lshrrev_b32_e32 v2, 1, v2
	v_add_u32_e32 v4, v2, v5
	v_not_b32_e32 v3, v4
	v_lshl_add_u32 v2, v4, 3, v58
	v_lshl_add_u32 v6, v3, 3, v48
	ds_read_b64 v[2:3], v2
	ds_read_b64 v[6:7], v6
	v_add_u32_e32 v8, 1, v4
	s_waitcnt lgkmcnt(0)
	v_cmp_lt_i64_e64 s[12:13], v[6:7], v[2:3]
	v_cndmask_b32_e64 v1, v1, v4, s[12:13]
	v_cndmask_b32_e64 v5, v8, v5, s[12:13]
	v_cmp_ge_i32_e64 s[12:13], v5, v1
	s_or_b64 s[16:17], s[12:13], s[16:17]
	s_andn2_b64 exec, exec, s[16:17]
	s_cbranch_execnz .LBB132_20
; %bb.21:                               ;   in Loop: Header=BB132_2 Depth=1
	s_or_b64 exec, exec, s[16:17]
.LBB132_22:                             ;   in Loop: Header=BB132_2 Depth=1
	s_or_b64 exec, exec, s[14:15]
	v_sub_u32_e32 v63, v47, v5
	v_lshl_add_u32 v7, v5, 3, v58
	v_lshlrev_b32_e32 v65, 3, v63
	ds_read_b64 v[1:2], v7
	ds_read_b64 v[3:4], v65
	v_add_u32_e32 v64, v5, v15
	v_cmp_le_i32_e64 s[16:17], v16, v64
	v_cmp_gt_i32_e64 s[12:13], v17, v63
                                        ; implicit-def: $vgpr5_vgpr6
	s_waitcnt lgkmcnt(0)
	v_cmp_lt_i64_e64 s[14:15], v[3:4], v[1:2]
	s_or_b64 s[14:15], s[16:17], s[14:15]
	s_and_b64 s[12:13], s[12:13], s[14:15]
	s_xor_b64 s[14:15], s[12:13], -1
	s_and_saveexec_b64 s[16:17], s[14:15]
	s_xor_b64 s[14:15], exec, s[16:17]
; %bb.23:                               ;   in Loop: Header=BB132_2 Depth=1
	ds_read_b64 v[5:6], v7 offset:8
                                        ; implicit-def: $vgpr65
; %bb.24:                               ;   in Loop: Header=BB132_2 Depth=1
	s_or_saveexec_b64 s[14:15], s[14:15]
	v_mov_b32_e32 v8, v4
	v_mov_b32_e32 v7, v3
	s_xor_b64 exec, exec, s[14:15]
	s_cbranch_execz .LBB132_26
; %bb.25:                               ;   in Loop: Header=BB132_2 Depth=1
	ds_read_b64 v[7:8], v65 offset:8
	s_waitcnt lgkmcnt(1)
	v_mov_b32_e32 v6, v2
	v_mov_b32_e32 v5, v1
.LBB132_26:                             ;   in Loop: Header=BB132_2 Depth=1
	s_or_b64 exec, exec, s[14:15]
	v_cndmask_b32_e64 v2, v2, v4, s[12:13]
	v_add_u32_e32 v4, 1, v64
	v_cndmask_b32_e64 v1, v1, v3, s[12:13]
	v_add_u32_e32 v3, 1, v63
	v_cndmask_b32_e64 v4, v4, v64, s[12:13]
	s_waitcnt lgkmcnt(0)
	v_cmp_lt_i64_e64 s[14:15], v[7:8], v[5:6]
	v_cndmask_b32_e64 v3, v63, v3, s[12:13]
	v_cmp_ge_i32_e64 s[16:17], v4, v16
	v_cmp_lt_i32_e64 s[12:13], v3, v17
	s_or_b64 s[14:15], s[16:17], s[14:15]
	s_and_b64 s[12:13], s[12:13], s[14:15]
	v_cndmask_b32_e64 v4, v6, v8, s[12:13]
	v_cndmask_b32_e64 v3, v5, v7, s[12:13]
	v_mov_b32_e32 v5, v33
	s_barrier
	ds_write2_b64 v55, v[1:2], v[3:4] offset1:1
	s_waitcnt lgkmcnt(0)
	s_barrier
	s_and_saveexec_b64 s[14:15], s[4:5]
	s_cbranch_execz .LBB132_30
; %bb.27:                               ;   in Loop: Header=BB132_2 Depth=1
	s_mov_b64 s[16:17], 0
	v_mov_b32_e32 v5, v33
	v_mov_b32_e32 v1, v34
.LBB132_28:                             ;   Parent Loop BB132_2 Depth=1
                                        ; =>  This Inner Loop Header: Depth=2
	v_sub_u32_e32 v2, v1, v5
	v_lshrrev_b32_e32 v2, 1, v2
	v_add_u32_e32 v4, v2, v5
	v_not_b32_e32 v3, v4
	v_lshl_add_u32 v2, v4, 3, v59
	v_lshl_add_u32 v6, v3, 3, v50
	ds_read_b64 v[2:3], v2
	ds_read_b64 v[6:7], v6
	v_add_u32_e32 v8, 1, v4
	s_waitcnt lgkmcnt(0)
	v_cmp_lt_i64_e64 s[12:13], v[6:7], v[2:3]
	v_cndmask_b32_e64 v1, v1, v4, s[12:13]
	v_cndmask_b32_e64 v5, v8, v5, s[12:13]
	v_cmp_ge_i32_e64 s[12:13], v5, v1
	s_or_b64 s[16:17], s[12:13], s[16:17]
	s_andn2_b64 exec, exec, s[16:17]
	s_cbranch_execnz .LBB132_28
; %bb.29:                               ;   in Loop: Header=BB132_2 Depth=1
	s_or_b64 exec, exec, s[16:17]
.LBB132_30:                             ;   in Loop: Header=BB132_2 Depth=1
	s_or_b64 exec, exec, s[14:15]
	v_sub_u32_e32 v63, v49, v5
	v_lshl_add_u32 v7, v5, 3, v59
	v_lshlrev_b32_e32 v65, 3, v63
	ds_read_b64 v[1:2], v7
	ds_read_b64 v[3:4], v65
	v_add_u32_e32 v64, v5, v18
	v_cmp_le_i32_e64 s[16:17], v19, v64
	v_cmp_gt_i32_e64 s[12:13], v20, v63
                                        ; implicit-def: $vgpr5_vgpr6
	s_waitcnt lgkmcnt(0)
	v_cmp_lt_i64_e64 s[14:15], v[3:4], v[1:2]
	s_or_b64 s[14:15], s[16:17], s[14:15]
	s_and_b64 s[12:13], s[12:13], s[14:15]
	s_xor_b64 s[14:15], s[12:13], -1
	s_and_saveexec_b64 s[16:17], s[14:15]
	s_xor_b64 s[14:15], exec, s[16:17]
; %bb.31:                               ;   in Loop: Header=BB132_2 Depth=1
	ds_read_b64 v[5:6], v7 offset:8
                                        ; implicit-def: $vgpr65
; %bb.32:                               ;   in Loop: Header=BB132_2 Depth=1
	s_or_saveexec_b64 s[14:15], s[14:15]
	v_mov_b32_e32 v8, v4
	v_mov_b32_e32 v7, v3
	s_xor_b64 exec, exec, s[14:15]
	s_cbranch_execz .LBB132_34
; %bb.33:                               ;   in Loop: Header=BB132_2 Depth=1
	ds_read_b64 v[7:8], v65 offset:8
	s_waitcnt lgkmcnt(1)
	v_mov_b32_e32 v6, v2
	v_mov_b32_e32 v5, v1
.LBB132_34:                             ;   in Loop: Header=BB132_2 Depth=1
	s_or_b64 exec, exec, s[14:15]
	v_cndmask_b32_e64 v2, v2, v4, s[12:13]
	v_add_u32_e32 v4, 1, v64
	v_cndmask_b32_e64 v1, v1, v3, s[12:13]
	v_add_u32_e32 v3, 1, v63
	v_cndmask_b32_e64 v4, v4, v64, s[12:13]
	s_waitcnt lgkmcnt(0)
	v_cmp_lt_i64_e64 s[14:15], v[7:8], v[5:6]
	v_cndmask_b32_e64 v3, v63, v3, s[12:13]
	v_cmp_ge_i32_e64 s[16:17], v4, v19
	v_cmp_lt_i32_e64 s[12:13], v3, v20
	s_or_b64 s[14:15], s[16:17], s[14:15]
	s_and_b64 s[12:13], s[12:13], s[14:15]
	v_cndmask_b32_e64 v4, v6, v8, s[12:13]
	v_cndmask_b32_e64 v3, v5, v7, s[12:13]
	v_mov_b32_e32 v5, v35
	s_barrier
	ds_write2_b64 v55, v[1:2], v[3:4] offset1:1
	s_waitcnt lgkmcnt(0)
	s_barrier
	s_and_saveexec_b64 s[14:15], s[6:7]
	s_cbranch_execz .LBB132_38
; %bb.35:                               ;   in Loop: Header=BB132_2 Depth=1
	s_mov_b64 s[16:17], 0
	v_mov_b32_e32 v5, v35
	v_mov_b32_e32 v1, v36
.LBB132_36:                             ;   Parent Loop BB132_2 Depth=1
                                        ; =>  This Inner Loop Header: Depth=2
	v_sub_u32_e32 v2, v1, v5
	v_lshrrev_b32_e32 v2, 1, v2
	v_add_u32_e32 v4, v2, v5
	v_not_b32_e32 v3, v4
	v_lshl_add_u32 v2, v4, 3, v60
	v_lshl_add_u32 v6, v3, 3, v52
	ds_read_b64 v[2:3], v2
	ds_read_b64 v[6:7], v6
	v_add_u32_e32 v8, 1, v4
	s_waitcnt lgkmcnt(0)
	v_cmp_lt_i64_e64 s[12:13], v[6:7], v[2:3]
	v_cndmask_b32_e64 v1, v1, v4, s[12:13]
	v_cndmask_b32_e64 v5, v8, v5, s[12:13]
	v_cmp_ge_i32_e64 s[12:13], v5, v1
	s_or_b64 s[16:17], s[12:13], s[16:17]
	s_andn2_b64 exec, exec, s[16:17]
	s_cbranch_execnz .LBB132_36
; %bb.37:                               ;   in Loop: Header=BB132_2 Depth=1
	s_or_b64 exec, exec, s[16:17]
.LBB132_38:                             ;   in Loop: Header=BB132_2 Depth=1
	s_or_b64 exec, exec, s[14:15]
	v_sub_u32_e32 v63, v51, v5
	v_lshl_add_u32 v7, v5, 3, v60
	v_lshlrev_b32_e32 v65, 3, v63
	ds_read_b64 v[1:2], v7
	ds_read_b64 v[3:4], v65
	v_add_u32_e32 v64, v5, v21
	v_cmp_le_i32_e64 s[16:17], v22, v64
	v_cmp_gt_i32_e64 s[12:13], v23, v63
                                        ; implicit-def: $vgpr5_vgpr6
	s_waitcnt lgkmcnt(0)
	v_cmp_lt_i64_e64 s[14:15], v[3:4], v[1:2]
	s_or_b64 s[14:15], s[16:17], s[14:15]
	s_and_b64 s[12:13], s[12:13], s[14:15]
	s_xor_b64 s[14:15], s[12:13], -1
	s_and_saveexec_b64 s[16:17], s[14:15]
	s_xor_b64 s[14:15], exec, s[16:17]
; %bb.39:                               ;   in Loop: Header=BB132_2 Depth=1
	ds_read_b64 v[5:6], v7 offset:8
                                        ; implicit-def: $vgpr65
; %bb.40:                               ;   in Loop: Header=BB132_2 Depth=1
	s_or_saveexec_b64 s[14:15], s[14:15]
	v_mov_b32_e32 v8, v4
	v_mov_b32_e32 v7, v3
	s_xor_b64 exec, exec, s[14:15]
	s_cbranch_execz .LBB132_42
; %bb.41:                               ;   in Loop: Header=BB132_2 Depth=1
	ds_read_b64 v[7:8], v65 offset:8
	s_waitcnt lgkmcnt(1)
	v_mov_b32_e32 v6, v2
	v_mov_b32_e32 v5, v1
.LBB132_42:                             ;   in Loop: Header=BB132_2 Depth=1
	s_or_b64 exec, exec, s[14:15]
	v_cndmask_b32_e64 v2, v2, v4, s[12:13]
	v_add_u32_e32 v4, 1, v64
	v_cndmask_b32_e64 v1, v1, v3, s[12:13]
	v_add_u32_e32 v3, 1, v63
	v_cndmask_b32_e64 v4, v4, v64, s[12:13]
	s_waitcnt lgkmcnt(0)
	v_cmp_lt_i64_e64 s[14:15], v[7:8], v[5:6]
	v_cndmask_b32_e64 v3, v63, v3, s[12:13]
	v_cmp_ge_i32_e64 s[16:17], v4, v22
	v_cmp_lt_i32_e64 s[12:13], v3, v23
	s_or_b64 s[14:15], s[16:17], s[14:15]
	s_and_b64 s[12:13], s[12:13], s[14:15]
	v_cndmask_b32_e64 v4, v6, v8, s[12:13]
	v_cndmask_b32_e64 v3, v5, v7, s[12:13]
	v_mov_b32_e32 v5, v37
	s_barrier
	ds_write2_b64 v55, v[1:2], v[3:4] offset1:1
	s_waitcnt lgkmcnt(0)
	s_barrier
	s_and_saveexec_b64 s[14:15], s[8:9]
	s_cbranch_execz .LBB132_46
; %bb.43:                               ;   in Loop: Header=BB132_2 Depth=1
	s_mov_b64 s[16:17], 0
	v_mov_b32_e32 v5, v37
	v_mov_b32_e32 v1, v38
.LBB132_44:                             ;   Parent Loop BB132_2 Depth=1
                                        ; =>  This Inner Loop Header: Depth=2
	v_sub_u32_e32 v2, v1, v5
	v_lshrrev_b32_e32 v2, 1, v2
	v_add_u32_e32 v4, v2, v5
	v_not_b32_e32 v3, v4
	v_lshl_add_u32 v2, v4, 3, v61
	v_lshl_add_u32 v6, v3, 3, v54
	ds_read_b64 v[2:3], v2
	ds_read_b64 v[6:7], v6
	v_add_u32_e32 v8, 1, v4
	s_waitcnt lgkmcnt(0)
	v_cmp_lt_i64_e64 s[12:13], v[6:7], v[2:3]
	v_cndmask_b32_e64 v1, v1, v4, s[12:13]
	v_cndmask_b32_e64 v5, v8, v5, s[12:13]
	v_cmp_ge_i32_e64 s[12:13], v5, v1
	s_or_b64 s[16:17], s[12:13], s[16:17]
	s_andn2_b64 exec, exec, s[16:17]
	s_cbranch_execnz .LBB132_44
; %bb.45:                               ;   in Loop: Header=BB132_2 Depth=1
	s_or_b64 exec, exec, s[16:17]
.LBB132_46:                             ;   in Loop: Header=BB132_2 Depth=1
	s_or_b64 exec, exec, s[14:15]
	v_sub_u32_e32 v63, v53, v5
	v_lshl_add_u32 v7, v5, 3, v61
	v_lshlrev_b32_e32 v65, 3, v63
	ds_read_b64 v[1:2], v7
	ds_read_b64 v[3:4], v65
	v_add_u32_e32 v64, v5, v24
	v_cmp_le_i32_e64 s[16:17], v25, v64
	v_cmp_gt_i32_e64 s[12:13], v26, v63
                                        ; implicit-def: $vgpr5_vgpr6
	s_waitcnt lgkmcnt(0)
	v_cmp_lt_i64_e64 s[14:15], v[3:4], v[1:2]
	s_or_b64 s[14:15], s[16:17], s[14:15]
	s_and_b64 s[12:13], s[12:13], s[14:15]
	s_xor_b64 s[14:15], s[12:13], -1
	s_and_saveexec_b64 s[16:17], s[14:15]
	s_xor_b64 s[14:15], exec, s[16:17]
; %bb.47:                               ;   in Loop: Header=BB132_2 Depth=1
	ds_read_b64 v[5:6], v7 offset:8
                                        ; implicit-def: $vgpr65
; %bb.48:                               ;   in Loop: Header=BB132_2 Depth=1
	s_or_saveexec_b64 s[14:15], s[14:15]
	v_mov_b32_e32 v8, v4
	v_mov_b32_e32 v7, v3
	s_xor_b64 exec, exec, s[14:15]
	s_cbranch_execz .LBB132_50
; %bb.49:                               ;   in Loop: Header=BB132_2 Depth=1
	ds_read_b64 v[7:8], v65 offset:8
	s_waitcnt lgkmcnt(1)
	v_mov_b32_e32 v6, v2
	v_mov_b32_e32 v5, v1
.LBB132_50:                             ;   in Loop: Header=BB132_2 Depth=1
	s_or_b64 exec, exec, s[14:15]
	v_cndmask_b32_e64 v2, v2, v4, s[12:13]
	v_add_u32_e32 v4, 1, v64
	v_cndmask_b32_e64 v1, v1, v3, s[12:13]
	v_add_u32_e32 v3, 1, v63
	v_cndmask_b32_e64 v4, v4, v64, s[12:13]
	s_waitcnt lgkmcnt(0)
	v_cmp_lt_i64_e64 s[14:15], v[7:8], v[5:6]
	v_cndmask_b32_e64 v3, v63, v3, s[12:13]
	v_cmp_ge_i32_e64 s[16:17], v4, v25
	v_cmp_lt_i32_e64 s[12:13], v3, v26
	s_or_b64 s[14:15], s[16:17], s[14:15]
	s_and_b64 s[12:13], s[12:13], s[14:15]
	v_cndmask_b32_e64 v4, v6, v8, s[12:13]
	v_cndmask_b32_e64 v3, v5, v7, s[12:13]
	v_mov_b32_e32 v63, v40
	s_barrier
	ds_write2_b64 v55, v[1:2], v[3:4] offset1:1
	s_waitcnt lgkmcnt(0)
	s_barrier
	s_and_saveexec_b64 s[14:15], s[10:11]
	s_cbranch_execz .LBB132_54
; %bb.51:                               ;   in Loop: Header=BB132_2 Depth=1
	s_mov_b64 s[16:17], 0
	v_mov_b32_e32 v63, v40
	v_mov_b32_e32 v1, v41
.LBB132_52:                             ;   Parent Loop BB132_2 Depth=1
                                        ; =>  This Inner Loop Header: Depth=2
	v_sub_u32_e32 v2, v1, v63
	v_lshrrev_b32_e32 v2, 1, v2
	v_add_u32_e32 v6, v2, v63
	v_not_b32_e32 v3, v6
	v_lshlrev_b32_e32 v2, 3, v6
	v_lshl_add_u32 v4, v3, 3, v62
	ds_read_b64 v[2:3], v2
	ds_read_b64 v[4:5], v4
	v_add_u32_e32 v7, 1, v6
	s_waitcnt lgkmcnt(0)
	v_cmp_lt_i64_e64 s[12:13], v[4:5], v[2:3]
	v_cndmask_b32_e64 v1, v1, v6, s[12:13]
	v_cndmask_b32_e64 v63, v7, v63, s[12:13]
	v_cmp_ge_i32_e64 s[12:13], v63, v1
	s_or_b64 s[16:17], s[12:13], s[16:17]
	s_andn2_b64 exec, exec, s[16:17]
	s_cbranch_execnz .LBB132_52
; %bb.53:                               ;   in Loop: Header=BB132_2 Depth=1
	s_or_b64 exec, exec, s[16:17]
.LBB132_54:                             ;   in Loop: Header=BB132_2 Depth=1
	s_or_b64 exec, exec, s[14:15]
	v_sub_u32_e32 v64, v42, v63
	v_lshlrev_b32_e32 v7, 3, v63
	v_lshlrev_b32_e32 v65, 3, v64
	ds_read_b64 v[1:2], v7
	ds_read_b64 v[3:4], v65
	v_cmp_le_i32_e64 s[16:17], v39, v63
	v_cmp_gt_i32_e64 s[12:13], s22, v64
                                        ; implicit-def: $vgpr5_vgpr6
	s_waitcnt lgkmcnt(0)
	v_cmp_lt_i64_e64 s[14:15], v[3:4], v[1:2]
	s_or_b64 s[14:15], s[16:17], s[14:15]
	s_and_b64 s[12:13], s[12:13], s[14:15]
	s_xor_b64 s[14:15], s[12:13], -1
	s_and_saveexec_b64 s[16:17], s[14:15]
	s_xor_b64 s[14:15], exec, s[16:17]
; %bb.55:                               ;   in Loop: Header=BB132_2 Depth=1
	ds_read_b64 v[5:6], v7 offset:8
	v_add_u32_e32 v63, 1, v63
                                        ; implicit-def: $vgpr65
; %bb.56:                               ;   in Loop: Header=BB132_2 Depth=1
	s_or_saveexec_b64 s[14:15], s[14:15]
	v_mov_b32_e32 v8, v4
	v_mov_b32_e32 v7, v3
	s_xor_b64 exec, exec, s[14:15]
	s_cbranch_execz .LBB132_1
; %bb.57:                               ;   in Loop: Header=BB132_2 Depth=1
	ds_read_b64 v[7:8], v65 offset:8
	s_waitcnt lgkmcnt(1)
	v_mov_b32_e32 v6, v2
	v_add_u32_e32 v64, 1, v64
	v_mov_b32_e32 v5, v1
	s_branch .LBB132_1
.LBB132_58:
	s_add_u32 s0, s18, s20
	s_addc_u32 s1, s19, s21
	v_lshlrev_b32_e32 v0, 3, v0
	global_store_dwordx2 v0, v[1:2], s[0:1]
	global_store_dwordx2 v0, v[3:4], s[0:1] offset:1024
	s_endpgm
	.section	.rodata,"a",@progbits
	.p2align	6, 0x0
	.amdhsa_kernel _Z16sort_keys_kernelIxLj128ELj2EN10test_utils4lessELj10EEvPKT_PS2_T2_
		.amdhsa_group_segment_fixed_size 2056
		.amdhsa_private_segment_fixed_size 0
		.amdhsa_kernarg_size 20
		.amdhsa_user_sgpr_count 6
		.amdhsa_user_sgpr_private_segment_buffer 1
		.amdhsa_user_sgpr_dispatch_ptr 0
		.amdhsa_user_sgpr_queue_ptr 0
		.amdhsa_user_sgpr_kernarg_segment_ptr 1
		.amdhsa_user_sgpr_dispatch_id 0
		.amdhsa_user_sgpr_flat_scratch_init 0
		.amdhsa_user_sgpr_private_segment_size 0
		.amdhsa_uses_dynamic_stack 0
		.amdhsa_system_sgpr_private_segment_wavefront_offset 0
		.amdhsa_system_sgpr_workgroup_id_x 1
		.amdhsa_system_sgpr_workgroup_id_y 0
		.amdhsa_system_sgpr_workgroup_id_z 0
		.amdhsa_system_sgpr_workgroup_info 0
		.amdhsa_system_vgpr_workitem_id 0
		.amdhsa_next_free_vgpr 66
		.amdhsa_next_free_sgpr 61
		.amdhsa_reserve_vcc 1
		.amdhsa_reserve_flat_scratch 0
		.amdhsa_float_round_mode_32 0
		.amdhsa_float_round_mode_16_64 0
		.amdhsa_float_denorm_mode_32 3
		.amdhsa_float_denorm_mode_16_64 3
		.amdhsa_dx10_clamp 1
		.amdhsa_ieee_mode 1
		.amdhsa_fp16_overflow 0
		.amdhsa_exception_fp_ieee_invalid_op 0
		.amdhsa_exception_fp_denorm_src 0
		.amdhsa_exception_fp_ieee_div_zero 0
		.amdhsa_exception_fp_ieee_overflow 0
		.amdhsa_exception_fp_ieee_underflow 0
		.amdhsa_exception_fp_ieee_inexact 0
		.amdhsa_exception_int_div_zero 0
	.end_amdhsa_kernel
	.section	.text._Z16sort_keys_kernelIxLj128ELj2EN10test_utils4lessELj10EEvPKT_PS2_T2_,"axG",@progbits,_Z16sort_keys_kernelIxLj128ELj2EN10test_utils4lessELj10EEvPKT_PS2_T2_,comdat
.Lfunc_end132:
	.size	_Z16sort_keys_kernelIxLj128ELj2EN10test_utils4lessELj10EEvPKT_PS2_T2_, .Lfunc_end132-_Z16sort_keys_kernelIxLj128ELj2EN10test_utils4lessELj10EEvPKT_PS2_T2_
                                        ; -- End function
	.set _Z16sort_keys_kernelIxLj128ELj2EN10test_utils4lessELj10EEvPKT_PS2_T2_.num_vgpr, 66
	.set _Z16sort_keys_kernelIxLj128ELj2EN10test_utils4lessELj10EEvPKT_PS2_T2_.num_agpr, 0
	.set _Z16sort_keys_kernelIxLj128ELj2EN10test_utils4lessELj10EEvPKT_PS2_T2_.numbered_sgpr, 24
	.set _Z16sort_keys_kernelIxLj128ELj2EN10test_utils4lessELj10EEvPKT_PS2_T2_.num_named_barrier, 0
	.set _Z16sort_keys_kernelIxLj128ELj2EN10test_utils4lessELj10EEvPKT_PS2_T2_.private_seg_size, 0
	.set _Z16sort_keys_kernelIxLj128ELj2EN10test_utils4lessELj10EEvPKT_PS2_T2_.uses_vcc, 1
	.set _Z16sort_keys_kernelIxLj128ELj2EN10test_utils4lessELj10EEvPKT_PS2_T2_.uses_flat_scratch, 0
	.set _Z16sort_keys_kernelIxLj128ELj2EN10test_utils4lessELj10EEvPKT_PS2_T2_.has_dyn_sized_stack, 0
	.set _Z16sort_keys_kernelIxLj128ELj2EN10test_utils4lessELj10EEvPKT_PS2_T2_.has_recursion, 0
	.set _Z16sort_keys_kernelIxLj128ELj2EN10test_utils4lessELj10EEvPKT_PS2_T2_.has_indirect_call, 0
	.section	.AMDGPU.csdata,"",@progbits
; Kernel info:
; codeLenInByte = 3316
; TotalNumSgprs: 28
; NumVgprs: 66
; ScratchSize: 0
; MemoryBound: 0
; FloatMode: 240
; IeeeMode: 1
; LDSByteSize: 2056 bytes/workgroup (compile time only)
; SGPRBlocks: 8
; VGPRBlocks: 16
; NumSGPRsForWavesPerEU: 65
; NumVGPRsForWavesPerEU: 66
; Occupancy: 3
; WaveLimiterHint : 1
; COMPUTE_PGM_RSRC2:SCRATCH_EN: 0
; COMPUTE_PGM_RSRC2:USER_SGPR: 6
; COMPUTE_PGM_RSRC2:TRAP_HANDLER: 0
; COMPUTE_PGM_RSRC2:TGID_X_EN: 1
; COMPUTE_PGM_RSRC2:TGID_Y_EN: 0
; COMPUTE_PGM_RSRC2:TGID_Z_EN: 0
; COMPUTE_PGM_RSRC2:TIDIG_COMP_CNT: 0
	.section	.text._Z17sort_pairs_kernelIxLj128ELj2EN10test_utils4lessELj10EEvPKT_PS2_T2_,"axG",@progbits,_Z17sort_pairs_kernelIxLj128ELj2EN10test_utils4lessELj10EEvPKT_PS2_T2_,comdat
	.protected	_Z17sort_pairs_kernelIxLj128ELj2EN10test_utils4lessELj10EEvPKT_PS2_T2_ ; -- Begin function _Z17sort_pairs_kernelIxLj128ELj2EN10test_utils4lessELj10EEvPKT_PS2_T2_
	.globl	_Z17sort_pairs_kernelIxLj128ELj2EN10test_utils4lessELj10EEvPKT_PS2_T2_
	.p2align	8
	.type	_Z17sort_pairs_kernelIxLj128ELj2EN10test_utils4lessELj10EEvPKT_PS2_T2_,@function
_Z17sort_pairs_kernelIxLj128ELj2EN10test_utils4lessELj10EEvPKT_PS2_T2_: ; @_Z17sort_pairs_kernelIxLj128ELj2EN10test_utils4lessELj10EEvPKT_PS2_T2_
; %bb.0:
	s_load_dwordx4 s[20:23], s[4:5], 0x0
	s_lshl_b32 s26, s6, 8
	s_mov_b32 s27, 0
	s_lshl_b64 s[24:25], s[26:27], 3
	v_lshlrev_b32_e32 v1, 3, v0
	s_waitcnt lgkmcnt(0)
	s_add_u32 s0, s20, s24
	s_addc_u32 s1, s21, s25
	global_load_dwordx2 v[5:6], v1, s[0:1]
	global_load_dwordx2 v[7:8], v1, s[0:1] offset:1024
	v_lshlrev_b32_e32 v9, 1, v0
	v_and_b32_e32 v14, 0xfc, v9
	v_and_b32_e32 v15, 0xf8, v9
	v_or_b32_e32 v21, 2, v14
	v_add_u32_e32 v22, 4, v14
	v_and_b32_e32 v10, 2, v9
	v_and_b32_e32 v16, 0xf0, v9
	v_or_b32_e32 v23, 4, v15
	v_add_u32_e32 v24, 8, v15
	v_sub_u32_e32 v1, v22, v21
	v_and_b32_e32 v11, 6, v9
	v_and_b32_e32 v17, 0xe0, v9
	v_or_b32_e32 v25, 8, v16
	v_add_u32_e32 v26, 16, v16
	v_sub_u32_e32 v2, v24, v23
	v_sub_u32_e32 v39, v10, v1
	v_cmp_ge_i32_e32 vcc, v10, v1
	v_and_b32_e32 v12, 14, v9
	v_and_b32_e32 v18, 0xc0, v9
	v_or_b32_e32 v27, 16, v17
	v_add_u32_e32 v28, 32, v17
	v_sub_u32_e32 v3, v26, v25
	v_sub_u32_e32 v40, v11, v2
	v_cndmask_b32_e32 v39, 0, v39, vcc
	v_cmp_ge_i32_e32 vcc, v11, v2
	v_and_b32_e32 v54, 30, v9
	v_and_b32_e32 v19, 0x80, v9
	v_or_b32_e32 v29, 32, v18
	v_add_u32_e32 v30, 64, v18
	v_sub_u32_e32 v4, v28, v27
	v_sub_u32_e32 v41, v12, v3
	v_cndmask_b32_e32 v40, 0, v40, vcc
	v_cmp_ge_i32_e32 vcc, v12, v3
	v_and_b32_e32 v56, 62, v9
	v_or_b32_e32 v31, 64, v19
	v_add_u32_e32 v32, 0x80, v19
	v_sub_u32_e32 v43, v30, v29
	v_sub_u32_e32 v42, v54, v4
	v_cndmask_b32_e32 v41, 0, v41, vcc
	v_cmp_ge_i32_e32 vcc, v54, v4
	v_and_b32_e32 v58, 0x7e, v9
	v_sub_u32_e32 v44, v32, v31
	v_sub_u32_e32 v45, v56, v43
	v_cndmask_b32_e32 v42, 0, v42, vcc
	v_cmp_ge_i32_e32 vcc, v56, v43
	v_mov_b32_e32 v13, 0x80
	v_sub_u32_e32 v46, v58, v44
	v_cndmask_b32_e32 v43, 0, v45, vcc
	v_cmp_ge_i32_e32 vcc, v58, v44
	v_sub_u32_e64 v20, v9, v13 clamp
	v_cndmask_b32_e32 v44, 0, v46, vcc
	v_min_i32_e32 v45, 0x80, v9
	v_add_u32_e32 v46, 0x80, v9
	v_lshlrev_b32_e32 v9, 3, v10
	v_lshl_add_u32 v48, v21, 3, v9
	v_lshlrev_b32_e32 v9, 3, v11
	v_lshl_add_u32 v50, v23, 3, v9
	v_lshlrev_b32_e32 v9, 3, v12
	v_sub_u32_e32 v36, v27, v17
	v_lshl_add_u32 v52, v25, 3, v9
	v_lshlrev_b32_e32 v9, 3, v54
	v_sub_u32_e32 v33, v21, v14
	v_sub_u32_e32 v34, v23, v15
	;; [unrolled: 1-line block ×5, first 2 shown]
	v_min_i32_e32 v36, v54, v36
	v_add_u32_e32 v53, v27, v54
	v_lshl_add_u32 v54, v27, 3, v9
	v_lshlrev_b32_e32 v9, 3, v56
	v_min_i32_e32 v33, v10, v33
	v_min_i32_e32 v34, v11, v34
	;; [unrolled: 1-line block ×5, first 2 shown]
	v_add_u32_e32 v55, v29, v56
	v_lshl_add_u32 v56, v29, 3, v9
	v_lshlrev_b32_e32 v9, 3, v58
	s_waitcnt vmcnt(1)
	v_add_co_u32_e64 v3, s[10:11], 1, v5
	v_addc_co_u32_e64 v4, s[10:11], 0, v6, s[10:11]
	s_waitcnt vmcnt(0)
	v_add_co_u32_e64 v1, s[10:11], 1, v7
	v_addc_co_u32_e64 v2, s[10:11], 0, v8, s[10:11]
	v_lshlrev_b32_e32 v59, 4, v0
	v_cmp_lt_i32_e32 vcc, v39, v33
	v_cmp_lt_i32_e64 s[0:1], v40, v34
	v_cmp_lt_i32_e64 s[2:3], v41, v35
	;; [unrolled: 1-line block ×6, first 2 shown]
	v_add_u32_e32 v47, v21, v10
	v_add_u32_e32 v49, v23, v11
	;; [unrolled: 1-line block ×4, first 2 shown]
	v_lshl_add_u32 v58, v31, 3, v9
	s_movk_i32 s20, 0x100
	v_lshlrev_b32_e32 v60, 3, v14
	v_lshlrev_b32_e32 v61, 3, v15
	;; [unrolled: 1-line block ×6, first 2 shown]
	v_add_u32_e32 v66, 0x400, v59
	s_branch .LBB133_2
.LBB133_1:                              ;   in Loop: Header=BB133_2 Depth=1
	s_or_b64 exec, exec, s[14:15]
	s_waitcnt lgkmcnt(0)
	v_cmp_lt_i64_e64 s[16:17], v[11:12], v[9:10]
	v_cmp_ge_i32_e64 s[18:19], v69, v13
	v_cmp_gt_i32_e64 s[14:15], s20, v68
	s_or_b64 s[16:17], s[18:19], s[16:17]
	s_and_b64 s[14:15], s[14:15], s[16:17]
	v_cndmask_b32_e64 v6, v6, v8, s[12:13]
	v_cndmask_b32_e64 v8, v10, v12, s[14:15]
	;; [unrolled: 1-line block ×3, first 2 shown]
	s_barrier
	ds_write2_b64 v59, v[1:2], v[3:4] offset1:1
	v_lshlrev_b32_e32 v1, 3, v70
	v_lshlrev_b32_e32 v2, 3, v10
	s_waitcnt lgkmcnt(0)
	s_barrier
	ds_read_b64 v[3:4], v1
	ds_read_b64 v[1:2], v2
	s_add_i32 s27, s27, 1
	v_cndmask_b32_e64 v5, v5, v7, s[12:13]
	s_cmp_eq_u32 s27, 10
	v_cndmask_b32_e64 v7, v9, v11, s[14:15]
	s_cbranch_scc1 .LBB133_58
.LBB133_2:                              ; =>This Loop Header: Depth=1
                                        ;     Child Loop BB133_4 Depth 2
                                        ;     Child Loop BB133_12 Depth 2
	;; [unrolled: 1-line block ×7, first 2 shown]
	v_cmp_lt_i64_e64 s[12:13], v[7:8], v[5:6]
	v_cndmask_b32_e64 v10, v8, v6, s[12:13]
	v_cndmask_b32_e64 v9, v7, v5, s[12:13]
	;; [unrolled: 1-line block ×4, first 2 shown]
	s_waitcnt lgkmcnt(0)
	s_barrier
	ds_write2_b64 v59, v[5:6], v[9:10] offset1:1
	v_mov_b32_e32 v5, v39
	s_waitcnt lgkmcnt(0)
	s_barrier
	s_and_saveexec_b64 s[16:17], vcc
	s_cbranch_execz .LBB133_6
; %bb.3:                                ;   in Loop: Header=BB133_2 Depth=1
	s_mov_b64 s[18:19], 0
	v_mov_b32_e32 v5, v39
	v_mov_b32_e32 v6, v33
.LBB133_4:                              ;   Parent Loop BB133_2 Depth=1
                                        ; =>  This Inner Loop Header: Depth=2
	v_sub_u32_e32 v7, v6, v5
	v_lshrrev_b32_e32 v7, 1, v7
	v_add_u32_e32 v11, v7, v5
	v_not_b32_e32 v8, v11
	v_lshl_add_u32 v7, v11, 3, v60
	v_lshl_add_u32 v9, v8, 3, v48
	ds_read_b64 v[7:8], v7
	ds_read_b64 v[9:10], v9
	v_add_u32_e32 v12, 1, v11
	s_waitcnt lgkmcnt(0)
	v_cmp_lt_i64_e64 s[14:15], v[9:10], v[7:8]
	v_cndmask_b32_e64 v6, v6, v11, s[14:15]
	v_cndmask_b32_e64 v5, v12, v5, s[14:15]
	v_cmp_ge_i32_e64 s[14:15], v5, v6
	s_or_b64 s[18:19], s[14:15], s[18:19]
	s_andn2_b64 exec, exec, s[18:19]
	s_cbranch_execnz .LBB133_4
; %bb.5:                                ;   in Loop: Header=BB133_2 Depth=1
	s_or_b64 exec, exec, s[18:19]
.LBB133_6:                              ;   in Loop: Header=BB133_2 Depth=1
	s_or_b64 exec, exec, s[16:17]
	v_sub_u32_e32 v67, v47, v5
	v_lshl_add_u32 v11, v5, 3, v60
	v_lshlrev_b32_e32 v69, 3, v67
	ds_read_b64 v[7:8], v11
	ds_read_b64 v[9:10], v69
	v_add_u32_e32 v68, v5, v14
	v_cmp_le_i32_e64 s[18:19], v21, v68
	v_cmp_gt_i32_e64 s[14:15], v22, v67
                                        ; implicit-def: $vgpr5_vgpr6
	s_waitcnt lgkmcnt(0)
	v_cmp_lt_i64_e64 s[16:17], v[9:10], v[7:8]
	s_or_b64 s[16:17], s[18:19], s[16:17]
	s_and_b64 s[14:15], s[14:15], s[16:17]
	s_xor_b64 s[16:17], s[14:15], -1
	s_and_saveexec_b64 s[18:19], s[16:17]
	s_xor_b64 s[16:17], exec, s[18:19]
; %bb.7:                                ;   in Loop: Header=BB133_2 Depth=1
	ds_read_b64 v[5:6], v11 offset:8
                                        ; implicit-def: $vgpr69
; %bb.8:                                ;   in Loop: Header=BB133_2 Depth=1
	s_or_saveexec_b64 s[16:17], s[16:17]
	v_mov_b32_e32 v12, v10
	v_mov_b32_e32 v11, v9
	s_xor_b64 exec, exec, s[16:17]
	s_cbranch_execz .LBB133_10
; %bb.9:                                ;   in Loop: Header=BB133_2 Depth=1
	ds_read_b64 v[11:12], v69 offset:8
	s_waitcnt lgkmcnt(1)
	v_mov_b32_e32 v5, v7
	v_mov_b32_e32 v6, v8
.LBB133_10:                             ;   in Loop: Header=BB133_2 Depth=1
	s_or_b64 exec, exec, s[16:17]
	v_cndmask_b32_e64 v8, v8, v10, s[14:15]
	v_cndmask_b32_e64 v7, v7, v9, s[14:15]
	v_add_u32_e32 v9, 1, v67
	v_add_u32_e32 v10, 1, v68
	v_cndmask_b32_e64 v69, v67, v9, s[14:15]
	v_cndmask_b32_e64 v70, v10, v68, s[14:15]
	;; [unrolled: 1-line block ×3, first 2 shown]
	s_waitcnt lgkmcnt(0)
	v_cmp_lt_i64_e64 s[14:15], v[11:12], v[5:6]
	v_cmp_ge_i32_e64 s[16:17], v70, v21
	v_cndmask_b32_e64 v10, v2, v4, s[12:13]
	v_cndmask_b32_e64 v9, v1, v3, s[12:13]
	;; [unrolled: 1-line block ×4, first 2 shown]
	v_cmp_lt_i32_e64 s[12:13], v69, v22
	s_or_b64 s[14:15], s[16:17], s[14:15]
	s_and_b64 s[12:13], s[12:13], s[14:15]
	v_cndmask_b32_e64 v3, v70, v69, s[12:13]
	s_barrier
	ds_write2_b64 v59, v[1:2], v[9:10] offset1:1
	v_lshlrev_b32_e32 v1, 3, v67
	v_lshlrev_b32_e32 v3, 3, v3
	s_waitcnt lgkmcnt(0)
	s_barrier
	ds_read_b64 v[1:2], v1
	ds_read_b64 v[3:4], v3
	v_cndmask_b32_e64 v6, v6, v12, s[12:13]
	v_cndmask_b32_e64 v5, v5, v11, s[12:13]
	s_waitcnt lgkmcnt(0)
	s_barrier
	ds_write2_b64 v59, v[7:8], v[5:6] offset1:1
	v_mov_b32_e32 v7, v40
	s_waitcnt lgkmcnt(0)
	s_barrier
	s_and_saveexec_b64 s[14:15], s[0:1]
	s_cbranch_execz .LBB133_14
; %bb.11:                               ;   in Loop: Header=BB133_2 Depth=1
	s_mov_b64 s[16:17], 0
	v_mov_b32_e32 v7, v40
	v_mov_b32_e32 v5, v34
.LBB133_12:                             ;   Parent Loop BB133_2 Depth=1
                                        ; =>  This Inner Loop Header: Depth=2
	v_sub_u32_e32 v6, v5, v7
	v_lshrrev_b32_e32 v6, 1, v6
	v_add_u32_e32 v6, v6, v7
	v_not_b32_e32 v9, v6
	v_lshl_add_u32 v8, v6, 3, v61
	v_lshl_add_u32 v10, v9, 3, v50
	ds_read_b64 v[8:9], v8
	ds_read_b64 v[10:11], v10
	v_add_u32_e32 v12, 1, v6
	s_waitcnt lgkmcnt(0)
	v_cmp_lt_i64_e64 s[12:13], v[10:11], v[8:9]
	v_cndmask_b32_e64 v5, v5, v6, s[12:13]
	v_cndmask_b32_e64 v7, v12, v7, s[12:13]
	v_cmp_ge_i32_e64 s[12:13], v7, v5
	s_or_b64 s[16:17], s[12:13], s[16:17]
	s_andn2_b64 exec, exec, s[16:17]
	s_cbranch_execnz .LBB133_12
; %bb.13:                               ;   in Loop: Header=BB133_2 Depth=1
	s_or_b64 exec, exec, s[16:17]
.LBB133_14:                             ;   in Loop: Header=BB133_2 Depth=1
	s_or_b64 exec, exec, s[14:15]
	v_sub_u32_e32 v67, v49, v7
	v_lshl_add_u32 v11, v7, 3, v61
	v_lshlrev_b32_e32 v69, 3, v67
	ds_read_b64 v[5:6], v11
	ds_read_b64 v[9:10], v69
	v_add_u32_e32 v68, v7, v15
	v_cmp_le_i32_e64 s[16:17], v23, v68
	v_cmp_gt_i32_e64 s[12:13], v24, v67
                                        ; implicit-def: $vgpr7_vgpr8
	s_waitcnt lgkmcnt(0)
	v_cmp_lt_i64_e64 s[14:15], v[9:10], v[5:6]
	s_or_b64 s[14:15], s[16:17], s[14:15]
	s_and_b64 s[12:13], s[12:13], s[14:15]
	s_xor_b64 s[14:15], s[12:13], -1
	s_and_saveexec_b64 s[16:17], s[14:15]
	s_xor_b64 s[14:15], exec, s[16:17]
; %bb.15:                               ;   in Loop: Header=BB133_2 Depth=1
	ds_read_b64 v[7:8], v11 offset:8
                                        ; implicit-def: $vgpr69
; %bb.16:                               ;   in Loop: Header=BB133_2 Depth=1
	s_or_saveexec_b64 s[14:15], s[14:15]
	v_mov_b32_e32 v12, v10
	v_mov_b32_e32 v11, v9
	s_xor_b64 exec, exec, s[14:15]
	s_cbranch_execz .LBB133_18
; %bb.17:                               ;   in Loop: Header=BB133_2 Depth=1
	ds_read_b64 v[11:12], v69 offset:8
	s_waitcnt lgkmcnt(1)
	v_mov_b32_e32 v8, v6
	v_mov_b32_e32 v7, v5
.LBB133_18:                             ;   in Loop: Header=BB133_2 Depth=1
	s_or_b64 exec, exec, s[14:15]
	v_cndmask_b32_e64 v6, v6, v10, s[12:13]
	v_add_u32_e32 v10, 1, v68
	v_cndmask_b32_e64 v5, v5, v9, s[12:13]
	v_add_u32_e32 v9, 1, v67
	v_cndmask_b32_e64 v10, v10, v68, s[12:13]
	s_waitcnt lgkmcnt(0)
	v_cmp_lt_i64_e64 s[14:15], v[11:12], v[7:8]
	v_cndmask_b32_e64 v9, v67, v9, s[12:13]
	v_cmp_ge_i32_e64 s[16:17], v10, v23
	v_cndmask_b32_e64 v67, v68, v67, s[12:13]
	v_cmp_lt_i32_e64 s[12:13], v9, v24
	s_or_b64 s[14:15], s[16:17], s[14:15]
	s_and_b64 s[12:13], s[12:13], s[14:15]
	v_cndmask_b32_e64 v9, v10, v9, s[12:13]
	s_barrier
	ds_write2_b64 v59, v[1:2], v[3:4] offset1:1
	v_lshlrev_b32_e32 v1, 3, v67
	v_lshlrev_b32_e32 v3, 3, v9
	s_waitcnt lgkmcnt(0)
	s_barrier
	ds_read_b64 v[1:2], v1
	ds_read_b64 v[3:4], v3
	v_cndmask_b32_e64 v8, v8, v12, s[12:13]
	v_cndmask_b32_e64 v7, v7, v11, s[12:13]
	s_waitcnt lgkmcnt(0)
	s_barrier
	ds_write2_b64 v59, v[5:6], v[7:8] offset1:1
	v_mov_b32_e32 v7, v41
	s_waitcnt lgkmcnt(0)
	s_barrier
	s_and_saveexec_b64 s[14:15], s[2:3]
	s_cbranch_execz .LBB133_22
; %bb.19:                               ;   in Loop: Header=BB133_2 Depth=1
	s_mov_b64 s[16:17], 0
	v_mov_b32_e32 v7, v41
	v_mov_b32_e32 v5, v35
.LBB133_20:                             ;   Parent Loop BB133_2 Depth=1
                                        ; =>  This Inner Loop Header: Depth=2
	v_sub_u32_e32 v6, v5, v7
	v_lshrrev_b32_e32 v6, 1, v6
	v_add_u32_e32 v6, v6, v7
	v_not_b32_e32 v9, v6
	v_lshl_add_u32 v8, v6, 3, v62
	v_lshl_add_u32 v10, v9, 3, v52
	ds_read_b64 v[8:9], v8
	ds_read_b64 v[10:11], v10
	v_add_u32_e32 v12, 1, v6
	s_waitcnt lgkmcnt(0)
	v_cmp_lt_i64_e64 s[12:13], v[10:11], v[8:9]
	v_cndmask_b32_e64 v5, v5, v6, s[12:13]
	v_cndmask_b32_e64 v7, v12, v7, s[12:13]
	v_cmp_ge_i32_e64 s[12:13], v7, v5
	s_or_b64 s[16:17], s[12:13], s[16:17]
	s_andn2_b64 exec, exec, s[16:17]
	s_cbranch_execnz .LBB133_20
; %bb.21:                               ;   in Loop: Header=BB133_2 Depth=1
	s_or_b64 exec, exec, s[16:17]
.LBB133_22:                             ;   in Loop: Header=BB133_2 Depth=1
	s_or_b64 exec, exec, s[14:15]
	v_sub_u32_e32 v67, v51, v7
	v_lshl_add_u32 v11, v7, 3, v62
	v_lshlrev_b32_e32 v69, 3, v67
	ds_read_b64 v[5:6], v11
	ds_read_b64 v[9:10], v69
	v_add_u32_e32 v68, v7, v16
	v_cmp_le_i32_e64 s[16:17], v25, v68
	v_cmp_gt_i32_e64 s[12:13], v26, v67
                                        ; implicit-def: $vgpr7_vgpr8
	s_waitcnt lgkmcnt(0)
	v_cmp_lt_i64_e64 s[14:15], v[9:10], v[5:6]
	s_or_b64 s[14:15], s[16:17], s[14:15]
	s_and_b64 s[12:13], s[12:13], s[14:15]
	s_xor_b64 s[14:15], s[12:13], -1
	s_and_saveexec_b64 s[16:17], s[14:15]
	s_xor_b64 s[14:15], exec, s[16:17]
; %bb.23:                               ;   in Loop: Header=BB133_2 Depth=1
	ds_read_b64 v[7:8], v11 offset:8
                                        ; implicit-def: $vgpr69
; %bb.24:                               ;   in Loop: Header=BB133_2 Depth=1
	s_or_saveexec_b64 s[14:15], s[14:15]
	v_mov_b32_e32 v12, v10
	v_mov_b32_e32 v11, v9
	s_xor_b64 exec, exec, s[14:15]
	s_cbranch_execz .LBB133_26
; %bb.25:                               ;   in Loop: Header=BB133_2 Depth=1
	ds_read_b64 v[11:12], v69 offset:8
	s_waitcnt lgkmcnt(1)
	v_mov_b32_e32 v8, v6
	v_mov_b32_e32 v7, v5
.LBB133_26:                             ;   in Loop: Header=BB133_2 Depth=1
	s_or_b64 exec, exec, s[14:15]
	v_cndmask_b32_e64 v6, v6, v10, s[12:13]
	v_add_u32_e32 v10, 1, v68
	v_cndmask_b32_e64 v5, v5, v9, s[12:13]
	v_add_u32_e32 v9, 1, v67
	v_cndmask_b32_e64 v10, v10, v68, s[12:13]
	s_waitcnt lgkmcnt(0)
	v_cmp_lt_i64_e64 s[14:15], v[11:12], v[7:8]
	v_cndmask_b32_e64 v9, v67, v9, s[12:13]
	v_cmp_ge_i32_e64 s[16:17], v10, v25
	v_cndmask_b32_e64 v67, v68, v67, s[12:13]
	v_cmp_lt_i32_e64 s[12:13], v9, v26
	s_or_b64 s[14:15], s[16:17], s[14:15]
	s_and_b64 s[12:13], s[12:13], s[14:15]
	v_cndmask_b32_e64 v9, v10, v9, s[12:13]
	s_barrier
	ds_write2_b64 v59, v[1:2], v[3:4] offset1:1
	v_lshlrev_b32_e32 v1, 3, v67
	v_lshlrev_b32_e32 v3, 3, v9
	s_waitcnt lgkmcnt(0)
	s_barrier
	ds_read_b64 v[1:2], v1
	ds_read_b64 v[3:4], v3
	v_cndmask_b32_e64 v8, v8, v12, s[12:13]
	v_cndmask_b32_e64 v7, v7, v11, s[12:13]
	s_waitcnt lgkmcnt(0)
	s_barrier
	ds_write2_b64 v59, v[5:6], v[7:8] offset1:1
	v_mov_b32_e32 v7, v42
	s_waitcnt lgkmcnt(0)
	s_barrier
	s_and_saveexec_b64 s[14:15], s[4:5]
	s_cbranch_execz .LBB133_30
; %bb.27:                               ;   in Loop: Header=BB133_2 Depth=1
	s_mov_b64 s[16:17], 0
	v_mov_b32_e32 v7, v42
	v_mov_b32_e32 v5, v36
.LBB133_28:                             ;   Parent Loop BB133_2 Depth=1
                                        ; =>  This Inner Loop Header: Depth=2
	v_sub_u32_e32 v6, v5, v7
	v_lshrrev_b32_e32 v6, 1, v6
	v_add_u32_e32 v6, v6, v7
	v_not_b32_e32 v9, v6
	v_lshl_add_u32 v8, v6, 3, v63
	v_lshl_add_u32 v10, v9, 3, v54
	ds_read_b64 v[8:9], v8
	ds_read_b64 v[10:11], v10
	v_add_u32_e32 v12, 1, v6
	s_waitcnt lgkmcnt(0)
	v_cmp_lt_i64_e64 s[12:13], v[10:11], v[8:9]
	v_cndmask_b32_e64 v5, v5, v6, s[12:13]
	v_cndmask_b32_e64 v7, v12, v7, s[12:13]
	v_cmp_ge_i32_e64 s[12:13], v7, v5
	s_or_b64 s[16:17], s[12:13], s[16:17]
	s_andn2_b64 exec, exec, s[16:17]
	s_cbranch_execnz .LBB133_28
; %bb.29:                               ;   in Loop: Header=BB133_2 Depth=1
	s_or_b64 exec, exec, s[16:17]
.LBB133_30:                             ;   in Loop: Header=BB133_2 Depth=1
	s_or_b64 exec, exec, s[14:15]
	v_sub_u32_e32 v67, v53, v7
	v_lshl_add_u32 v11, v7, 3, v63
	v_lshlrev_b32_e32 v69, 3, v67
	ds_read_b64 v[5:6], v11
	ds_read_b64 v[9:10], v69
	v_add_u32_e32 v68, v7, v17
	v_cmp_le_i32_e64 s[16:17], v27, v68
	v_cmp_gt_i32_e64 s[12:13], v28, v67
                                        ; implicit-def: $vgpr7_vgpr8
	s_waitcnt lgkmcnt(0)
	v_cmp_lt_i64_e64 s[14:15], v[9:10], v[5:6]
	s_or_b64 s[14:15], s[16:17], s[14:15]
	s_and_b64 s[12:13], s[12:13], s[14:15]
	s_xor_b64 s[14:15], s[12:13], -1
	s_and_saveexec_b64 s[16:17], s[14:15]
	s_xor_b64 s[14:15], exec, s[16:17]
; %bb.31:                               ;   in Loop: Header=BB133_2 Depth=1
	ds_read_b64 v[7:8], v11 offset:8
                                        ; implicit-def: $vgpr69
; %bb.32:                               ;   in Loop: Header=BB133_2 Depth=1
	s_or_saveexec_b64 s[14:15], s[14:15]
	v_mov_b32_e32 v12, v10
	v_mov_b32_e32 v11, v9
	s_xor_b64 exec, exec, s[14:15]
	s_cbranch_execz .LBB133_34
; %bb.33:                               ;   in Loop: Header=BB133_2 Depth=1
	ds_read_b64 v[11:12], v69 offset:8
	s_waitcnt lgkmcnt(1)
	v_mov_b32_e32 v8, v6
	v_mov_b32_e32 v7, v5
.LBB133_34:                             ;   in Loop: Header=BB133_2 Depth=1
	s_or_b64 exec, exec, s[14:15]
	v_cndmask_b32_e64 v6, v6, v10, s[12:13]
	v_add_u32_e32 v10, 1, v68
	v_cndmask_b32_e64 v5, v5, v9, s[12:13]
	v_add_u32_e32 v9, 1, v67
	v_cndmask_b32_e64 v10, v10, v68, s[12:13]
	s_waitcnt lgkmcnt(0)
	v_cmp_lt_i64_e64 s[14:15], v[11:12], v[7:8]
	v_cndmask_b32_e64 v9, v67, v9, s[12:13]
	v_cmp_ge_i32_e64 s[16:17], v10, v27
	v_cndmask_b32_e64 v67, v68, v67, s[12:13]
	v_cmp_lt_i32_e64 s[12:13], v9, v28
	s_or_b64 s[14:15], s[16:17], s[14:15]
	s_and_b64 s[12:13], s[12:13], s[14:15]
	v_cndmask_b32_e64 v9, v10, v9, s[12:13]
	s_barrier
	ds_write2_b64 v59, v[1:2], v[3:4] offset1:1
	v_lshlrev_b32_e32 v1, 3, v67
	v_lshlrev_b32_e32 v3, 3, v9
	s_waitcnt lgkmcnt(0)
	s_barrier
	ds_read_b64 v[1:2], v1
	ds_read_b64 v[3:4], v3
	v_cndmask_b32_e64 v8, v8, v12, s[12:13]
	v_cndmask_b32_e64 v7, v7, v11, s[12:13]
	s_waitcnt lgkmcnt(0)
	s_barrier
	ds_write2_b64 v59, v[5:6], v[7:8] offset1:1
	v_mov_b32_e32 v7, v43
	s_waitcnt lgkmcnt(0)
	s_barrier
	s_and_saveexec_b64 s[14:15], s[6:7]
	s_cbranch_execz .LBB133_38
; %bb.35:                               ;   in Loop: Header=BB133_2 Depth=1
	s_mov_b64 s[16:17], 0
	v_mov_b32_e32 v7, v43
	v_mov_b32_e32 v5, v37
.LBB133_36:                             ;   Parent Loop BB133_2 Depth=1
                                        ; =>  This Inner Loop Header: Depth=2
	v_sub_u32_e32 v6, v5, v7
	v_lshrrev_b32_e32 v6, 1, v6
	v_add_u32_e32 v6, v6, v7
	v_not_b32_e32 v9, v6
	v_lshl_add_u32 v8, v6, 3, v64
	v_lshl_add_u32 v10, v9, 3, v56
	ds_read_b64 v[8:9], v8
	ds_read_b64 v[10:11], v10
	v_add_u32_e32 v12, 1, v6
	s_waitcnt lgkmcnt(0)
	v_cmp_lt_i64_e64 s[12:13], v[10:11], v[8:9]
	v_cndmask_b32_e64 v5, v5, v6, s[12:13]
	v_cndmask_b32_e64 v7, v12, v7, s[12:13]
	v_cmp_ge_i32_e64 s[12:13], v7, v5
	s_or_b64 s[16:17], s[12:13], s[16:17]
	s_andn2_b64 exec, exec, s[16:17]
	s_cbranch_execnz .LBB133_36
; %bb.37:                               ;   in Loop: Header=BB133_2 Depth=1
	s_or_b64 exec, exec, s[16:17]
.LBB133_38:                             ;   in Loop: Header=BB133_2 Depth=1
	s_or_b64 exec, exec, s[14:15]
	v_sub_u32_e32 v67, v55, v7
	v_lshl_add_u32 v11, v7, 3, v64
	v_lshlrev_b32_e32 v69, 3, v67
	ds_read_b64 v[5:6], v11
	ds_read_b64 v[9:10], v69
	v_add_u32_e32 v68, v7, v18
	v_cmp_le_i32_e64 s[16:17], v29, v68
	v_cmp_gt_i32_e64 s[12:13], v30, v67
                                        ; implicit-def: $vgpr7_vgpr8
	s_waitcnt lgkmcnt(0)
	v_cmp_lt_i64_e64 s[14:15], v[9:10], v[5:6]
	s_or_b64 s[14:15], s[16:17], s[14:15]
	s_and_b64 s[12:13], s[12:13], s[14:15]
	s_xor_b64 s[14:15], s[12:13], -1
	s_and_saveexec_b64 s[16:17], s[14:15]
	s_xor_b64 s[14:15], exec, s[16:17]
; %bb.39:                               ;   in Loop: Header=BB133_2 Depth=1
	ds_read_b64 v[7:8], v11 offset:8
                                        ; implicit-def: $vgpr69
; %bb.40:                               ;   in Loop: Header=BB133_2 Depth=1
	s_or_saveexec_b64 s[14:15], s[14:15]
	v_mov_b32_e32 v12, v10
	v_mov_b32_e32 v11, v9
	s_xor_b64 exec, exec, s[14:15]
	s_cbranch_execz .LBB133_42
; %bb.41:                               ;   in Loop: Header=BB133_2 Depth=1
	ds_read_b64 v[11:12], v69 offset:8
	s_waitcnt lgkmcnt(1)
	v_mov_b32_e32 v8, v6
	v_mov_b32_e32 v7, v5
.LBB133_42:                             ;   in Loop: Header=BB133_2 Depth=1
	s_or_b64 exec, exec, s[14:15]
	v_cndmask_b32_e64 v6, v6, v10, s[12:13]
	v_add_u32_e32 v10, 1, v68
	v_cndmask_b32_e64 v5, v5, v9, s[12:13]
	v_add_u32_e32 v9, 1, v67
	v_cndmask_b32_e64 v10, v10, v68, s[12:13]
	s_waitcnt lgkmcnt(0)
	v_cmp_lt_i64_e64 s[14:15], v[11:12], v[7:8]
	v_cndmask_b32_e64 v9, v67, v9, s[12:13]
	v_cmp_ge_i32_e64 s[16:17], v10, v29
	v_cndmask_b32_e64 v67, v68, v67, s[12:13]
	v_cmp_lt_i32_e64 s[12:13], v9, v30
	s_or_b64 s[14:15], s[16:17], s[14:15]
	s_and_b64 s[12:13], s[12:13], s[14:15]
	v_cndmask_b32_e64 v9, v10, v9, s[12:13]
	s_barrier
	ds_write2_b64 v59, v[1:2], v[3:4] offset1:1
	v_lshlrev_b32_e32 v1, 3, v67
	v_lshlrev_b32_e32 v3, 3, v9
	s_waitcnt lgkmcnt(0)
	s_barrier
	ds_read_b64 v[1:2], v1
	ds_read_b64 v[3:4], v3
	v_cndmask_b32_e64 v8, v8, v12, s[12:13]
	v_cndmask_b32_e64 v7, v7, v11, s[12:13]
	s_waitcnt lgkmcnt(0)
	s_barrier
	ds_write2_b64 v59, v[5:6], v[7:8] offset1:1
	v_mov_b32_e32 v7, v44
	s_waitcnt lgkmcnt(0)
	s_barrier
	s_and_saveexec_b64 s[14:15], s[8:9]
	s_cbranch_execz .LBB133_46
; %bb.43:                               ;   in Loop: Header=BB133_2 Depth=1
	s_mov_b64 s[16:17], 0
	v_mov_b32_e32 v7, v44
	v_mov_b32_e32 v5, v38
.LBB133_44:                             ;   Parent Loop BB133_2 Depth=1
                                        ; =>  This Inner Loop Header: Depth=2
	v_sub_u32_e32 v6, v5, v7
	v_lshrrev_b32_e32 v6, 1, v6
	v_add_u32_e32 v6, v6, v7
	v_not_b32_e32 v9, v6
	v_lshl_add_u32 v8, v6, 3, v65
	v_lshl_add_u32 v10, v9, 3, v58
	ds_read_b64 v[8:9], v8
	ds_read_b64 v[10:11], v10
	v_add_u32_e32 v12, 1, v6
	s_waitcnt lgkmcnt(0)
	v_cmp_lt_i64_e64 s[12:13], v[10:11], v[8:9]
	v_cndmask_b32_e64 v5, v5, v6, s[12:13]
	v_cndmask_b32_e64 v7, v12, v7, s[12:13]
	v_cmp_ge_i32_e64 s[12:13], v7, v5
	s_or_b64 s[16:17], s[12:13], s[16:17]
	s_andn2_b64 exec, exec, s[16:17]
	s_cbranch_execnz .LBB133_44
; %bb.45:                               ;   in Loop: Header=BB133_2 Depth=1
	s_or_b64 exec, exec, s[16:17]
.LBB133_46:                             ;   in Loop: Header=BB133_2 Depth=1
	s_or_b64 exec, exec, s[14:15]
	v_sub_u32_e32 v67, v57, v7
	v_lshl_add_u32 v11, v7, 3, v65
	v_lshlrev_b32_e32 v69, 3, v67
	ds_read_b64 v[5:6], v11
	ds_read_b64 v[9:10], v69
	v_add_u32_e32 v68, v7, v19
	v_cmp_le_i32_e64 s[16:17], v31, v68
	v_cmp_gt_i32_e64 s[12:13], v32, v67
                                        ; implicit-def: $vgpr7_vgpr8
	s_waitcnt lgkmcnt(0)
	v_cmp_lt_i64_e64 s[14:15], v[9:10], v[5:6]
	s_or_b64 s[14:15], s[16:17], s[14:15]
	s_and_b64 s[12:13], s[12:13], s[14:15]
	s_xor_b64 s[14:15], s[12:13], -1
	s_and_saveexec_b64 s[16:17], s[14:15]
	s_xor_b64 s[14:15], exec, s[16:17]
; %bb.47:                               ;   in Loop: Header=BB133_2 Depth=1
	ds_read_b64 v[7:8], v11 offset:8
                                        ; implicit-def: $vgpr69
; %bb.48:                               ;   in Loop: Header=BB133_2 Depth=1
	s_or_saveexec_b64 s[14:15], s[14:15]
	v_mov_b32_e32 v12, v10
	v_mov_b32_e32 v11, v9
	s_xor_b64 exec, exec, s[14:15]
	s_cbranch_execz .LBB133_50
; %bb.49:                               ;   in Loop: Header=BB133_2 Depth=1
	ds_read_b64 v[11:12], v69 offset:8
	s_waitcnt lgkmcnt(1)
	v_mov_b32_e32 v8, v6
	v_mov_b32_e32 v7, v5
.LBB133_50:                             ;   in Loop: Header=BB133_2 Depth=1
	s_or_b64 exec, exec, s[14:15]
	v_cndmask_b32_e64 v6, v6, v10, s[12:13]
	v_add_u32_e32 v10, 1, v68
	v_cndmask_b32_e64 v5, v5, v9, s[12:13]
	v_add_u32_e32 v9, 1, v67
	v_cndmask_b32_e64 v10, v10, v68, s[12:13]
	s_waitcnt lgkmcnt(0)
	v_cmp_lt_i64_e64 s[14:15], v[11:12], v[7:8]
	v_cndmask_b32_e64 v9, v67, v9, s[12:13]
	v_cmp_ge_i32_e64 s[16:17], v10, v31
	v_cndmask_b32_e64 v67, v68, v67, s[12:13]
	v_cmp_lt_i32_e64 s[12:13], v9, v32
	s_or_b64 s[14:15], s[16:17], s[14:15]
	s_and_b64 s[12:13], s[12:13], s[14:15]
	v_cndmask_b32_e64 v9, v10, v9, s[12:13]
	s_barrier
	ds_write2_b64 v59, v[1:2], v[3:4] offset1:1
	v_lshlrev_b32_e32 v1, 3, v67
	v_lshlrev_b32_e32 v3, 3, v9
	s_waitcnt lgkmcnt(0)
	s_barrier
	ds_read_b64 v[1:2], v1
	ds_read_b64 v[3:4], v3
	v_cndmask_b32_e64 v8, v8, v12, s[12:13]
	v_cndmask_b32_e64 v7, v7, v11, s[12:13]
	v_mov_b32_e32 v67, v20
	s_waitcnt lgkmcnt(0)
	s_barrier
	ds_write2_b64 v59, v[5:6], v[7:8] offset1:1
	s_waitcnt lgkmcnt(0)
	s_barrier
	s_and_saveexec_b64 s[14:15], s[10:11]
	s_cbranch_execz .LBB133_54
; %bb.51:                               ;   in Loop: Header=BB133_2 Depth=1
	s_mov_b64 s[16:17], 0
	v_mov_b32_e32 v67, v20
	v_mov_b32_e32 v5, v45
.LBB133_52:                             ;   Parent Loop BB133_2 Depth=1
                                        ; =>  This Inner Loop Header: Depth=2
	v_sub_u32_e32 v6, v5, v67
	v_lshrrev_b32_e32 v6, 1, v6
	v_add_u32_e32 v10, v6, v67
	v_not_b32_e32 v7, v10
	v_lshlrev_b32_e32 v6, 3, v10
	v_lshl_add_u32 v8, v7, 3, v66
	ds_read_b64 v[6:7], v6
	ds_read_b64 v[8:9], v8
	v_add_u32_e32 v11, 1, v10
	s_waitcnt lgkmcnt(0)
	v_cmp_lt_i64_e64 s[12:13], v[8:9], v[6:7]
	v_cndmask_b32_e64 v5, v5, v10, s[12:13]
	v_cndmask_b32_e64 v67, v11, v67, s[12:13]
	v_cmp_ge_i32_e64 s[12:13], v67, v5
	s_or_b64 s[16:17], s[12:13], s[16:17]
	s_andn2_b64 exec, exec, s[16:17]
	s_cbranch_execnz .LBB133_52
; %bb.53:                               ;   in Loop: Header=BB133_2 Depth=1
	s_or_b64 exec, exec, s[16:17]
.LBB133_54:                             ;   in Loop: Header=BB133_2 Depth=1
	s_or_b64 exec, exec, s[14:15]
	v_sub_u32_e32 v68, v46, v67
	v_lshlrev_b32_e32 v11, 3, v67
	v_lshlrev_b32_e32 v71, 3, v68
	ds_read_b64 v[5:6], v11
	ds_read_b64 v[7:8], v71
	v_cmp_le_i32_e64 s[16:17], v13, v67
	v_cmp_gt_i32_e64 s[12:13], s20, v68
                                        ; implicit-def: $vgpr9_vgpr10
                                        ; implicit-def: $vgpr69
	s_waitcnt lgkmcnt(0)
	v_cmp_lt_i64_e64 s[14:15], v[7:8], v[5:6]
	s_or_b64 s[14:15], s[16:17], s[14:15]
	s_and_b64 s[12:13], s[12:13], s[14:15]
	s_xor_b64 s[14:15], s[12:13], -1
	s_and_saveexec_b64 s[16:17], s[14:15]
	s_xor_b64 s[14:15], exec, s[16:17]
; %bb.55:                               ;   in Loop: Header=BB133_2 Depth=1
	ds_read_b64 v[9:10], v11 offset:8
	v_add_u32_e32 v69, 1, v67
                                        ; implicit-def: $vgpr71
; %bb.56:                               ;   in Loop: Header=BB133_2 Depth=1
	s_or_saveexec_b64 s[14:15], s[14:15]
	v_mov_b32_e32 v12, v8
	v_mov_b32_e32 v70, v67
	;; [unrolled: 1-line block ×3, first 2 shown]
	s_xor_b64 exec, exec, s[14:15]
	s_cbranch_execz .LBB133_1
; %bb.57:                               ;   in Loop: Header=BB133_2 Depth=1
	ds_read_b64 v[11:12], v71 offset:8
	s_waitcnt lgkmcnt(1)
	v_add_u32_e32 v9, 1, v68
	v_mov_b32_e32 v70, v68
	v_mov_b32_e32 v68, v9
	;; [unrolled: 1-line block ×5, first 2 shown]
	s_branch .LBB133_1
.LBB133_58:
	s_waitcnt lgkmcnt(1)
	v_add_co_u32_e32 v3, vcc, v5, v3
	v_addc_co_u32_e32 v4, vcc, v6, v4, vcc
	s_add_u32 s0, s22, s24
	s_waitcnt lgkmcnt(0)
	v_add_co_u32_e32 v1, vcc, v7, v1
	s_addc_u32 s1, s23, s25
	v_lshlrev_b32_e32 v0, 3, v0
	v_addc_co_u32_e32 v2, vcc, v8, v2, vcc
	global_store_dwordx2 v0, v[3:4], s[0:1]
	global_store_dwordx2 v0, v[1:2], s[0:1] offset:1024
	s_endpgm
	.section	.rodata,"a",@progbits
	.p2align	6, 0x0
	.amdhsa_kernel _Z17sort_pairs_kernelIxLj128ELj2EN10test_utils4lessELj10EEvPKT_PS2_T2_
		.amdhsa_group_segment_fixed_size 2056
		.amdhsa_private_segment_fixed_size 0
		.amdhsa_kernarg_size 20
		.amdhsa_user_sgpr_count 6
		.amdhsa_user_sgpr_private_segment_buffer 1
		.amdhsa_user_sgpr_dispatch_ptr 0
		.amdhsa_user_sgpr_queue_ptr 0
		.amdhsa_user_sgpr_kernarg_segment_ptr 1
		.amdhsa_user_sgpr_dispatch_id 0
		.amdhsa_user_sgpr_flat_scratch_init 0
		.amdhsa_user_sgpr_private_segment_size 0
		.amdhsa_uses_dynamic_stack 0
		.amdhsa_system_sgpr_private_segment_wavefront_offset 0
		.amdhsa_system_sgpr_workgroup_id_x 1
		.amdhsa_system_sgpr_workgroup_id_y 0
		.amdhsa_system_sgpr_workgroup_id_z 0
		.amdhsa_system_sgpr_workgroup_info 0
		.amdhsa_system_vgpr_workitem_id 0
		.amdhsa_next_free_vgpr 72
		.amdhsa_next_free_sgpr 61
		.amdhsa_reserve_vcc 1
		.amdhsa_reserve_flat_scratch 0
		.amdhsa_float_round_mode_32 0
		.amdhsa_float_round_mode_16_64 0
		.amdhsa_float_denorm_mode_32 3
		.amdhsa_float_denorm_mode_16_64 3
		.amdhsa_dx10_clamp 1
		.amdhsa_ieee_mode 1
		.amdhsa_fp16_overflow 0
		.amdhsa_exception_fp_ieee_invalid_op 0
		.amdhsa_exception_fp_denorm_src 0
		.amdhsa_exception_fp_ieee_div_zero 0
		.amdhsa_exception_fp_ieee_overflow 0
		.amdhsa_exception_fp_ieee_underflow 0
		.amdhsa_exception_fp_ieee_inexact 0
		.amdhsa_exception_int_div_zero 0
	.end_amdhsa_kernel
	.section	.text._Z17sort_pairs_kernelIxLj128ELj2EN10test_utils4lessELj10EEvPKT_PS2_T2_,"axG",@progbits,_Z17sort_pairs_kernelIxLj128ELj2EN10test_utils4lessELj10EEvPKT_PS2_T2_,comdat
.Lfunc_end133:
	.size	_Z17sort_pairs_kernelIxLj128ELj2EN10test_utils4lessELj10EEvPKT_PS2_T2_, .Lfunc_end133-_Z17sort_pairs_kernelIxLj128ELj2EN10test_utils4lessELj10EEvPKT_PS2_T2_
                                        ; -- End function
	.set _Z17sort_pairs_kernelIxLj128ELj2EN10test_utils4lessELj10EEvPKT_PS2_T2_.num_vgpr, 72
	.set _Z17sort_pairs_kernelIxLj128ELj2EN10test_utils4lessELj10EEvPKT_PS2_T2_.num_agpr, 0
	.set _Z17sort_pairs_kernelIxLj128ELj2EN10test_utils4lessELj10EEvPKT_PS2_T2_.numbered_sgpr, 28
	.set _Z17sort_pairs_kernelIxLj128ELj2EN10test_utils4lessELj10EEvPKT_PS2_T2_.num_named_barrier, 0
	.set _Z17sort_pairs_kernelIxLj128ELj2EN10test_utils4lessELj10EEvPKT_PS2_T2_.private_seg_size, 0
	.set _Z17sort_pairs_kernelIxLj128ELj2EN10test_utils4lessELj10EEvPKT_PS2_T2_.uses_vcc, 1
	.set _Z17sort_pairs_kernelIxLj128ELj2EN10test_utils4lessELj10EEvPKT_PS2_T2_.uses_flat_scratch, 0
	.set _Z17sort_pairs_kernelIxLj128ELj2EN10test_utils4lessELj10EEvPKT_PS2_T2_.has_dyn_sized_stack, 0
	.set _Z17sort_pairs_kernelIxLj128ELj2EN10test_utils4lessELj10EEvPKT_PS2_T2_.has_recursion, 0
	.set _Z17sort_pairs_kernelIxLj128ELj2EN10test_utils4lessELj10EEvPKT_PS2_T2_.has_indirect_call, 0
	.section	.AMDGPU.csdata,"",@progbits
; Kernel info:
; codeLenInByte = 3824
; TotalNumSgprs: 32
; NumVgprs: 72
; ScratchSize: 0
; MemoryBound: 0
; FloatMode: 240
; IeeeMode: 1
; LDSByteSize: 2056 bytes/workgroup (compile time only)
; SGPRBlocks: 8
; VGPRBlocks: 17
; NumSGPRsForWavesPerEU: 65
; NumVGPRsForWavesPerEU: 72
; Occupancy: 3
; WaveLimiterHint : 1
; COMPUTE_PGM_RSRC2:SCRATCH_EN: 0
; COMPUTE_PGM_RSRC2:USER_SGPR: 6
; COMPUTE_PGM_RSRC2:TRAP_HANDLER: 0
; COMPUTE_PGM_RSRC2:TGID_X_EN: 1
; COMPUTE_PGM_RSRC2:TGID_Y_EN: 0
; COMPUTE_PGM_RSRC2:TGID_Z_EN: 0
; COMPUTE_PGM_RSRC2:TIDIG_COMP_CNT: 0
	.section	.text._Z16sort_keys_kernelIxLj128ELj3EN10test_utils4lessELj10EEvPKT_PS2_T2_,"axG",@progbits,_Z16sort_keys_kernelIxLj128ELj3EN10test_utils4lessELj10EEvPKT_PS2_T2_,comdat
	.protected	_Z16sort_keys_kernelIxLj128ELj3EN10test_utils4lessELj10EEvPKT_PS2_T2_ ; -- Begin function _Z16sort_keys_kernelIxLj128ELj3EN10test_utils4lessELj10EEvPKT_PS2_T2_
	.globl	_Z16sort_keys_kernelIxLj128ELj3EN10test_utils4lessELj10EEvPKT_PS2_T2_
	.p2align	8
	.type	_Z16sort_keys_kernelIxLj128ELj3EN10test_utils4lessELj10EEvPKT_PS2_T2_,@function
_Z16sort_keys_kernelIxLj128ELj3EN10test_utils4lessELj10EEvPKT_PS2_T2_: ; @_Z16sort_keys_kernelIxLj128ELj3EN10test_utils4lessELj10EEvPKT_PS2_T2_
; %bb.0:
	v_and_b32_e32 v1, 0x7e, v0
	v_mul_u32_u24_e32 v7, 3, v1
	v_and_b32_e32 v1, 1, v0
	v_cmp_eq_u32_e32 vcc, 1, v1
	v_min_u32_e32 v1, 0x17a, v7
	v_add_u32_e32 v14, 6, v1
	v_and_b32_e32 v1, 0x7c, v0
	v_mul_u32_u24_e32 v12, 3, v1
	v_min_u32_e32 v1, 0x174, v12
	v_add_u32_e32 v16, 12, v1
	v_and_b32_e32 v1, 0x78, v0
	v_mul_u32_u24_e32 v37, 3, v1
	;; [unrolled: 4-line block ×3, first 2 shown]
	v_min_u32_e32 v1, 0x150, v43
	s_load_dwordx4 s[20:23], s[4:5], 0x0
	v_add_u32_e32 v20, 48, v1
	v_and_b32_e32 v1, 0x60, v0
	v_mul_u32_u24_e32 v49, 3, v1
	v_min_u32_e32 v1, 0x120, v49
	s_mul_i32 s26, s6, 0x180
	s_mov_b32 s27, 0
	v_add_u32_e32 v21, 0x60, v1
	v_and_b32_e32 v1, 64, v0
	s_lshl_b64 s[24:25], s[26:27], 3
	v_mul_u32_u24_e32 v55, 3, v1
	s_waitcnt lgkmcnt(0)
	s_add_u32 s0, s20, s24
	v_min_u32_e32 v1, 0xc0, v55
	s_addc_u32 s1, s21, s25
	v_lshlrev_b32_e32 v24, 3, v0
	v_add_u32_e32 v23, 0xc0, v1
	global_load_dwordx2 v[1:2], v24, s[0:1]
	global_load_dwordx2 v[5:6], v24, s[0:1] offset:1024
	global_load_dwordx2 v[3:4], v24, s[0:1] offset:2048
	v_min_u32_e32 v9, 0x17d, v7
	v_add_u32_e32 v13, 3, v9
	v_min_u32_e32 v35, 0x17a, v12
	v_min_u32_e32 v25, 0x180, v7
	v_cndmask_b32_e64 v8, 0, 3, vcc
	v_and_b32_e32 v36, 3, v0
	v_add_u32_e32 v15, 6, v35
	v_sub_u32_e32 v7, v13, v25
	v_mul_u32_u24_e32 v34, 3, v36
	v_sub_u32_e32 v32, v16, v15
	v_min_u32_e32 v41, 0x174, v37
	v_min_i32_e32 v27, v8, v7
	v_lshlrev_b32_e32 v7, 3, v8
	v_min_u32_e32 v31, 0x180, v12
	v_sub_u32_e32 v33, v34, v32
	v_and_b32_e32 v42, 7, v0
	v_add_u32_e32 v17, 12, v41
	v_lshl_add_u32 v28, v9, 3, v7
	v_cmp_ge_i32_e64 s[0:1], v34, v32
	v_sub_u32_e32 v7, v15, v31
	v_mul_u32_u24_e32 v40, 3, v42
	v_sub_u32_e32 v38, v18, v17
	v_min_u32_e32 v47, 0x168, v43
	v_cndmask_b32_e64 v32, 0, v33, s[0:1]
	v_min_i32_e32 v33, v34, v7
	v_lshlrev_b32_e32 v7, 3, v34
	v_min_u32_e32 v37, 0x180, v37
	v_sub_u32_e32 v39, v40, v38
	v_and_b32_e32 v48, 15, v0
	v_add_u32_e32 v19, 24, v47
	v_lshl_add_u32 v34, v35, 3, v7
	v_cmp_ge_i32_e64 s[2:3], v40, v38
	v_sub_u32_e32 v7, v17, v37
	v_mul_u32_u24_e32 v46, 3, v48
	v_sub_u32_e32 v44, v20, v19
	v_min_u32_e32 v53, 0x150, v49
	v_cndmask_b32_e64 v38, 0, v39, s[2:3]
	;; [unrolled: 13-line block ×3, first 2 shown]
	v_min_i32_e32 v45, v46, v7
	v_lshlrev_b32_e32 v7, 3, v46
	v_min_u32_e32 v49, 0x180, v49
	v_sub_u32_e32 v51, v52, v50
	v_and_b32_e32 v60, 63, v0
	v_add_u32_e32 v24, 0x60, v59
	v_lshl_add_u32 v46, v47, 3, v7
	v_cmp_ge_i32_e64 s[6:7], v52, v50
	v_sub_u32_e32 v7, v22, v49
	v_sub_u32_e32 v10, v14, v13
	v_mul_u32_u24_e32 v58, 3, v60
	v_sub_u32_e32 v56, v23, v24
	v_cndmask_b32_e64 v50, 0, v51, s[6:7]
	v_min_i32_e32 v51, v52, v7
	v_lshlrev_b32_e32 v7, 3, v52
	v_min_u32_e32 v55, 0x180, v55
	v_sub_u32_e32 v11, v8, v10
	v_sub_u32_e32 v57, v58, v56
	v_cmp_ge_i32_e32 vcc, v8, v10
	v_lshl_add_u32 v52, v53, 3, v7
	v_cmp_ge_i32_e64 s[8:9], v58, v56
	v_sub_u32_e32 v7, v24, v55
	v_mov_b32_e32 v61, 0xc0
	v_mul_u32_u24_e32 v62, 3, v0
	v_cndmask_b32_e32 v26, 0, v11, vcc
	v_cndmask_b32_e64 v56, 0, v57, s[8:9]
	v_min_i32_e32 v57, v58, v7
	v_lshlrev_b32_e32 v7, 3, v58
	v_sub_u32_e64 v63, v62, v61 clamp
	v_min_i32_e32 v64, 0xc0, v62
	s_movk_i32 s20, 0x180
	v_cmp_lt_i32_e32 vcc, v26, v27
	v_add_u32_e32 v29, v9, v8
	v_add_u32_e32 v30, v13, v8
	v_cmp_lt_i32_e64 s[0:1], v32, v33
	v_mad_u32_u24 v35, v36, 3, v35
	v_mad_u32_u24 v36, v36, 3, v15
	v_cmp_lt_i32_e64 s[2:3], v38, v39
	v_mad_u32_u24 v41, v42, 3, v41
	v_mad_u32_u24 v42, v42, 3, v17
	;; [unrolled: 3-line block ×4, first 2 shown]
	v_cmp_lt_i32_e64 s[8:9], v56, v57
	v_lshl_add_u32 v58, v59, 3, v7
	v_mad_u32_u24 v59, v60, 3, v59
	v_mad_u32_u24 v60, v60, 3, v24
	v_cmp_lt_i32_e64 s[10:11], v63, v64
	v_mul_u32_u24_e32 v65, 24, v0
	v_lshlrev_b32_e32 v66, 3, v25
	v_lshlrev_b32_e32 v67, 3, v31
	;; [unrolled: 1-line block ×6, first 2 shown]
	v_mad_u32_u24 v72, v0, 3, v61
	v_lshlrev_b32_e32 v73, 3, v62
	s_branch .LBB134_2
.LBB134_1:                              ;   in Loop: Header=BB134_2 Depth=1
	s_or_b64 exec, exec, s[16:17]
	v_cndmask_b32_e64 v6, v6, v8, s[14:15]
	v_cndmask_b32_e64 v5, v5, v7, s[14:15]
	s_waitcnt lgkmcnt(0)
	v_cmp_lt_i64_e64 s[14:15], v[11:12], v[9:10]
	v_cmp_ge_i32_e64 s[16:17], v75, v61
	v_cndmask_b32_e64 v2, v2, v4, s[12:13]
	v_cndmask_b32_e64 v1, v1, v3, s[12:13]
	v_cmp_gt_i32_e64 s[12:13], s20, v74
	s_or_b64 s[14:15], s[16:17], s[14:15]
	s_and_b64 s[12:13], s[12:13], s[14:15]
	s_add_i32 s27, s27, 1
	v_cndmask_b32_e64 v4, v10, v12, s[12:13]
	s_cmp_eq_u32 s27, 10
	v_cndmask_b32_e64 v3, v9, v11, s[12:13]
	s_cbranch_scc1 .LBB134_86
.LBB134_2:                              ; =>This Loop Header: Depth=1
                                        ;     Child Loop BB134_4 Depth 2
                                        ;     Child Loop BB134_16 Depth 2
	;; [unrolled: 1-line block ×7, first 2 shown]
	s_waitcnt vmcnt(1)
	v_cmp_lt_i64_e64 s[12:13], v[5:6], v[1:2]
	v_cndmask_b32_e64 v8, v2, v6, s[12:13]
	v_cndmask_b32_e64 v7, v1, v5, s[12:13]
	;; [unrolled: 1-line block ×4, first 2 shown]
	v_cmp_gt_i64_e64 s[12:13], v[5:6], v[1:2]
	s_waitcnt vmcnt(0)
	s_barrier
	v_cndmask_b32_e64 v2, v2, v6, s[12:13]
	v_cndmask_b32_e64 v1, v1, v5, s[12:13]
	v_cmp_lt_i64_e64 s[12:13], v[3:4], v[1:2]
	v_cndmask_b32_e64 v6, v4, v2, s[12:13]
	v_cndmask_b32_e64 v5, v3, v1, s[12:13]
	;; [unrolled: 1-line block ×6, first 2 shown]
	v_cmp_lt_i64_e64 s[12:13], v[3:4], v[7:8]
	v_cndmask_b32_e64 v2, v9, v8, s[12:13]
	v_cndmask_b32_e64 v1, v10, v7, s[12:13]
	;; [unrolled: 1-line block ×4, first 2 shown]
	ds_write2_b64 v65, v[3:4], v[1:2] offset1:1
	ds_write_b64 v65, v[5:6] offset:16
	v_mov_b32_e32 v5, v26
	s_waitcnt lgkmcnt(0)
	s_barrier
	s_and_saveexec_b64 s[14:15], vcc
	s_cbranch_execz .LBB134_6
; %bb.3:                                ;   in Loop: Header=BB134_2 Depth=1
	s_mov_b64 s[16:17], 0
	v_mov_b32_e32 v5, v26
	v_mov_b32_e32 v1, v27
.LBB134_4:                              ;   Parent Loop BB134_2 Depth=1
                                        ; =>  This Inner Loop Header: Depth=2
	v_sub_u32_e32 v2, v1, v5
	v_lshrrev_b32_e32 v2, 1, v2
	v_add_u32_e32 v4, v2, v5
	v_not_b32_e32 v3, v4
	v_lshl_add_u32 v2, v4, 3, v66
	v_lshl_add_u32 v6, v3, 3, v28
	ds_read_b64 v[2:3], v2
	ds_read_b64 v[6:7], v6 offset:24
	v_add_u32_e32 v8, 1, v4
	s_waitcnt lgkmcnt(0)
	v_cmp_lt_i64_e64 s[12:13], v[6:7], v[2:3]
	v_cndmask_b32_e64 v1, v1, v4, s[12:13]
	v_cndmask_b32_e64 v5, v8, v5, s[12:13]
	v_cmp_ge_i32_e64 s[12:13], v5, v1
	s_or_b64 s[16:17], s[12:13], s[16:17]
	s_andn2_b64 exec, exec, s[16:17]
	s_cbranch_execnz .LBB134_4
; %bb.5:                                ;   in Loop: Header=BB134_2 Depth=1
	s_or_b64 exec, exec, s[16:17]
.LBB134_6:                              ;   in Loop: Header=BB134_2 Depth=1
	s_or_b64 exec, exec, s[14:15]
	v_lshl_add_u32 v7, v5, 3, v66
	v_sub_u32_e32 v1, v29, v5
	v_lshlrev_b32_e32 v11, 3, v1
	ds_read_b64 v[1:2], v7
	ds_read_b64 v[3:4], v11 offset:24
	v_add_u32_e32 v9, v5, v25
	v_sub_u32_e32 v10, v30, v5
	v_cmp_le_i32_e64 s[16:17], v13, v9
	v_cmp_gt_i32_e64 s[12:13], v14, v10
	s_waitcnt lgkmcnt(0)
	v_cmp_lt_i64_e64 s[14:15], v[3:4], v[1:2]
                                        ; implicit-def: $vgpr5_vgpr6
	s_or_b64 s[14:15], s[16:17], s[14:15]
	s_and_b64 s[12:13], s[12:13], s[14:15]
	s_xor_b64 s[14:15], s[12:13], -1
	s_and_saveexec_b64 s[16:17], s[14:15]
	s_xor_b64 s[14:15], exec, s[16:17]
; %bb.7:                                ;   in Loop: Header=BB134_2 Depth=1
	ds_read_b64 v[5:6], v7 offset:8
                                        ; implicit-def: $vgpr11
; %bb.8:                                ;   in Loop: Header=BB134_2 Depth=1
	s_or_saveexec_b64 s[14:15], s[14:15]
	v_mov_b32_e32 v8, v4
	v_mov_b32_e32 v7, v3
	s_xor_b64 exec, exec, s[14:15]
	s_cbranch_execz .LBB134_10
; %bb.9:                                ;   in Loop: Header=BB134_2 Depth=1
	ds_read_b64 v[7:8], v11 offset:32
	s_waitcnt lgkmcnt(1)
	v_mov_b32_e32 v6, v2
	v_mov_b32_e32 v5, v1
.LBB134_10:                             ;   in Loop: Header=BB134_2 Depth=1
	s_or_b64 exec, exec, s[14:15]
	v_add_u32_e32 v12, 1, v9
	v_add_u32_e32 v11, 1, v10
	v_cndmask_b32_e64 v75, v12, v9, s[12:13]
	s_waitcnt lgkmcnt(0)
	v_cmp_lt_i64_e64 s[16:17], v[7:8], v[5:6]
	v_cndmask_b32_e64 v74, v10, v11, s[12:13]
	v_cmp_ge_i32_e64 s[18:19], v75, v13
	v_cmp_lt_i32_e64 s[14:15], v74, v14
	s_or_b64 s[16:17], s[18:19], s[16:17]
	s_and_b64 s[14:15], s[14:15], s[16:17]
	s_xor_b64 s[16:17], s[14:15], -1
                                        ; implicit-def: $vgpr9_vgpr10
	s_and_saveexec_b64 s[18:19], s[16:17]
	s_xor_b64 s[16:17], exec, s[18:19]
; %bb.11:                               ;   in Loop: Header=BB134_2 Depth=1
	v_lshlrev_b32_e32 v9, 3, v75
	ds_read_b64 v[9:10], v9 offset:8
; %bb.12:                               ;   in Loop: Header=BB134_2 Depth=1
	s_or_saveexec_b64 s[16:17], s[16:17]
	v_mov_b32_e32 v12, v8
	v_mov_b32_e32 v11, v7
	s_xor_b64 exec, exec, s[16:17]
	s_cbranch_execz .LBB134_14
; %bb.13:                               ;   in Loop: Header=BB134_2 Depth=1
	s_waitcnt lgkmcnt(0)
	v_lshlrev_b32_e32 v9, 3, v74
	ds_read_b64 v[11:12], v9 offset:8
	v_mov_b32_e32 v10, v6
	v_mov_b32_e32 v9, v5
.LBB134_14:                             ;   in Loop: Header=BB134_2 Depth=1
	s_or_b64 exec, exec, s[16:17]
	v_cndmask_b32_e64 v6, v6, v8, s[14:15]
	v_cndmask_b32_e64 v5, v5, v7, s[14:15]
	v_add_u32_e32 v7, 1, v74
	v_add_u32_e32 v8, 1, v75
	v_cndmask_b32_e64 v7, v74, v7, s[14:15]
	v_cndmask_b32_e64 v8, v8, v75, s[14:15]
	s_waitcnt lgkmcnt(0)
	v_cmp_lt_i64_e64 s[14:15], v[11:12], v[9:10]
	v_cmp_ge_i32_e64 s[16:17], v8, v13
	v_cndmask_b32_e64 v2, v2, v4, s[12:13]
	v_cndmask_b32_e64 v1, v1, v3, s[12:13]
	v_cmp_lt_i32_e64 s[12:13], v7, v14
	s_or_b64 s[14:15], s[16:17], s[14:15]
	s_and_b64 s[12:13], s[12:13], s[14:15]
	v_cndmask_b32_e64 v4, v10, v12, s[12:13]
	v_cndmask_b32_e64 v3, v9, v11, s[12:13]
	s_barrier
	ds_write2_b64 v65, v[1:2], v[5:6] offset1:1
	ds_write_b64 v65, v[3:4] offset:16
	v_mov_b32_e32 v5, v32
	s_waitcnt lgkmcnt(0)
	s_barrier
	s_and_saveexec_b64 s[14:15], s[0:1]
	s_cbranch_execz .LBB134_18
; %bb.15:                               ;   in Loop: Header=BB134_2 Depth=1
	s_mov_b64 s[16:17], 0
	v_mov_b32_e32 v5, v32
	v_mov_b32_e32 v1, v33
.LBB134_16:                             ;   Parent Loop BB134_2 Depth=1
                                        ; =>  This Inner Loop Header: Depth=2
	v_sub_u32_e32 v2, v1, v5
	v_lshrrev_b32_e32 v2, 1, v2
	v_add_u32_e32 v4, v2, v5
	v_not_b32_e32 v3, v4
	v_lshl_add_u32 v2, v4, 3, v67
	v_lshl_add_u32 v6, v3, 3, v34
	ds_read_b64 v[2:3], v2
	ds_read_b64 v[6:7], v6 offset:48
	v_add_u32_e32 v8, 1, v4
	s_waitcnt lgkmcnt(0)
	v_cmp_lt_i64_e64 s[12:13], v[6:7], v[2:3]
	v_cndmask_b32_e64 v1, v1, v4, s[12:13]
	v_cndmask_b32_e64 v5, v8, v5, s[12:13]
	v_cmp_ge_i32_e64 s[12:13], v5, v1
	s_or_b64 s[16:17], s[12:13], s[16:17]
	s_andn2_b64 exec, exec, s[16:17]
	s_cbranch_execnz .LBB134_16
; %bb.17:                               ;   in Loop: Header=BB134_2 Depth=1
	s_or_b64 exec, exec, s[16:17]
.LBB134_18:                             ;   in Loop: Header=BB134_2 Depth=1
	s_or_b64 exec, exec, s[14:15]
	v_lshl_add_u32 v7, v5, 3, v67
	v_sub_u32_e32 v1, v35, v5
	v_lshlrev_b32_e32 v11, 3, v1
	ds_read_b64 v[1:2], v7
	ds_read_b64 v[3:4], v11 offset:48
	v_add_u32_e32 v9, v5, v31
	v_sub_u32_e32 v10, v36, v5
	v_cmp_le_i32_e64 s[16:17], v15, v9
	v_cmp_gt_i32_e64 s[12:13], v16, v10
	s_waitcnt lgkmcnt(0)
	v_cmp_lt_i64_e64 s[14:15], v[3:4], v[1:2]
                                        ; implicit-def: $vgpr5_vgpr6
	s_or_b64 s[14:15], s[16:17], s[14:15]
	s_and_b64 s[12:13], s[12:13], s[14:15]
	s_xor_b64 s[14:15], s[12:13], -1
	s_and_saveexec_b64 s[16:17], s[14:15]
	s_xor_b64 s[14:15], exec, s[16:17]
; %bb.19:                               ;   in Loop: Header=BB134_2 Depth=1
	ds_read_b64 v[5:6], v7 offset:8
                                        ; implicit-def: $vgpr11
; %bb.20:                               ;   in Loop: Header=BB134_2 Depth=1
	s_or_saveexec_b64 s[14:15], s[14:15]
	v_mov_b32_e32 v8, v4
	v_mov_b32_e32 v7, v3
	s_xor_b64 exec, exec, s[14:15]
	s_cbranch_execz .LBB134_22
; %bb.21:                               ;   in Loop: Header=BB134_2 Depth=1
	ds_read_b64 v[7:8], v11 offset:56
	s_waitcnt lgkmcnt(1)
	v_mov_b32_e32 v6, v2
	v_mov_b32_e32 v5, v1
.LBB134_22:                             ;   in Loop: Header=BB134_2 Depth=1
	s_or_b64 exec, exec, s[14:15]
	v_add_u32_e32 v12, 1, v9
	v_add_u32_e32 v11, 1, v10
	v_cndmask_b32_e64 v75, v12, v9, s[12:13]
	s_waitcnt lgkmcnt(0)
	v_cmp_lt_i64_e64 s[16:17], v[7:8], v[5:6]
	v_cndmask_b32_e64 v74, v10, v11, s[12:13]
	v_cmp_ge_i32_e64 s[18:19], v75, v15
	v_cmp_lt_i32_e64 s[14:15], v74, v16
	s_or_b64 s[16:17], s[18:19], s[16:17]
	s_and_b64 s[14:15], s[14:15], s[16:17]
	s_xor_b64 s[16:17], s[14:15], -1
                                        ; implicit-def: $vgpr9_vgpr10
	s_and_saveexec_b64 s[18:19], s[16:17]
	s_xor_b64 s[16:17], exec, s[18:19]
; %bb.23:                               ;   in Loop: Header=BB134_2 Depth=1
	v_lshlrev_b32_e32 v9, 3, v75
	ds_read_b64 v[9:10], v9 offset:8
; %bb.24:                               ;   in Loop: Header=BB134_2 Depth=1
	s_or_saveexec_b64 s[16:17], s[16:17]
	v_mov_b32_e32 v12, v8
	v_mov_b32_e32 v11, v7
	s_xor_b64 exec, exec, s[16:17]
	s_cbranch_execz .LBB134_26
; %bb.25:                               ;   in Loop: Header=BB134_2 Depth=1
	s_waitcnt lgkmcnt(0)
	v_lshlrev_b32_e32 v9, 3, v74
	ds_read_b64 v[11:12], v9 offset:8
	v_mov_b32_e32 v10, v6
	v_mov_b32_e32 v9, v5
.LBB134_26:                             ;   in Loop: Header=BB134_2 Depth=1
	s_or_b64 exec, exec, s[16:17]
	v_cndmask_b32_e64 v6, v6, v8, s[14:15]
	v_cndmask_b32_e64 v5, v5, v7, s[14:15]
	v_add_u32_e32 v7, 1, v74
	v_add_u32_e32 v8, 1, v75
	v_cndmask_b32_e64 v7, v74, v7, s[14:15]
	v_cndmask_b32_e64 v8, v8, v75, s[14:15]
	s_waitcnt lgkmcnt(0)
	v_cmp_lt_i64_e64 s[14:15], v[11:12], v[9:10]
	v_cmp_ge_i32_e64 s[16:17], v8, v15
	v_cndmask_b32_e64 v2, v2, v4, s[12:13]
	v_cndmask_b32_e64 v1, v1, v3, s[12:13]
	v_cmp_lt_i32_e64 s[12:13], v7, v16
	s_or_b64 s[14:15], s[16:17], s[14:15]
	s_and_b64 s[12:13], s[12:13], s[14:15]
	v_cndmask_b32_e64 v4, v10, v12, s[12:13]
	v_cndmask_b32_e64 v3, v9, v11, s[12:13]
	s_barrier
	ds_write2_b64 v65, v[1:2], v[5:6] offset1:1
	ds_write_b64 v65, v[3:4] offset:16
	v_mov_b32_e32 v5, v38
	s_waitcnt lgkmcnt(0)
	s_barrier
	s_and_saveexec_b64 s[14:15], s[2:3]
	s_cbranch_execz .LBB134_30
; %bb.27:                               ;   in Loop: Header=BB134_2 Depth=1
	s_mov_b64 s[16:17], 0
	v_mov_b32_e32 v5, v38
	v_mov_b32_e32 v1, v39
.LBB134_28:                             ;   Parent Loop BB134_2 Depth=1
                                        ; =>  This Inner Loop Header: Depth=2
	v_sub_u32_e32 v2, v1, v5
	v_lshrrev_b32_e32 v2, 1, v2
	v_add_u32_e32 v4, v2, v5
	v_not_b32_e32 v3, v4
	v_lshl_add_u32 v2, v4, 3, v68
	v_lshl_add_u32 v6, v3, 3, v40
	ds_read_b64 v[2:3], v2
	ds_read_b64 v[6:7], v6 offset:96
	v_add_u32_e32 v8, 1, v4
	s_waitcnt lgkmcnt(0)
	v_cmp_lt_i64_e64 s[12:13], v[6:7], v[2:3]
	v_cndmask_b32_e64 v1, v1, v4, s[12:13]
	v_cndmask_b32_e64 v5, v8, v5, s[12:13]
	v_cmp_ge_i32_e64 s[12:13], v5, v1
	s_or_b64 s[16:17], s[12:13], s[16:17]
	s_andn2_b64 exec, exec, s[16:17]
	s_cbranch_execnz .LBB134_28
; %bb.29:                               ;   in Loop: Header=BB134_2 Depth=1
	s_or_b64 exec, exec, s[16:17]
.LBB134_30:                             ;   in Loop: Header=BB134_2 Depth=1
	s_or_b64 exec, exec, s[14:15]
	v_lshl_add_u32 v7, v5, 3, v68
	v_sub_u32_e32 v1, v41, v5
	v_lshlrev_b32_e32 v11, 3, v1
	ds_read_b64 v[1:2], v7
	ds_read_b64 v[3:4], v11 offset:96
	v_add_u32_e32 v9, v5, v37
	v_sub_u32_e32 v10, v42, v5
	v_cmp_le_i32_e64 s[16:17], v17, v9
	v_cmp_gt_i32_e64 s[12:13], v18, v10
	s_waitcnt lgkmcnt(0)
	v_cmp_lt_i64_e64 s[14:15], v[3:4], v[1:2]
                                        ; implicit-def: $vgpr5_vgpr6
	s_or_b64 s[14:15], s[16:17], s[14:15]
	s_and_b64 s[12:13], s[12:13], s[14:15]
	s_xor_b64 s[14:15], s[12:13], -1
	s_and_saveexec_b64 s[16:17], s[14:15]
	s_xor_b64 s[14:15], exec, s[16:17]
; %bb.31:                               ;   in Loop: Header=BB134_2 Depth=1
	ds_read_b64 v[5:6], v7 offset:8
                                        ; implicit-def: $vgpr11
; %bb.32:                               ;   in Loop: Header=BB134_2 Depth=1
	s_or_saveexec_b64 s[14:15], s[14:15]
	v_mov_b32_e32 v8, v4
	v_mov_b32_e32 v7, v3
	s_xor_b64 exec, exec, s[14:15]
	s_cbranch_execz .LBB134_34
; %bb.33:                               ;   in Loop: Header=BB134_2 Depth=1
	ds_read_b64 v[7:8], v11 offset:104
	s_waitcnt lgkmcnt(1)
	v_mov_b32_e32 v6, v2
	v_mov_b32_e32 v5, v1
.LBB134_34:                             ;   in Loop: Header=BB134_2 Depth=1
	s_or_b64 exec, exec, s[14:15]
	v_add_u32_e32 v12, 1, v9
	v_add_u32_e32 v11, 1, v10
	v_cndmask_b32_e64 v75, v12, v9, s[12:13]
	s_waitcnt lgkmcnt(0)
	v_cmp_lt_i64_e64 s[16:17], v[7:8], v[5:6]
	v_cndmask_b32_e64 v74, v10, v11, s[12:13]
	v_cmp_ge_i32_e64 s[18:19], v75, v17
	v_cmp_lt_i32_e64 s[14:15], v74, v18
	s_or_b64 s[16:17], s[18:19], s[16:17]
	s_and_b64 s[14:15], s[14:15], s[16:17]
	s_xor_b64 s[16:17], s[14:15], -1
                                        ; implicit-def: $vgpr9_vgpr10
	s_and_saveexec_b64 s[18:19], s[16:17]
	s_xor_b64 s[16:17], exec, s[18:19]
; %bb.35:                               ;   in Loop: Header=BB134_2 Depth=1
	v_lshlrev_b32_e32 v9, 3, v75
	ds_read_b64 v[9:10], v9 offset:8
; %bb.36:                               ;   in Loop: Header=BB134_2 Depth=1
	s_or_saveexec_b64 s[16:17], s[16:17]
	v_mov_b32_e32 v12, v8
	v_mov_b32_e32 v11, v7
	s_xor_b64 exec, exec, s[16:17]
	s_cbranch_execz .LBB134_38
; %bb.37:                               ;   in Loop: Header=BB134_2 Depth=1
	s_waitcnt lgkmcnt(0)
	v_lshlrev_b32_e32 v9, 3, v74
	ds_read_b64 v[11:12], v9 offset:8
	v_mov_b32_e32 v10, v6
	v_mov_b32_e32 v9, v5
.LBB134_38:                             ;   in Loop: Header=BB134_2 Depth=1
	s_or_b64 exec, exec, s[16:17]
	v_cndmask_b32_e64 v6, v6, v8, s[14:15]
	v_cndmask_b32_e64 v5, v5, v7, s[14:15]
	v_add_u32_e32 v7, 1, v74
	v_add_u32_e32 v8, 1, v75
	v_cndmask_b32_e64 v7, v74, v7, s[14:15]
	v_cndmask_b32_e64 v8, v8, v75, s[14:15]
	s_waitcnt lgkmcnt(0)
	v_cmp_lt_i64_e64 s[14:15], v[11:12], v[9:10]
	v_cmp_ge_i32_e64 s[16:17], v8, v17
	v_cndmask_b32_e64 v2, v2, v4, s[12:13]
	v_cndmask_b32_e64 v1, v1, v3, s[12:13]
	v_cmp_lt_i32_e64 s[12:13], v7, v18
	s_or_b64 s[14:15], s[16:17], s[14:15]
	s_and_b64 s[12:13], s[12:13], s[14:15]
	v_cndmask_b32_e64 v4, v10, v12, s[12:13]
	v_cndmask_b32_e64 v3, v9, v11, s[12:13]
	s_barrier
	ds_write2_b64 v65, v[1:2], v[5:6] offset1:1
	ds_write_b64 v65, v[3:4] offset:16
	v_mov_b32_e32 v5, v44
	s_waitcnt lgkmcnt(0)
	s_barrier
	s_and_saveexec_b64 s[14:15], s[4:5]
	s_cbranch_execz .LBB134_42
; %bb.39:                               ;   in Loop: Header=BB134_2 Depth=1
	s_mov_b64 s[16:17], 0
	v_mov_b32_e32 v5, v44
	v_mov_b32_e32 v1, v45
.LBB134_40:                             ;   Parent Loop BB134_2 Depth=1
                                        ; =>  This Inner Loop Header: Depth=2
	v_sub_u32_e32 v2, v1, v5
	v_lshrrev_b32_e32 v2, 1, v2
	v_add_u32_e32 v4, v2, v5
	v_not_b32_e32 v3, v4
	v_lshl_add_u32 v2, v4, 3, v69
	v_lshl_add_u32 v6, v3, 3, v46
	ds_read_b64 v[2:3], v2
	ds_read_b64 v[6:7], v6 offset:192
	v_add_u32_e32 v8, 1, v4
	s_waitcnt lgkmcnt(0)
	v_cmp_lt_i64_e64 s[12:13], v[6:7], v[2:3]
	v_cndmask_b32_e64 v1, v1, v4, s[12:13]
	v_cndmask_b32_e64 v5, v8, v5, s[12:13]
	v_cmp_ge_i32_e64 s[12:13], v5, v1
	s_or_b64 s[16:17], s[12:13], s[16:17]
	s_andn2_b64 exec, exec, s[16:17]
	s_cbranch_execnz .LBB134_40
; %bb.41:                               ;   in Loop: Header=BB134_2 Depth=1
	s_or_b64 exec, exec, s[16:17]
.LBB134_42:                             ;   in Loop: Header=BB134_2 Depth=1
	s_or_b64 exec, exec, s[14:15]
	v_lshl_add_u32 v7, v5, 3, v69
	v_sub_u32_e32 v1, v47, v5
	v_lshlrev_b32_e32 v11, 3, v1
	ds_read_b64 v[1:2], v7
	ds_read_b64 v[3:4], v11 offset:192
	v_add_u32_e32 v9, v5, v43
	v_sub_u32_e32 v10, v48, v5
	v_cmp_le_i32_e64 s[16:17], v19, v9
	v_cmp_gt_i32_e64 s[12:13], v20, v10
	s_waitcnt lgkmcnt(0)
	v_cmp_lt_i64_e64 s[14:15], v[3:4], v[1:2]
                                        ; implicit-def: $vgpr5_vgpr6
	s_or_b64 s[14:15], s[16:17], s[14:15]
	s_and_b64 s[12:13], s[12:13], s[14:15]
	s_xor_b64 s[14:15], s[12:13], -1
	s_and_saveexec_b64 s[16:17], s[14:15]
	s_xor_b64 s[14:15], exec, s[16:17]
; %bb.43:                               ;   in Loop: Header=BB134_2 Depth=1
	ds_read_b64 v[5:6], v7 offset:8
                                        ; implicit-def: $vgpr11
; %bb.44:                               ;   in Loop: Header=BB134_2 Depth=1
	s_or_saveexec_b64 s[14:15], s[14:15]
	v_mov_b32_e32 v8, v4
	v_mov_b32_e32 v7, v3
	s_xor_b64 exec, exec, s[14:15]
	s_cbranch_execz .LBB134_46
; %bb.45:                               ;   in Loop: Header=BB134_2 Depth=1
	ds_read_b64 v[7:8], v11 offset:200
	s_waitcnt lgkmcnt(1)
	v_mov_b32_e32 v6, v2
	v_mov_b32_e32 v5, v1
.LBB134_46:                             ;   in Loop: Header=BB134_2 Depth=1
	s_or_b64 exec, exec, s[14:15]
	v_add_u32_e32 v12, 1, v9
	v_add_u32_e32 v11, 1, v10
	v_cndmask_b32_e64 v75, v12, v9, s[12:13]
	s_waitcnt lgkmcnt(0)
	v_cmp_lt_i64_e64 s[16:17], v[7:8], v[5:6]
	v_cndmask_b32_e64 v74, v10, v11, s[12:13]
	v_cmp_ge_i32_e64 s[18:19], v75, v19
	v_cmp_lt_i32_e64 s[14:15], v74, v20
	s_or_b64 s[16:17], s[18:19], s[16:17]
	s_and_b64 s[14:15], s[14:15], s[16:17]
	s_xor_b64 s[16:17], s[14:15], -1
                                        ; implicit-def: $vgpr9_vgpr10
	s_and_saveexec_b64 s[18:19], s[16:17]
	s_xor_b64 s[16:17], exec, s[18:19]
; %bb.47:                               ;   in Loop: Header=BB134_2 Depth=1
	v_lshlrev_b32_e32 v9, 3, v75
	ds_read_b64 v[9:10], v9 offset:8
; %bb.48:                               ;   in Loop: Header=BB134_2 Depth=1
	s_or_saveexec_b64 s[16:17], s[16:17]
	v_mov_b32_e32 v12, v8
	v_mov_b32_e32 v11, v7
	s_xor_b64 exec, exec, s[16:17]
	s_cbranch_execz .LBB134_50
; %bb.49:                               ;   in Loop: Header=BB134_2 Depth=1
	s_waitcnt lgkmcnt(0)
	v_lshlrev_b32_e32 v9, 3, v74
	ds_read_b64 v[11:12], v9 offset:8
	v_mov_b32_e32 v10, v6
	v_mov_b32_e32 v9, v5
.LBB134_50:                             ;   in Loop: Header=BB134_2 Depth=1
	s_or_b64 exec, exec, s[16:17]
	v_cndmask_b32_e64 v6, v6, v8, s[14:15]
	v_cndmask_b32_e64 v5, v5, v7, s[14:15]
	v_add_u32_e32 v7, 1, v74
	v_add_u32_e32 v8, 1, v75
	v_cndmask_b32_e64 v7, v74, v7, s[14:15]
	v_cndmask_b32_e64 v8, v8, v75, s[14:15]
	s_waitcnt lgkmcnt(0)
	v_cmp_lt_i64_e64 s[14:15], v[11:12], v[9:10]
	v_cmp_ge_i32_e64 s[16:17], v8, v19
	v_cndmask_b32_e64 v2, v2, v4, s[12:13]
	v_cndmask_b32_e64 v1, v1, v3, s[12:13]
	v_cmp_lt_i32_e64 s[12:13], v7, v20
	s_or_b64 s[14:15], s[16:17], s[14:15]
	s_and_b64 s[12:13], s[12:13], s[14:15]
	v_cndmask_b32_e64 v4, v10, v12, s[12:13]
	v_cndmask_b32_e64 v3, v9, v11, s[12:13]
	s_barrier
	ds_write2_b64 v65, v[1:2], v[5:6] offset1:1
	ds_write_b64 v65, v[3:4] offset:16
	v_mov_b32_e32 v5, v50
	s_waitcnt lgkmcnt(0)
	s_barrier
	s_and_saveexec_b64 s[14:15], s[6:7]
	s_cbranch_execz .LBB134_54
; %bb.51:                               ;   in Loop: Header=BB134_2 Depth=1
	s_mov_b64 s[16:17], 0
	v_mov_b32_e32 v5, v50
	v_mov_b32_e32 v1, v51
.LBB134_52:                             ;   Parent Loop BB134_2 Depth=1
                                        ; =>  This Inner Loop Header: Depth=2
	v_sub_u32_e32 v2, v1, v5
	v_lshrrev_b32_e32 v2, 1, v2
	v_add_u32_e32 v4, v2, v5
	v_not_b32_e32 v3, v4
	v_lshl_add_u32 v2, v4, 3, v70
	v_lshl_add_u32 v6, v3, 3, v52
	ds_read_b64 v[2:3], v2
	ds_read_b64 v[6:7], v6 offset:384
	v_add_u32_e32 v8, 1, v4
	s_waitcnt lgkmcnt(0)
	v_cmp_lt_i64_e64 s[12:13], v[6:7], v[2:3]
	v_cndmask_b32_e64 v1, v1, v4, s[12:13]
	v_cndmask_b32_e64 v5, v8, v5, s[12:13]
	v_cmp_ge_i32_e64 s[12:13], v5, v1
	s_or_b64 s[16:17], s[12:13], s[16:17]
	s_andn2_b64 exec, exec, s[16:17]
	s_cbranch_execnz .LBB134_52
; %bb.53:                               ;   in Loop: Header=BB134_2 Depth=1
	s_or_b64 exec, exec, s[16:17]
.LBB134_54:                             ;   in Loop: Header=BB134_2 Depth=1
	s_or_b64 exec, exec, s[14:15]
	v_lshl_add_u32 v7, v5, 3, v70
	v_sub_u32_e32 v1, v53, v5
	v_lshlrev_b32_e32 v11, 3, v1
	ds_read_b64 v[1:2], v7
	ds_read_b64 v[3:4], v11 offset:384
	v_add_u32_e32 v9, v5, v49
	v_sub_u32_e32 v10, v54, v5
	v_cmp_le_i32_e64 s[16:17], v22, v9
	v_cmp_gt_i32_e64 s[12:13], v21, v10
	s_waitcnt lgkmcnt(0)
	v_cmp_lt_i64_e64 s[14:15], v[3:4], v[1:2]
                                        ; implicit-def: $vgpr5_vgpr6
	s_or_b64 s[14:15], s[16:17], s[14:15]
	s_and_b64 s[12:13], s[12:13], s[14:15]
	s_xor_b64 s[14:15], s[12:13], -1
	s_and_saveexec_b64 s[16:17], s[14:15]
	s_xor_b64 s[14:15], exec, s[16:17]
; %bb.55:                               ;   in Loop: Header=BB134_2 Depth=1
	ds_read_b64 v[5:6], v7 offset:8
                                        ; implicit-def: $vgpr11
; %bb.56:                               ;   in Loop: Header=BB134_2 Depth=1
	s_or_saveexec_b64 s[14:15], s[14:15]
	v_mov_b32_e32 v8, v4
	v_mov_b32_e32 v7, v3
	s_xor_b64 exec, exec, s[14:15]
	s_cbranch_execz .LBB134_58
; %bb.57:                               ;   in Loop: Header=BB134_2 Depth=1
	ds_read_b64 v[7:8], v11 offset:392
	s_waitcnt lgkmcnt(1)
	v_mov_b32_e32 v6, v2
	v_mov_b32_e32 v5, v1
.LBB134_58:                             ;   in Loop: Header=BB134_2 Depth=1
	s_or_b64 exec, exec, s[14:15]
	v_add_u32_e32 v12, 1, v9
	v_add_u32_e32 v11, 1, v10
	v_cndmask_b32_e64 v75, v12, v9, s[12:13]
	s_waitcnt lgkmcnt(0)
	v_cmp_lt_i64_e64 s[16:17], v[7:8], v[5:6]
	v_cndmask_b32_e64 v74, v10, v11, s[12:13]
	v_cmp_ge_i32_e64 s[18:19], v75, v22
	v_cmp_lt_i32_e64 s[14:15], v74, v21
	s_or_b64 s[16:17], s[18:19], s[16:17]
	s_and_b64 s[14:15], s[14:15], s[16:17]
	s_xor_b64 s[16:17], s[14:15], -1
                                        ; implicit-def: $vgpr9_vgpr10
	s_and_saveexec_b64 s[18:19], s[16:17]
	s_xor_b64 s[16:17], exec, s[18:19]
; %bb.59:                               ;   in Loop: Header=BB134_2 Depth=1
	v_lshlrev_b32_e32 v9, 3, v75
	ds_read_b64 v[9:10], v9 offset:8
; %bb.60:                               ;   in Loop: Header=BB134_2 Depth=1
	s_or_saveexec_b64 s[16:17], s[16:17]
	v_mov_b32_e32 v12, v8
	v_mov_b32_e32 v11, v7
	s_xor_b64 exec, exec, s[16:17]
	s_cbranch_execz .LBB134_62
; %bb.61:                               ;   in Loop: Header=BB134_2 Depth=1
	s_waitcnt lgkmcnt(0)
	v_lshlrev_b32_e32 v9, 3, v74
	ds_read_b64 v[11:12], v9 offset:8
	v_mov_b32_e32 v10, v6
	v_mov_b32_e32 v9, v5
.LBB134_62:                             ;   in Loop: Header=BB134_2 Depth=1
	s_or_b64 exec, exec, s[16:17]
	v_cndmask_b32_e64 v6, v6, v8, s[14:15]
	v_cndmask_b32_e64 v5, v5, v7, s[14:15]
	v_add_u32_e32 v7, 1, v74
	v_add_u32_e32 v8, 1, v75
	v_cndmask_b32_e64 v7, v74, v7, s[14:15]
	v_cndmask_b32_e64 v8, v8, v75, s[14:15]
	s_waitcnt lgkmcnt(0)
	v_cmp_lt_i64_e64 s[14:15], v[11:12], v[9:10]
	v_cmp_ge_i32_e64 s[16:17], v8, v22
	v_cndmask_b32_e64 v2, v2, v4, s[12:13]
	v_cndmask_b32_e64 v1, v1, v3, s[12:13]
	v_cmp_lt_i32_e64 s[12:13], v7, v21
	s_or_b64 s[14:15], s[16:17], s[14:15]
	s_and_b64 s[12:13], s[12:13], s[14:15]
	v_cndmask_b32_e64 v4, v10, v12, s[12:13]
	v_cndmask_b32_e64 v3, v9, v11, s[12:13]
	s_barrier
	ds_write2_b64 v65, v[1:2], v[5:6] offset1:1
	ds_write_b64 v65, v[3:4] offset:16
	v_mov_b32_e32 v5, v56
	s_waitcnt lgkmcnt(0)
	s_barrier
	s_and_saveexec_b64 s[14:15], s[8:9]
	s_cbranch_execz .LBB134_66
; %bb.63:                               ;   in Loop: Header=BB134_2 Depth=1
	s_mov_b64 s[16:17], 0
	v_mov_b32_e32 v5, v56
	v_mov_b32_e32 v1, v57
.LBB134_64:                             ;   Parent Loop BB134_2 Depth=1
                                        ; =>  This Inner Loop Header: Depth=2
	v_sub_u32_e32 v2, v1, v5
	v_lshrrev_b32_e32 v2, 1, v2
	v_add_u32_e32 v4, v2, v5
	v_not_b32_e32 v3, v4
	v_lshl_add_u32 v2, v4, 3, v71
	v_lshl_add_u32 v6, v3, 3, v58
	ds_read_b64 v[2:3], v2
	ds_read_b64 v[6:7], v6 offset:768
	v_add_u32_e32 v8, 1, v4
	s_waitcnt lgkmcnt(0)
	v_cmp_lt_i64_e64 s[12:13], v[6:7], v[2:3]
	v_cndmask_b32_e64 v1, v1, v4, s[12:13]
	v_cndmask_b32_e64 v5, v8, v5, s[12:13]
	v_cmp_ge_i32_e64 s[12:13], v5, v1
	s_or_b64 s[16:17], s[12:13], s[16:17]
	s_andn2_b64 exec, exec, s[16:17]
	s_cbranch_execnz .LBB134_64
; %bb.65:                               ;   in Loop: Header=BB134_2 Depth=1
	s_or_b64 exec, exec, s[16:17]
.LBB134_66:                             ;   in Loop: Header=BB134_2 Depth=1
	s_or_b64 exec, exec, s[14:15]
	v_lshl_add_u32 v7, v5, 3, v71
	v_sub_u32_e32 v1, v59, v5
	v_lshlrev_b32_e32 v11, 3, v1
	ds_read_b64 v[1:2], v7
	ds_read_b64 v[3:4], v11 offset:768
	v_add_u32_e32 v9, v5, v55
	v_sub_u32_e32 v10, v60, v5
	v_cmp_le_i32_e64 s[16:17], v24, v9
	v_cmp_gt_i32_e64 s[12:13], v23, v10
	s_waitcnt lgkmcnt(0)
	v_cmp_lt_i64_e64 s[14:15], v[3:4], v[1:2]
                                        ; implicit-def: $vgpr5_vgpr6
	s_or_b64 s[14:15], s[16:17], s[14:15]
	s_and_b64 s[12:13], s[12:13], s[14:15]
	s_xor_b64 s[14:15], s[12:13], -1
	s_and_saveexec_b64 s[16:17], s[14:15]
	s_xor_b64 s[14:15], exec, s[16:17]
; %bb.67:                               ;   in Loop: Header=BB134_2 Depth=1
	ds_read_b64 v[5:6], v7 offset:8
                                        ; implicit-def: $vgpr11
; %bb.68:                               ;   in Loop: Header=BB134_2 Depth=1
	s_or_saveexec_b64 s[14:15], s[14:15]
	v_mov_b32_e32 v8, v4
	v_mov_b32_e32 v7, v3
	s_xor_b64 exec, exec, s[14:15]
	s_cbranch_execz .LBB134_70
; %bb.69:                               ;   in Loop: Header=BB134_2 Depth=1
	ds_read_b64 v[7:8], v11 offset:776
	s_waitcnt lgkmcnt(1)
	v_mov_b32_e32 v6, v2
	v_mov_b32_e32 v5, v1
.LBB134_70:                             ;   in Loop: Header=BB134_2 Depth=1
	s_or_b64 exec, exec, s[14:15]
	v_add_u32_e32 v12, 1, v9
	v_add_u32_e32 v11, 1, v10
	v_cndmask_b32_e64 v75, v12, v9, s[12:13]
	s_waitcnt lgkmcnt(0)
	v_cmp_lt_i64_e64 s[16:17], v[7:8], v[5:6]
	v_cndmask_b32_e64 v74, v10, v11, s[12:13]
	v_cmp_ge_i32_e64 s[18:19], v75, v24
	v_cmp_lt_i32_e64 s[14:15], v74, v23
	s_or_b64 s[16:17], s[18:19], s[16:17]
	s_and_b64 s[14:15], s[14:15], s[16:17]
	s_xor_b64 s[16:17], s[14:15], -1
                                        ; implicit-def: $vgpr9_vgpr10
	s_and_saveexec_b64 s[18:19], s[16:17]
	s_xor_b64 s[16:17], exec, s[18:19]
; %bb.71:                               ;   in Loop: Header=BB134_2 Depth=1
	v_lshlrev_b32_e32 v9, 3, v75
	ds_read_b64 v[9:10], v9 offset:8
; %bb.72:                               ;   in Loop: Header=BB134_2 Depth=1
	s_or_saveexec_b64 s[16:17], s[16:17]
	v_mov_b32_e32 v12, v8
	v_mov_b32_e32 v11, v7
	s_xor_b64 exec, exec, s[16:17]
	s_cbranch_execz .LBB134_74
; %bb.73:                               ;   in Loop: Header=BB134_2 Depth=1
	s_waitcnt lgkmcnt(0)
	v_lshlrev_b32_e32 v9, 3, v74
	ds_read_b64 v[11:12], v9 offset:8
	v_mov_b32_e32 v10, v6
	v_mov_b32_e32 v9, v5
.LBB134_74:                             ;   in Loop: Header=BB134_2 Depth=1
	s_or_b64 exec, exec, s[16:17]
	v_cndmask_b32_e64 v6, v6, v8, s[14:15]
	v_cndmask_b32_e64 v5, v5, v7, s[14:15]
	v_add_u32_e32 v7, 1, v74
	v_add_u32_e32 v8, 1, v75
	v_cndmask_b32_e64 v7, v74, v7, s[14:15]
	v_cndmask_b32_e64 v8, v8, v75, s[14:15]
	s_waitcnt lgkmcnt(0)
	v_cmp_lt_i64_e64 s[14:15], v[11:12], v[9:10]
	v_cmp_ge_i32_e64 s[16:17], v8, v24
	v_cndmask_b32_e64 v2, v2, v4, s[12:13]
	v_cndmask_b32_e64 v1, v1, v3, s[12:13]
	v_cmp_lt_i32_e64 s[12:13], v7, v23
	s_or_b64 s[14:15], s[16:17], s[14:15]
	s_and_b64 s[12:13], s[12:13], s[14:15]
	v_cndmask_b32_e64 v3, v9, v11, s[12:13]
	v_mov_b32_e32 v9, v63
	v_cndmask_b32_e64 v4, v10, v12, s[12:13]
	s_barrier
	ds_write2_b64 v65, v[1:2], v[5:6] offset1:1
	ds_write_b64 v65, v[3:4] offset:16
	s_waitcnt lgkmcnt(0)
	s_barrier
	s_and_saveexec_b64 s[14:15], s[10:11]
	s_cbranch_execz .LBB134_78
; %bb.75:                               ;   in Loop: Header=BB134_2 Depth=1
	s_mov_b64 s[16:17], 0
	v_mov_b32_e32 v9, v63
	v_mov_b32_e32 v1, v64
.LBB134_76:                             ;   Parent Loop BB134_2 Depth=1
                                        ; =>  This Inner Loop Header: Depth=2
	v_sub_u32_e32 v2, v1, v9
	v_lshrrev_b32_e32 v2, 1, v2
	v_add_u32_e32 v6, v2, v9
	v_not_b32_e32 v3, v6
	v_lshlrev_b32_e32 v2, 3, v6
	v_lshl_add_u32 v4, v3, 3, v73
	ds_read_b64 v[2:3], v2
	ds_read_b64 v[4:5], v4 offset:1536
	v_add_u32_e32 v7, 1, v6
	s_waitcnt lgkmcnt(0)
	v_cmp_lt_i64_e64 s[12:13], v[4:5], v[2:3]
	v_cndmask_b32_e64 v1, v1, v6, s[12:13]
	v_cndmask_b32_e64 v9, v7, v9, s[12:13]
	v_cmp_ge_i32_e64 s[12:13], v9, v1
	s_or_b64 s[16:17], s[12:13], s[16:17]
	s_andn2_b64 exec, exec, s[16:17]
	s_cbranch_execnz .LBB134_76
; %bb.77:                               ;   in Loop: Header=BB134_2 Depth=1
	s_or_b64 exec, exec, s[16:17]
.LBB134_78:                             ;   in Loop: Header=BB134_2 Depth=1
	s_or_b64 exec, exec, s[14:15]
	v_lshlrev_b32_e32 v7, 3, v9
	v_sub_u32_e32 v1, v62, v9
	v_lshlrev_b32_e32 v11, 3, v1
	ds_read_b64 v[1:2], v7
	ds_read_b64 v[3:4], v11 offset:1536
	v_sub_u32_e32 v10, v72, v9
	v_cmp_le_i32_e64 s[16:17], v61, v9
	v_cmp_gt_i32_e64 s[12:13], s20, v10
                                        ; implicit-def: $vgpr5_vgpr6
	s_waitcnt lgkmcnt(0)
	v_cmp_lt_i64_e64 s[14:15], v[3:4], v[1:2]
	s_or_b64 s[14:15], s[16:17], s[14:15]
	s_and_b64 s[12:13], s[12:13], s[14:15]
	s_xor_b64 s[14:15], s[12:13], -1
	s_and_saveexec_b64 s[16:17], s[14:15]
	s_xor_b64 s[14:15], exec, s[16:17]
; %bb.79:                               ;   in Loop: Header=BB134_2 Depth=1
	ds_read_b64 v[5:6], v7 offset:8
                                        ; implicit-def: $vgpr11
; %bb.80:                               ;   in Loop: Header=BB134_2 Depth=1
	s_or_saveexec_b64 s[14:15], s[14:15]
	v_mov_b32_e32 v8, v4
	v_mov_b32_e32 v7, v3
	s_xor_b64 exec, exec, s[14:15]
	s_cbranch_execz .LBB134_82
; %bb.81:                               ;   in Loop: Header=BB134_2 Depth=1
	ds_read_b64 v[7:8], v11 offset:1544
	s_waitcnt lgkmcnt(1)
	v_mov_b32_e32 v6, v2
	v_mov_b32_e32 v5, v1
.LBB134_82:                             ;   in Loop: Header=BB134_2 Depth=1
	s_or_b64 exec, exec, s[14:15]
	v_add_u32_e32 v12, 1, v9
	v_add_u32_e32 v11, 1, v10
	v_cndmask_b32_e64 v76, v12, v9, s[12:13]
	s_waitcnt lgkmcnt(0)
	v_cmp_lt_i64_e64 s[16:17], v[7:8], v[5:6]
	v_cndmask_b32_e64 v74, v10, v11, s[12:13]
	v_cmp_ge_i32_e64 s[18:19], v76, v61
	v_cmp_gt_i32_e64 s[14:15], s20, v74
	s_or_b64 s[16:17], s[18:19], s[16:17]
	s_and_b64 s[14:15], s[14:15], s[16:17]
	s_xor_b64 s[16:17], s[14:15], -1
                                        ; implicit-def: $vgpr9_vgpr10
                                        ; implicit-def: $vgpr75
	s_and_saveexec_b64 s[18:19], s[16:17]
	s_xor_b64 s[16:17], exec, s[18:19]
; %bb.83:                               ;   in Loop: Header=BB134_2 Depth=1
	v_lshlrev_b32_e32 v9, 3, v76
	ds_read_b64 v[9:10], v9 offset:8
	v_add_u32_e32 v75, 1, v76
                                        ; implicit-def: $vgpr76
; %bb.84:                               ;   in Loop: Header=BB134_2 Depth=1
	s_or_saveexec_b64 s[16:17], s[16:17]
	v_mov_b32_e32 v12, v8
	v_mov_b32_e32 v11, v7
	s_xor_b64 exec, exec, s[16:17]
	s_cbranch_execz .LBB134_1
; %bb.85:                               ;   in Loop: Header=BB134_2 Depth=1
	s_waitcnt lgkmcnt(0)
	v_lshlrev_b32_e32 v9, 3, v74
	ds_read_b64 v[11:12], v9 offset:8
	v_mov_b32_e32 v10, v6
	v_add_u32_e32 v74, 1, v74
	v_mov_b32_e32 v75, v76
	v_mov_b32_e32 v9, v5
	s_branch .LBB134_1
.LBB134_86:
	s_add_u32 s0, s22, s24
	s_addc_u32 s1, s23, s25
	v_lshlrev_b32_e32 v0, 3, v0
	global_store_dwordx2 v0, v[1:2], s[0:1]
	global_store_dwordx2 v0, v[5:6], s[0:1] offset:1024
	global_store_dwordx2 v0, v[3:4], s[0:1] offset:2048
	s_endpgm
	.section	.rodata,"a",@progbits
	.p2align	6, 0x0
	.amdhsa_kernel _Z16sort_keys_kernelIxLj128ELj3EN10test_utils4lessELj10EEvPKT_PS2_T2_
		.amdhsa_group_segment_fixed_size 3080
		.amdhsa_private_segment_fixed_size 0
		.amdhsa_kernarg_size 20
		.amdhsa_user_sgpr_count 6
		.amdhsa_user_sgpr_private_segment_buffer 1
		.amdhsa_user_sgpr_dispatch_ptr 0
		.amdhsa_user_sgpr_queue_ptr 0
		.amdhsa_user_sgpr_kernarg_segment_ptr 1
		.amdhsa_user_sgpr_dispatch_id 0
		.amdhsa_user_sgpr_flat_scratch_init 0
		.amdhsa_user_sgpr_private_segment_size 0
		.amdhsa_uses_dynamic_stack 0
		.amdhsa_system_sgpr_private_segment_wavefront_offset 0
		.amdhsa_system_sgpr_workgroup_id_x 1
		.amdhsa_system_sgpr_workgroup_id_y 0
		.amdhsa_system_sgpr_workgroup_id_z 0
		.amdhsa_system_sgpr_workgroup_info 0
		.amdhsa_system_vgpr_workitem_id 0
		.amdhsa_next_free_vgpr 77
		.amdhsa_next_free_sgpr 61
		.amdhsa_reserve_vcc 1
		.amdhsa_reserve_flat_scratch 0
		.amdhsa_float_round_mode_32 0
		.amdhsa_float_round_mode_16_64 0
		.amdhsa_float_denorm_mode_32 3
		.amdhsa_float_denorm_mode_16_64 3
		.amdhsa_dx10_clamp 1
		.amdhsa_ieee_mode 1
		.amdhsa_fp16_overflow 0
		.amdhsa_exception_fp_ieee_invalid_op 0
		.amdhsa_exception_fp_denorm_src 0
		.amdhsa_exception_fp_ieee_div_zero 0
		.amdhsa_exception_fp_ieee_overflow 0
		.amdhsa_exception_fp_ieee_underflow 0
		.amdhsa_exception_fp_ieee_inexact 0
		.amdhsa_exception_int_div_zero 0
	.end_amdhsa_kernel
	.section	.text._Z16sort_keys_kernelIxLj128ELj3EN10test_utils4lessELj10EEvPKT_PS2_T2_,"axG",@progbits,_Z16sort_keys_kernelIxLj128ELj3EN10test_utils4lessELj10EEvPKT_PS2_T2_,comdat
.Lfunc_end134:
	.size	_Z16sort_keys_kernelIxLj128ELj3EN10test_utils4lessELj10EEvPKT_PS2_T2_, .Lfunc_end134-_Z16sort_keys_kernelIxLj128ELj3EN10test_utils4lessELj10EEvPKT_PS2_T2_
                                        ; -- End function
	.set _Z16sort_keys_kernelIxLj128ELj3EN10test_utils4lessELj10EEvPKT_PS2_T2_.num_vgpr, 77
	.set _Z16sort_keys_kernelIxLj128ELj3EN10test_utils4lessELj10EEvPKT_PS2_T2_.num_agpr, 0
	.set _Z16sort_keys_kernelIxLj128ELj3EN10test_utils4lessELj10EEvPKT_PS2_T2_.numbered_sgpr, 28
	.set _Z16sort_keys_kernelIxLj128ELj3EN10test_utils4lessELj10EEvPKT_PS2_T2_.num_named_barrier, 0
	.set _Z16sort_keys_kernelIxLj128ELj3EN10test_utils4lessELj10EEvPKT_PS2_T2_.private_seg_size, 0
	.set _Z16sort_keys_kernelIxLj128ELj3EN10test_utils4lessELj10EEvPKT_PS2_T2_.uses_vcc, 1
	.set _Z16sort_keys_kernelIxLj128ELj3EN10test_utils4lessELj10EEvPKT_PS2_T2_.uses_flat_scratch, 0
	.set _Z16sort_keys_kernelIxLj128ELj3EN10test_utils4lessELj10EEvPKT_PS2_T2_.has_dyn_sized_stack, 0
	.set _Z16sort_keys_kernelIxLj128ELj3EN10test_utils4lessELj10EEvPKT_PS2_T2_.has_recursion, 0
	.set _Z16sort_keys_kernelIxLj128ELj3EN10test_utils4lessELj10EEvPKT_PS2_T2_.has_indirect_call, 0
	.section	.AMDGPU.csdata,"",@progbits
; Kernel info:
; codeLenInByte = 4844
; TotalNumSgprs: 32
; NumVgprs: 77
; ScratchSize: 0
; MemoryBound: 0
; FloatMode: 240
; IeeeMode: 1
; LDSByteSize: 3080 bytes/workgroup (compile time only)
; SGPRBlocks: 8
; VGPRBlocks: 19
; NumSGPRsForWavesPerEU: 65
; NumVGPRsForWavesPerEU: 77
; Occupancy: 3
; WaveLimiterHint : 1
; COMPUTE_PGM_RSRC2:SCRATCH_EN: 0
; COMPUTE_PGM_RSRC2:USER_SGPR: 6
; COMPUTE_PGM_RSRC2:TRAP_HANDLER: 0
; COMPUTE_PGM_RSRC2:TGID_X_EN: 1
; COMPUTE_PGM_RSRC2:TGID_Y_EN: 0
; COMPUTE_PGM_RSRC2:TGID_Z_EN: 0
; COMPUTE_PGM_RSRC2:TIDIG_COMP_CNT: 0
	.section	.text._Z17sort_pairs_kernelIxLj128ELj3EN10test_utils4lessELj10EEvPKT_PS2_T2_,"axG",@progbits,_Z17sort_pairs_kernelIxLj128ELj3EN10test_utils4lessELj10EEvPKT_PS2_T2_,comdat
	.protected	_Z17sort_pairs_kernelIxLj128ELj3EN10test_utils4lessELj10EEvPKT_PS2_T2_ ; -- Begin function _Z17sort_pairs_kernelIxLj128ELj3EN10test_utils4lessELj10EEvPKT_PS2_T2_
	.globl	_Z17sort_pairs_kernelIxLj128ELj3EN10test_utils4lessELj10EEvPKT_PS2_T2_
	.p2align	8
	.type	_Z17sort_pairs_kernelIxLj128ELj3EN10test_utils4lessELj10EEvPKT_PS2_T2_,@function
_Z17sort_pairs_kernelIxLj128ELj3EN10test_utils4lessELj10EEvPKT_PS2_T2_: ; @_Z17sort_pairs_kernelIxLj128ELj3EN10test_utils4lessELj10EEvPKT_PS2_T2_
; %bb.0:
	s_load_dwordx4 s[24:27], s[4:5], 0x0
	s_mul_i32 s30, s6, 0x180
	s_mov_b32 s31, 0
	s_lshl_b64 s[28:29], s[30:31], 3
	v_lshlrev_b32_e32 v1, 3, v0
	s_waitcnt lgkmcnt(0)
	s_add_u32 s0, s24, s28
	s_addc_u32 s1, s25, s29
	global_load_dwordx2 v[7:8], v1, s[0:1]
	global_load_dwordx2 v[11:12], v1, s[0:1] offset:1024
	global_load_dwordx2 v[9:10], v1, s[0:1] offset:2048
	v_and_b32_e32 v3, 0x7c, v0
	v_mul_u32_u24_e32 v37, 3, v3
	v_min_u32_e32 v41, 0x17a, v37
	v_min_u32_e32 v3, 0x174, v37
	v_and_b32_e32 v13, 3, v0
	v_and_b32_e32 v4, 0x78, v0
	v_add_u32_e32 v22, 6, v41
	v_add_u32_e32 v23, 12, v3
	v_and_b32_e32 v5, 0x70, v0
	v_mul_u32_u24_e32 v40, 3, v13
	v_mul_u32_u24_e32 v43, 3, v4
	v_sub_u32_e32 v38, v23, v22
	v_and_b32_e32 v2, 1, v0
	v_and_b32_e32 v6, 0x60, v0
	v_mul_u32_u24_e32 v49, 3, v5
	v_min_u32_e32 v47, 0x174, v43
	v_min_u32_e32 v4, 0x168, v43
	v_sub_u32_e32 v39, v40, v38
	v_min_u32_e32 v37, 0x180, v37
	v_cmp_ge_i32_e64 s[0:1], v40, v38
	v_and_b32_e32 v14, 7, v0
	v_cmp_eq_u32_e32 vcc, 1, v2
	v_mul_u32_u24_e32 v55, 3, v6
	v_min_u32_e32 v5, 0x150, v49
	v_add_u32_e32 v24, 12, v47
	v_add_u32_e32 v25, 24, v4
	v_cndmask_b32_e64 v38, 0, v39, s[0:1]
	v_sub_u32_e32 v39, v22, v37
	v_cndmask_b32_e64 v36, 0, 3, vcc
	v_mul_u32_u24_e32 v46, 3, v14
	v_min_u32_e32 v53, 0x168, v49
	v_min_u32_e32 v6, 0x120, v55
	v_add_u32_e32 v27, 48, v5
	v_sub_u32_e32 v44, v25, v24
	v_min_i32_e32 v39, v40, v39
	v_lshlrev_b32_e32 v40, 3, v40
	v_min_u32_e32 v43, 0x180, v43
	v_and_b32_e32 v1, 0x7e, v0
	v_and_b32_e32 v15, 15, v0
	v_add_u32_e32 v26, 24, v53
	v_add_u32_e32 v28, 0x60, v6
	v_sub_u32_e32 v45, v46, v44
	v_lshl_add_u32 v40, v41, 3, v40
	v_mad_u32_u24 v41, v13, 3, v41
	v_mad_u32_u24 v42, v13, 3, v22
	v_cmp_ge_i32_e64 s[2:3], v46, v44
	v_sub_u32_e32 v13, v24, v43
	v_and_b32_e32 v17, 64, v0
	v_mul_u32_u24_e32 v1, 3, v1
	v_mul_u32_u24_e32 v52, 3, v15
	v_min_u32_e32 v59, 0x150, v55
	v_sub_u32_e32 v50, v27, v26
	v_cndmask_b32_e64 v44, 0, v45, s[2:3]
	v_min_i32_e32 v45, v46, v13
	v_lshlrev_b32_e32 v13, 3, v46
	v_min_u32_e32 v49, 0x180, v49
	v_and_b32_e32 v16, 31, v0
	v_mul_u32_u24_e32 v17, 3, v17
	v_min_u32_e32 v35, 0x17d, v1
	v_min_u32_e32 v2, 0x17a, v1
	v_add_u32_e32 v29, 48, v59
	v_sub_u32_e32 v51, v52, v50
	v_lshl_add_u32 v46, v47, 3, v13
	v_cmp_ge_i32_e64 s[4:5], v52, v50
	v_sub_u32_e32 v13, v26, v49
	v_mul_u32_u24_e32 v58, 3, v16
	v_min_u32_e32 v30, 0xc0, v17
	v_min_u32_e32 v65, 0x120, v17
	;; [unrolled: 1-line block ×3, first 2 shown]
	v_add_u32_e32 v20, 3, v35
	v_add_u32_e32 v21, 6, v2
	v_sub_u32_e32 v56, v28, v29
	v_cndmask_b32_e64 v50, 0, v51, s[4:5]
	v_min_i32_e32 v51, v52, v13
	v_lshlrev_b32_e32 v13, 3, v52
	v_min_u32_e32 v55, 0x180, v55
	v_and_b32_e32 v18, 63, v0
	s_waitcnt vmcnt(2)
	v_add_co_u32_e32 v5, vcc, 1, v7
	v_addc_co_u32_e32 v6, vcc, 0, v8, vcc
	s_waitcnt vmcnt(1)
	v_add_co_u32_e32 v3, vcc, 1, v11
	v_addc_co_u32_e32 v4, vcc, 0, v12, vcc
	s_waitcnt vmcnt(0)
	v_add_co_u32_e32 v1, vcc, 1, v9
	v_add_u32_e32 v30, 0xc0, v30
	v_add_u32_e32 v31, 0x60, v65
	v_sub_u32_e32 v32, v21, v20
	v_sub_u32_e32 v57, v58, v56
	v_addc_co_u32_e32 v2, vcc, 0, v10, vcc
	v_lshl_add_u32 v52, v53, 3, v13
	v_cmp_ge_i32_e64 s[6:7], v58, v56
	v_sub_u32_e32 v13, v29, v55
	v_mul_u32_u24_e32 v64, 3, v18
	v_sub_u32_e32 v62, v30, v31
	v_sub_u32_e32 v33, v36, v32
	v_cmp_ge_i32_e32 vcc, v36, v32
	v_cndmask_b32_e64 v56, 0, v57, s[6:7]
	v_min_i32_e32 v57, v58, v13
	v_lshlrev_b32_e32 v13, 3, v58
	v_min_u32_e32 v61, 0x180, v17
	v_sub_u32_e32 v63, v64, v62
	v_cndmask_b32_e32 v32, 0, v33, vcc
	v_sub_u32_e32 v33, v20, v19
	v_lshl_add_u32 v58, v59, 3, v13
	v_cmp_ge_i32_e64 s[8:9], v64, v62
	v_sub_u32_e32 v13, v31, v61
	v_mov_b32_e32 v67, 0xc0
	v_mul_u32_u24_e32 v68, 3, v0
	v_min_i32_e32 v33, v36, v33
	v_lshlrev_b32_e32 v34, 3, v36
	v_cndmask_b32_e64 v62, 0, v63, s[8:9]
	v_min_i32_e32 v63, v64, v13
	v_lshlrev_b32_e32 v13, 3, v64
	v_sub_u32_e64 v69, v68, v67 clamp
	v_min_i32_e32 v70, 0xc0, v68
	s_movk_i32 s30, 0x180
	v_cmp_lt_i32_e32 vcc, v32, v33
	v_lshl_add_u32 v34, v35, 3, v34
	v_add_u32_e32 v35, v35, v36
	v_add_u32_e32 v36, v20, v36
	v_cmp_lt_i32_e64 s[0:1], v38, v39
	v_cmp_lt_i32_e64 s[2:3], v44, v45
	v_mad_u32_u24 v47, v14, 3, v47
	v_mad_u32_u24 v48, v14, 3, v24
	v_cmp_lt_i32_e64 s[4:5], v50, v51
	v_mad_u32_u24 v53, v15, 3, v53
	v_mad_u32_u24 v54, v15, 3, v26
	;; [unrolled: 3-line block ×3, first 2 shown]
	v_cmp_lt_i32_e64 s[8:9], v62, v63
	v_lshl_add_u32 v64, v65, 3, v13
	v_mad_u32_u24 v65, v18, 3, v65
	v_mad_u32_u24 v66, v18, 3, v31
	v_cmp_lt_i32_e64 s[10:11], v69, v70
	v_mul_u32_u24_e32 v71, 24, v0
	v_lshlrev_b32_e32 v72, 3, v19
	v_lshlrev_b32_e32 v73, 3, v37
	;; [unrolled: 1-line block ×6, first 2 shown]
	s_branch .LBB135_2
.LBB135_1:                              ;   in Loop: Header=BB135_2 Depth=1
	s_or_b64 exec, exec, s[16:17]
	s_waitcnt lgkmcnt(0)
	v_cmp_lt_i64_e64 s[16:17], v[17:18], v[15:16]
	v_cmp_ge_i32_e64 s[18:19], v82, v67
	v_cndmask_b32_e64 v8, v8, v14, s[12:13]
	v_cndmask_b32_e64 v7, v7, v13, s[12:13]
	;; [unrolled: 1-line block ×3, first 2 shown]
	v_cmp_gt_i32_e64 s[12:13], s30, v80
	s_or_b64 s[16:17], s[18:19], s[16:17]
	s_and_b64 s[12:13], s[12:13], s[16:17]
	v_cndmask_b32_e64 v14, v82, v80, s[12:13]
	s_barrier
	ds_write2_b64 v71, v[1:2], v[5:6] offset1:1
	ds_write_b64 v71, v[3:4] offset:16
	v_lshlrev_b32_e32 v1, 3, v13
	v_lshlrev_b32_e32 v2, 3, v81
	s_waitcnt lgkmcnt(0)
	s_barrier
	v_lshlrev_b32_e32 v13, 3, v14
	ds_read_b64 v[5:6], v1
	ds_read_b64 v[3:4], v2
	;; [unrolled: 1-line block ×3, first 2 shown]
	s_add_i32 s31, s31, 1
	v_cndmask_b32_e64 v12, v10, v12, s[14:15]
	v_cndmask_b32_e64 v10, v16, v18, s[12:13]
	;; [unrolled: 1-line block ×3, first 2 shown]
	s_cmp_eq_u32 s31, 10
	v_cndmask_b32_e64 v9, v15, v17, s[12:13]
	s_cbranch_scc1 .LBB135_86
.LBB135_2:                              ; =>This Loop Header: Depth=1
                                        ;     Child Loop BB135_4 Depth 2
                                        ;     Child Loop BB135_16 Depth 2
	;; [unrolled: 1-line block ×7, first 2 shown]
	v_cmp_lt_i64_e64 s[12:13], v[11:12], v[7:8]
	v_cmp_gt_i64_e64 s[14:15], v[11:12], v[7:8]
	v_cndmask_b32_e64 v14, v8, v12, s[12:13]
	v_cndmask_b32_e64 v13, v7, v11, s[12:13]
	;; [unrolled: 1-line block ×6, first 2 shown]
	v_cmp_lt_i64_e64 s[14:15], v[9:10], v[7:8]
	v_cndmask_b32_e64 v12, v10, v8, s[14:15]
	v_cndmask_b32_e64 v11, v9, v7, s[14:15]
	;; [unrolled: 1-line block ×4, first 2 shown]
	v_cmp_lt_i64_e64 s[16:17], v[7:8], v[13:14]
	v_cndmask_b32_e64 v16, v16, v9, s[14:15]
	v_cndmask_b32_e64 v15, v15, v10, s[14:15]
	;; [unrolled: 1-line block ×6, first 2 shown]
	s_waitcnt lgkmcnt(0)
	s_barrier
	ds_write2_b64 v71, v[7:8], v[9:10] offset1:1
	ds_write_b64 v71, v[11:12] offset:16
	v_mov_b32_e32 v11, v32
	s_waitcnt lgkmcnt(0)
	s_barrier
	s_and_saveexec_b64 s[20:21], vcc
	s_cbranch_execz .LBB135_6
; %bb.3:                                ;   in Loop: Header=BB135_2 Depth=1
	s_mov_b64 s[22:23], 0
	v_mov_b32_e32 v11, v32
	v_mov_b32_e32 v7, v33
.LBB135_4:                              ;   Parent Loop BB135_2 Depth=1
                                        ; =>  This Inner Loop Header: Depth=2
	v_sub_u32_e32 v8, v7, v11
	v_lshrrev_b32_e32 v8, 1, v8
	v_add_u32_e32 v10, v8, v11
	v_not_b32_e32 v9, v10
	v_lshl_add_u32 v8, v10, 3, v72
	v_lshl_add_u32 v12, v9, 3, v34
	ds_read_b64 v[8:9], v8
	ds_read_b64 v[12:13], v12 offset:24
	v_add_u32_e32 v14, 1, v10
	s_waitcnt lgkmcnt(0)
	v_cmp_lt_i64_e64 s[18:19], v[12:13], v[8:9]
	v_cndmask_b32_e64 v7, v7, v10, s[18:19]
	v_cndmask_b32_e64 v11, v14, v11, s[18:19]
	v_cmp_ge_i32_e64 s[18:19], v11, v7
	s_or_b64 s[22:23], s[18:19], s[22:23]
	s_andn2_b64 exec, exec, s[22:23]
	s_cbranch_execnz .LBB135_4
; %bb.5:                                ;   in Loop: Header=BB135_2 Depth=1
	s_or_b64 exec, exec, s[22:23]
.LBB135_6:                              ;   in Loop: Header=BB135_2 Depth=1
	s_or_b64 exec, exec, s[20:21]
	v_lshl_add_u32 v14, v11, 3, v72
	v_sub_u32_e32 v7, v35, v11
	v_lshlrev_b32_e32 v13, 3, v7
	ds_read_b64 v[7:8], v14
	ds_read_b64 v[9:10], v13 offset:24
	v_add_u32_e32 v78, v11, v19
	v_sub_u32_e32 v79, v36, v11
	v_cmp_le_i32_e64 s[22:23], v20, v78
	v_cmp_gt_i32_e64 s[18:19], v21, v79
	s_waitcnt lgkmcnt(0)
	v_cmp_lt_i64_e64 s[20:21], v[9:10], v[7:8]
                                        ; implicit-def: $vgpr11_vgpr12
	s_or_b64 s[20:21], s[22:23], s[20:21]
	s_and_b64 s[18:19], s[18:19], s[20:21]
	s_xor_b64 s[20:21], s[18:19], -1
	s_and_saveexec_b64 s[22:23], s[20:21]
	s_xor_b64 s[20:21], exec, s[22:23]
; %bb.7:                                ;   in Loop: Header=BB135_2 Depth=1
	ds_read_b64 v[11:12], v14 offset:8
                                        ; implicit-def: $vgpr13
; %bb.8:                                ;   in Loop: Header=BB135_2 Depth=1
	s_or_saveexec_b64 s[20:21], s[20:21]
	v_mov_b32_e32 v16, v10
	v_mov_b32_e32 v15, v9
	s_xor_b64 exec, exec, s[20:21]
	s_cbranch_execz .LBB135_10
; %bb.9:                                ;   in Loop: Header=BB135_2 Depth=1
	ds_read_b64 v[15:16], v13 offset:32
	s_waitcnt lgkmcnt(1)
	v_mov_b32_e32 v12, v8
	v_mov_b32_e32 v11, v7
.LBB135_10:                             ;   in Loop: Header=BB135_2 Depth=1
	s_or_b64 exec, exec, s[20:21]
	v_add_u32_e32 v14, 1, v78
	v_add_u32_e32 v13, 1, v79
	v_cndmask_b32_e64 v81, v14, v78, s[18:19]
	s_waitcnt lgkmcnt(0)
	v_cmp_lt_i64_e64 s[22:23], v[15:16], v[11:12]
	v_cndmask_b32_e64 v80, v79, v13, s[18:19]
	v_cmp_ge_i32_e64 s[24:25], v81, v20
	v_cmp_lt_i32_e64 s[20:21], v80, v21
	s_or_b64 s[22:23], s[24:25], s[22:23]
	s_and_b64 s[20:21], s[20:21], s[22:23]
	s_xor_b64 s[22:23], s[20:21], -1
                                        ; implicit-def: $vgpr13_vgpr14
	s_and_saveexec_b64 s[24:25], s[22:23]
	s_xor_b64 s[22:23], exec, s[24:25]
; %bb.11:                               ;   in Loop: Header=BB135_2 Depth=1
	v_lshlrev_b32_e32 v13, 3, v81
	ds_read_b64 v[13:14], v13 offset:8
; %bb.12:                               ;   in Loop: Header=BB135_2 Depth=1
	s_or_saveexec_b64 s[22:23], s[22:23]
	v_mov_b32_e32 v18, v16
	v_mov_b32_e32 v17, v15
	s_xor_b64 exec, exec, s[22:23]
	s_cbranch_execz .LBB135_14
; %bb.13:                               ;   in Loop: Header=BB135_2 Depth=1
	s_waitcnt lgkmcnt(0)
	v_lshlrev_b32_e32 v13, 3, v80
	ds_read_b64 v[17:18], v13 offset:8
	v_mov_b32_e32 v14, v12
	v_mov_b32_e32 v13, v11
.LBB135_14:                             ;   in Loop: Header=BB135_2 Depth=1
	s_or_b64 exec, exec, s[22:23]
	v_cndmask_b32_e64 v12, v12, v16, s[20:21]
	v_add_u32_e32 v16, 1, v81
	v_cndmask_b32_e64 v8, v8, v10, s[18:19]
	v_cndmask_b32_e64 v7, v7, v9, s[18:19]
	;; [unrolled: 1-line block ×7, first 2 shown]
	v_add_u32_e32 v15, 1, v80
	v_cndmask_b32_e64 v16, v16, v81, s[20:21]
	v_cndmask_b32_e64 v4, v2, v6, s[14:15]
	;; [unrolled: 1-line block ×5, first 2 shown]
	s_waitcnt lgkmcnt(0)
	v_cmp_lt_i64_e64 s[14:15], v[17:18], v[13:14]
	v_cndmask_b32_e64 v15, v80, v15, s[20:21]
	v_cndmask_b32_e64 v2, v6, v10, s[16:17]
	;; [unrolled: 1-line block ×5, first 2 shown]
	v_cmp_ge_i32_e64 s[16:17], v16, v20
	v_cmp_lt_i32_e64 s[12:13], v15, v21
	s_or_b64 s[14:15], s[16:17], s[14:15]
	s_and_b64 s[12:13], s[12:13], s[14:15]
	v_cndmask_b32_e64 v80, v81, v80, s[20:21]
	v_cndmask_b32_e64 v78, v78, v79, s[18:19]
	;; [unrolled: 1-line block ×4, first 2 shown]
	s_barrier
	ds_write2_b64 v71, v[5:6], v[1:2] offset1:1
	ds_write_b64 v71, v[3:4] offset:16
	v_lshlrev_b32_e32 v1, 3, v78
	v_lshlrev_b32_e32 v3, 3, v80
	;; [unrolled: 1-line block ×3, first 2 shown]
	s_waitcnt lgkmcnt(0)
	s_barrier
	ds_read_b64 v[1:2], v1
	ds_read_b64 v[5:6], v3
	ds_read_b64 v[3:4], v4
	v_cndmask_b32_e64 v10, v14, v18, s[12:13]
	s_waitcnt lgkmcnt(0)
	s_barrier
	ds_write2_b64 v71, v[7:8], v[11:12] offset1:1
	ds_write_b64 v71, v[9:10] offset:16
	v_mov_b32_e32 v11, v38
	s_waitcnt lgkmcnt(0)
	s_barrier
	s_and_saveexec_b64 s[14:15], s[0:1]
	s_cbranch_execz .LBB135_18
; %bb.15:                               ;   in Loop: Header=BB135_2 Depth=1
	s_mov_b64 s[16:17], 0
	v_mov_b32_e32 v11, v38
	v_mov_b32_e32 v7, v39
.LBB135_16:                             ;   Parent Loop BB135_2 Depth=1
                                        ; =>  This Inner Loop Header: Depth=2
	v_sub_u32_e32 v8, v7, v11
	v_lshrrev_b32_e32 v8, 1, v8
	v_add_u32_e32 v10, v8, v11
	v_not_b32_e32 v9, v10
	v_lshl_add_u32 v8, v10, 3, v73
	v_lshl_add_u32 v12, v9, 3, v40
	ds_read_b64 v[8:9], v8
	ds_read_b64 v[12:13], v12 offset:48
	v_add_u32_e32 v14, 1, v10
	s_waitcnt lgkmcnt(0)
	v_cmp_lt_i64_e64 s[12:13], v[12:13], v[8:9]
	v_cndmask_b32_e64 v7, v7, v10, s[12:13]
	v_cndmask_b32_e64 v11, v14, v11, s[12:13]
	v_cmp_ge_i32_e64 s[12:13], v11, v7
	s_or_b64 s[16:17], s[12:13], s[16:17]
	s_andn2_b64 exec, exec, s[16:17]
	s_cbranch_execnz .LBB135_16
; %bb.17:                               ;   in Loop: Header=BB135_2 Depth=1
	s_or_b64 exec, exec, s[16:17]
.LBB135_18:                             ;   in Loop: Header=BB135_2 Depth=1
	s_or_b64 exec, exec, s[14:15]
	v_lshl_add_u32 v13, v11, 3, v73
	v_sub_u32_e32 v7, v41, v11
	v_lshlrev_b32_e32 v15, 3, v7
	ds_read_b64 v[7:8], v13
	ds_read_b64 v[9:10], v15 offset:48
	v_add_u32_e32 v78, v11, v37
	v_sub_u32_e32 v79, v42, v11
	v_cmp_le_i32_e64 s[16:17], v22, v78
	v_cmp_gt_i32_e64 s[12:13], v23, v79
	s_waitcnt lgkmcnt(0)
	v_cmp_lt_i64_e64 s[14:15], v[9:10], v[7:8]
                                        ; implicit-def: $vgpr11_vgpr12
	s_or_b64 s[14:15], s[16:17], s[14:15]
	s_and_b64 s[12:13], s[12:13], s[14:15]
	s_xor_b64 s[14:15], s[12:13], -1
	s_and_saveexec_b64 s[16:17], s[14:15]
	s_xor_b64 s[14:15], exec, s[16:17]
; %bb.19:                               ;   in Loop: Header=BB135_2 Depth=1
	ds_read_b64 v[11:12], v13 offset:8
                                        ; implicit-def: $vgpr15
; %bb.20:                               ;   in Loop: Header=BB135_2 Depth=1
	s_or_saveexec_b64 s[14:15], s[14:15]
	v_mov_b32_e32 v14, v10
	v_mov_b32_e32 v13, v9
	s_xor_b64 exec, exec, s[14:15]
	s_cbranch_execz .LBB135_22
; %bb.21:                               ;   in Loop: Header=BB135_2 Depth=1
	ds_read_b64 v[13:14], v15 offset:56
	s_waitcnt lgkmcnt(1)
	v_mov_b32_e32 v12, v8
	v_mov_b32_e32 v11, v7
.LBB135_22:                             ;   in Loop: Header=BB135_2 Depth=1
	s_or_b64 exec, exec, s[14:15]
	v_add_u32_e32 v16, 1, v78
	v_add_u32_e32 v15, 1, v79
	v_cndmask_b32_e64 v81, v16, v78, s[12:13]
	s_waitcnt lgkmcnt(0)
	v_cmp_lt_i64_e64 s[16:17], v[13:14], v[11:12]
	v_cndmask_b32_e64 v80, v79, v15, s[12:13]
	v_cmp_ge_i32_e64 s[18:19], v81, v22
	v_cmp_lt_i32_e64 s[14:15], v80, v23
	s_or_b64 s[16:17], s[18:19], s[16:17]
	s_and_b64 s[14:15], s[14:15], s[16:17]
	s_xor_b64 s[16:17], s[14:15], -1
                                        ; implicit-def: $vgpr15_vgpr16
	s_and_saveexec_b64 s[18:19], s[16:17]
	s_xor_b64 s[16:17], exec, s[18:19]
; %bb.23:                               ;   in Loop: Header=BB135_2 Depth=1
	v_lshlrev_b32_e32 v15, 3, v81
	ds_read_b64 v[15:16], v15 offset:8
; %bb.24:                               ;   in Loop: Header=BB135_2 Depth=1
	s_or_saveexec_b64 s[16:17], s[16:17]
	v_mov_b32_e32 v18, v14
	v_mov_b32_e32 v17, v13
	s_xor_b64 exec, exec, s[16:17]
	s_cbranch_execz .LBB135_26
; %bb.25:                               ;   in Loop: Header=BB135_2 Depth=1
	s_waitcnt lgkmcnt(0)
	v_lshlrev_b32_e32 v15, 3, v80
	ds_read_b64 v[17:18], v15 offset:8
	v_mov_b32_e32 v16, v12
	v_mov_b32_e32 v15, v11
.LBB135_26:                             ;   in Loop: Header=BB135_2 Depth=1
	s_or_b64 exec, exec, s[16:17]
	v_cndmask_b32_e64 v12, v12, v14, s[14:15]
	v_cndmask_b32_e64 v11, v11, v13, s[14:15]
	v_add_u32_e32 v13, 1, v80
	v_add_u32_e32 v14, 1, v81
	v_cndmask_b32_e64 v13, v80, v13, s[14:15]
	v_cndmask_b32_e64 v14, v14, v81, s[14:15]
	;; [unrolled: 1-line block ×3, first 2 shown]
	s_waitcnt lgkmcnt(0)
	v_cmp_lt_i64_e64 s[14:15], v[17:18], v[15:16]
	v_cmp_ge_i32_e64 s[16:17], v14, v22
	v_cndmask_b32_e64 v8, v8, v10, s[12:13]
	v_cndmask_b32_e64 v7, v7, v9, s[12:13]
	;; [unrolled: 1-line block ×3, first 2 shown]
	v_cmp_lt_i32_e64 s[12:13], v13, v23
	s_or_b64 s[14:15], s[16:17], s[14:15]
	s_and_b64 s[12:13], s[12:13], s[14:15]
	v_cndmask_b32_e64 v13, v14, v13, s[12:13]
	s_barrier
	ds_write2_b64 v71, v[1:2], v[5:6] offset1:1
	ds_write_b64 v71, v[3:4] offset:16
	v_lshlrev_b32_e32 v1, 3, v78
	v_lshlrev_b32_e32 v3, 3, v80
	;; [unrolled: 1-line block ×3, first 2 shown]
	s_waitcnt lgkmcnt(0)
	s_barrier
	ds_read_b64 v[1:2], v1
	ds_read_b64 v[5:6], v3
	;; [unrolled: 1-line block ×3, first 2 shown]
	v_cndmask_b32_e64 v10, v16, v18, s[12:13]
	v_cndmask_b32_e64 v9, v15, v17, s[12:13]
	s_waitcnt lgkmcnt(0)
	s_barrier
	ds_write2_b64 v71, v[7:8], v[11:12] offset1:1
	ds_write_b64 v71, v[9:10] offset:16
	v_mov_b32_e32 v11, v44
	s_waitcnt lgkmcnt(0)
	s_barrier
	s_and_saveexec_b64 s[14:15], s[2:3]
	s_cbranch_execz .LBB135_30
; %bb.27:                               ;   in Loop: Header=BB135_2 Depth=1
	s_mov_b64 s[16:17], 0
	v_mov_b32_e32 v11, v44
	v_mov_b32_e32 v7, v45
.LBB135_28:                             ;   Parent Loop BB135_2 Depth=1
                                        ; =>  This Inner Loop Header: Depth=2
	v_sub_u32_e32 v8, v7, v11
	v_lshrrev_b32_e32 v8, 1, v8
	v_add_u32_e32 v10, v8, v11
	v_not_b32_e32 v9, v10
	v_lshl_add_u32 v8, v10, 3, v74
	v_lshl_add_u32 v12, v9, 3, v46
	ds_read_b64 v[8:9], v8
	ds_read_b64 v[12:13], v12 offset:96
	v_add_u32_e32 v14, 1, v10
	s_waitcnt lgkmcnt(0)
	v_cmp_lt_i64_e64 s[12:13], v[12:13], v[8:9]
	v_cndmask_b32_e64 v7, v7, v10, s[12:13]
	v_cndmask_b32_e64 v11, v14, v11, s[12:13]
	v_cmp_ge_i32_e64 s[12:13], v11, v7
	s_or_b64 s[16:17], s[12:13], s[16:17]
	s_andn2_b64 exec, exec, s[16:17]
	s_cbranch_execnz .LBB135_28
; %bb.29:                               ;   in Loop: Header=BB135_2 Depth=1
	s_or_b64 exec, exec, s[16:17]
.LBB135_30:                             ;   in Loop: Header=BB135_2 Depth=1
	s_or_b64 exec, exec, s[14:15]
	v_lshl_add_u32 v13, v11, 3, v74
	v_sub_u32_e32 v7, v47, v11
	v_lshlrev_b32_e32 v15, 3, v7
	ds_read_b64 v[7:8], v13
	ds_read_b64 v[9:10], v15 offset:96
	v_add_u32_e32 v78, v11, v43
	v_sub_u32_e32 v79, v48, v11
	v_cmp_le_i32_e64 s[16:17], v24, v78
	v_cmp_gt_i32_e64 s[12:13], v25, v79
	s_waitcnt lgkmcnt(0)
	v_cmp_lt_i64_e64 s[14:15], v[9:10], v[7:8]
                                        ; implicit-def: $vgpr11_vgpr12
	s_or_b64 s[14:15], s[16:17], s[14:15]
	s_and_b64 s[12:13], s[12:13], s[14:15]
	s_xor_b64 s[14:15], s[12:13], -1
	s_and_saveexec_b64 s[16:17], s[14:15]
	s_xor_b64 s[14:15], exec, s[16:17]
; %bb.31:                               ;   in Loop: Header=BB135_2 Depth=1
	ds_read_b64 v[11:12], v13 offset:8
                                        ; implicit-def: $vgpr15
; %bb.32:                               ;   in Loop: Header=BB135_2 Depth=1
	s_or_saveexec_b64 s[14:15], s[14:15]
	v_mov_b32_e32 v14, v10
	v_mov_b32_e32 v13, v9
	s_xor_b64 exec, exec, s[14:15]
	s_cbranch_execz .LBB135_34
; %bb.33:                               ;   in Loop: Header=BB135_2 Depth=1
	ds_read_b64 v[13:14], v15 offset:104
	s_waitcnt lgkmcnt(1)
	v_mov_b32_e32 v12, v8
	v_mov_b32_e32 v11, v7
.LBB135_34:                             ;   in Loop: Header=BB135_2 Depth=1
	s_or_b64 exec, exec, s[14:15]
	v_add_u32_e32 v16, 1, v78
	v_add_u32_e32 v15, 1, v79
	v_cndmask_b32_e64 v81, v16, v78, s[12:13]
	s_waitcnt lgkmcnt(0)
	v_cmp_lt_i64_e64 s[16:17], v[13:14], v[11:12]
	v_cndmask_b32_e64 v80, v79, v15, s[12:13]
	v_cmp_ge_i32_e64 s[18:19], v81, v24
	v_cmp_lt_i32_e64 s[14:15], v80, v25
	s_or_b64 s[16:17], s[18:19], s[16:17]
	s_and_b64 s[14:15], s[14:15], s[16:17]
	s_xor_b64 s[16:17], s[14:15], -1
                                        ; implicit-def: $vgpr15_vgpr16
	s_and_saveexec_b64 s[18:19], s[16:17]
	s_xor_b64 s[16:17], exec, s[18:19]
; %bb.35:                               ;   in Loop: Header=BB135_2 Depth=1
	v_lshlrev_b32_e32 v15, 3, v81
	ds_read_b64 v[15:16], v15 offset:8
; %bb.36:                               ;   in Loop: Header=BB135_2 Depth=1
	s_or_saveexec_b64 s[16:17], s[16:17]
	v_mov_b32_e32 v18, v14
	v_mov_b32_e32 v17, v13
	s_xor_b64 exec, exec, s[16:17]
	s_cbranch_execz .LBB135_38
; %bb.37:                               ;   in Loop: Header=BB135_2 Depth=1
	s_waitcnt lgkmcnt(0)
	v_lshlrev_b32_e32 v15, 3, v80
	ds_read_b64 v[17:18], v15 offset:8
	v_mov_b32_e32 v16, v12
	v_mov_b32_e32 v15, v11
.LBB135_38:                             ;   in Loop: Header=BB135_2 Depth=1
	s_or_b64 exec, exec, s[16:17]
	v_cndmask_b32_e64 v12, v12, v14, s[14:15]
	v_cndmask_b32_e64 v11, v11, v13, s[14:15]
	v_add_u32_e32 v13, 1, v80
	v_add_u32_e32 v14, 1, v81
	v_cndmask_b32_e64 v13, v80, v13, s[14:15]
	v_cndmask_b32_e64 v14, v14, v81, s[14:15]
	;; [unrolled: 1-line block ×3, first 2 shown]
	s_waitcnt lgkmcnt(0)
	v_cmp_lt_i64_e64 s[14:15], v[17:18], v[15:16]
	v_cmp_ge_i32_e64 s[16:17], v14, v24
	v_cndmask_b32_e64 v8, v8, v10, s[12:13]
	v_cndmask_b32_e64 v7, v7, v9, s[12:13]
	;; [unrolled: 1-line block ×3, first 2 shown]
	v_cmp_lt_i32_e64 s[12:13], v13, v25
	s_or_b64 s[14:15], s[16:17], s[14:15]
	s_and_b64 s[12:13], s[12:13], s[14:15]
	v_cndmask_b32_e64 v13, v14, v13, s[12:13]
	s_barrier
	ds_write2_b64 v71, v[1:2], v[5:6] offset1:1
	ds_write_b64 v71, v[3:4] offset:16
	v_lshlrev_b32_e32 v1, 3, v78
	v_lshlrev_b32_e32 v3, 3, v80
	;; [unrolled: 1-line block ×3, first 2 shown]
	s_waitcnt lgkmcnt(0)
	s_barrier
	ds_read_b64 v[1:2], v1
	ds_read_b64 v[5:6], v3
	;; [unrolled: 1-line block ×3, first 2 shown]
	v_cndmask_b32_e64 v10, v16, v18, s[12:13]
	v_cndmask_b32_e64 v9, v15, v17, s[12:13]
	s_waitcnt lgkmcnt(0)
	s_barrier
	ds_write2_b64 v71, v[7:8], v[11:12] offset1:1
	ds_write_b64 v71, v[9:10] offset:16
	v_mov_b32_e32 v11, v50
	s_waitcnt lgkmcnt(0)
	s_barrier
	s_and_saveexec_b64 s[14:15], s[4:5]
	s_cbranch_execz .LBB135_42
; %bb.39:                               ;   in Loop: Header=BB135_2 Depth=1
	s_mov_b64 s[16:17], 0
	v_mov_b32_e32 v11, v50
	v_mov_b32_e32 v7, v51
.LBB135_40:                             ;   Parent Loop BB135_2 Depth=1
                                        ; =>  This Inner Loop Header: Depth=2
	v_sub_u32_e32 v8, v7, v11
	v_lshrrev_b32_e32 v8, 1, v8
	v_add_u32_e32 v10, v8, v11
	v_not_b32_e32 v9, v10
	v_lshl_add_u32 v8, v10, 3, v75
	v_lshl_add_u32 v12, v9, 3, v52
	ds_read_b64 v[8:9], v8
	ds_read_b64 v[12:13], v12 offset:192
	v_add_u32_e32 v14, 1, v10
	s_waitcnt lgkmcnt(0)
	v_cmp_lt_i64_e64 s[12:13], v[12:13], v[8:9]
	v_cndmask_b32_e64 v7, v7, v10, s[12:13]
	v_cndmask_b32_e64 v11, v14, v11, s[12:13]
	v_cmp_ge_i32_e64 s[12:13], v11, v7
	s_or_b64 s[16:17], s[12:13], s[16:17]
	s_andn2_b64 exec, exec, s[16:17]
	s_cbranch_execnz .LBB135_40
; %bb.41:                               ;   in Loop: Header=BB135_2 Depth=1
	s_or_b64 exec, exec, s[16:17]
.LBB135_42:                             ;   in Loop: Header=BB135_2 Depth=1
	s_or_b64 exec, exec, s[14:15]
	v_lshl_add_u32 v13, v11, 3, v75
	v_sub_u32_e32 v7, v53, v11
	v_lshlrev_b32_e32 v15, 3, v7
	ds_read_b64 v[7:8], v13
	ds_read_b64 v[9:10], v15 offset:192
	v_add_u32_e32 v78, v11, v49
	v_sub_u32_e32 v79, v54, v11
	v_cmp_le_i32_e64 s[16:17], v26, v78
	v_cmp_gt_i32_e64 s[12:13], v27, v79
	s_waitcnt lgkmcnt(0)
	v_cmp_lt_i64_e64 s[14:15], v[9:10], v[7:8]
                                        ; implicit-def: $vgpr11_vgpr12
	s_or_b64 s[14:15], s[16:17], s[14:15]
	s_and_b64 s[12:13], s[12:13], s[14:15]
	s_xor_b64 s[14:15], s[12:13], -1
	s_and_saveexec_b64 s[16:17], s[14:15]
	s_xor_b64 s[14:15], exec, s[16:17]
; %bb.43:                               ;   in Loop: Header=BB135_2 Depth=1
	ds_read_b64 v[11:12], v13 offset:8
                                        ; implicit-def: $vgpr15
; %bb.44:                               ;   in Loop: Header=BB135_2 Depth=1
	s_or_saveexec_b64 s[14:15], s[14:15]
	v_mov_b32_e32 v14, v10
	v_mov_b32_e32 v13, v9
	s_xor_b64 exec, exec, s[14:15]
	s_cbranch_execz .LBB135_46
; %bb.45:                               ;   in Loop: Header=BB135_2 Depth=1
	ds_read_b64 v[13:14], v15 offset:200
	s_waitcnt lgkmcnt(1)
	v_mov_b32_e32 v12, v8
	v_mov_b32_e32 v11, v7
.LBB135_46:                             ;   in Loop: Header=BB135_2 Depth=1
	s_or_b64 exec, exec, s[14:15]
	v_add_u32_e32 v16, 1, v78
	v_add_u32_e32 v15, 1, v79
	v_cndmask_b32_e64 v81, v16, v78, s[12:13]
	s_waitcnt lgkmcnt(0)
	v_cmp_lt_i64_e64 s[16:17], v[13:14], v[11:12]
	v_cndmask_b32_e64 v80, v79, v15, s[12:13]
	v_cmp_ge_i32_e64 s[18:19], v81, v26
	v_cmp_lt_i32_e64 s[14:15], v80, v27
	s_or_b64 s[16:17], s[18:19], s[16:17]
	s_and_b64 s[14:15], s[14:15], s[16:17]
	s_xor_b64 s[16:17], s[14:15], -1
                                        ; implicit-def: $vgpr15_vgpr16
	s_and_saveexec_b64 s[18:19], s[16:17]
	s_xor_b64 s[16:17], exec, s[18:19]
; %bb.47:                               ;   in Loop: Header=BB135_2 Depth=1
	v_lshlrev_b32_e32 v15, 3, v81
	ds_read_b64 v[15:16], v15 offset:8
; %bb.48:                               ;   in Loop: Header=BB135_2 Depth=1
	s_or_saveexec_b64 s[16:17], s[16:17]
	v_mov_b32_e32 v18, v14
	v_mov_b32_e32 v17, v13
	s_xor_b64 exec, exec, s[16:17]
	s_cbranch_execz .LBB135_50
; %bb.49:                               ;   in Loop: Header=BB135_2 Depth=1
	s_waitcnt lgkmcnt(0)
	v_lshlrev_b32_e32 v15, 3, v80
	ds_read_b64 v[17:18], v15 offset:8
	v_mov_b32_e32 v16, v12
	v_mov_b32_e32 v15, v11
.LBB135_50:                             ;   in Loop: Header=BB135_2 Depth=1
	s_or_b64 exec, exec, s[16:17]
	v_cndmask_b32_e64 v12, v12, v14, s[14:15]
	v_cndmask_b32_e64 v11, v11, v13, s[14:15]
	v_add_u32_e32 v13, 1, v80
	v_add_u32_e32 v14, 1, v81
	v_cndmask_b32_e64 v13, v80, v13, s[14:15]
	v_cndmask_b32_e64 v14, v14, v81, s[14:15]
	;; [unrolled: 1-line block ×3, first 2 shown]
	s_waitcnt lgkmcnt(0)
	v_cmp_lt_i64_e64 s[14:15], v[17:18], v[15:16]
	v_cmp_ge_i32_e64 s[16:17], v14, v26
	v_cndmask_b32_e64 v8, v8, v10, s[12:13]
	v_cndmask_b32_e64 v7, v7, v9, s[12:13]
	;; [unrolled: 1-line block ×3, first 2 shown]
	v_cmp_lt_i32_e64 s[12:13], v13, v27
	s_or_b64 s[14:15], s[16:17], s[14:15]
	s_and_b64 s[12:13], s[12:13], s[14:15]
	v_cndmask_b32_e64 v13, v14, v13, s[12:13]
	s_barrier
	ds_write2_b64 v71, v[1:2], v[5:6] offset1:1
	ds_write_b64 v71, v[3:4] offset:16
	v_lshlrev_b32_e32 v1, 3, v78
	v_lshlrev_b32_e32 v3, 3, v80
	v_lshlrev_b32_e32 v4, 3, v13
	s_waitcnt lgkmcnt(0)
	s_barrier
	ds_read_b64 v[1:2], v1
	ds_read_b64 v[5:6], v3
	;; [unrolled: 1-line block ×3, first 2 shown]
	v_cndmask_b32_e64 v10, v16, v18, s[12:13]
	v_cndmask_b32_e64 v9, v15, v17, s[12:13]
	s_waitcnt lgkmcnt(0)
	s_barrier
	ds_write2_b64 v71, v[7:8], v[11:12] offset1:1
	ds_write_b64 v71, v[9:10] offset:16
	v_mov_b32_e32 v11, v56
	s_waitcnt lgkmcnt(0)
	s_barrier
	s_and_saveexec_b64 s[14:15], s[6:7]
	s_cbranch_execz .LBB135_54
; %bb.51:                               ;   in Loop: Header=BB135_2 Depth=1
	s_mov_b64 s[16:17], 0
	v_mov_b32_e32 v11, v56
	v_mov_b32_e32 v7, v57
.LBB135_52:                             ;   Parent Loop BB135_2 Depth=1
                                        ; =>  This Inner Loop Header: Depth=2
	v_sub_u32_e32 v8, v7, v11
	v_lshrrev_b32_e32 v8, 1, v8
	v_add_u32_e32 v10, v8, v11
	v_not_b32_e32 v9, v10
	v_lshl_add_u32 v8, v10, 3, v76
	v_lshl_add_u32 v12, v9, 3, v58
	ds_read_b64 v[8:9], v8
	ds_read_b64 v[12:13], v12 offset:384
	v_add_u32_e32 v14, 1, v10
	s_waitcnt lgkmcnt(0)
	v_cmp_lt_i64_e64 s[12:13], v[12:13], v[8:9]
	v_cndmask_b32_e64 v7, v7, v10, s[12:13]
	v_cndmask_b32_e64 v11, v14, v11, s[12:13]
	v_cmp_ge_i32_e64 s[12:13], v11, v7
	s_or_b64 s[16:17], s[12:13], s[16:17]
	s_andn2_b64 exec, exec, s[16:17]
	s_cbranch_execnz .LBB135_52
; %bb.53:                               ;   in Loop: Header=BB135_2 Depth=1
	s_or_b64 exec, exec, s[16:17]
.LBB135_54:                             ;   in Loop: Header=BB135_2 Depth=1
	s_or_b64 exec, exec, s[14:15]
	v_lshl_add_u32 v13, v11, 3, v76
	v_sub_u32_e32 v7, v59, v11
	v_lshlrev_b32_e32 v15, 3, v7
	ds_read_b64 v[7:8], v13
	ds_read_b64 v[9:10], v15 offset:384
	v_add_u32_e32 v78, v11, v55
	v_sub_u32_e32 v79, v60, v11
	v_cmp_le_i32_e64 s[16:17], v29, v78
	v_cmp_gt_i32_e64 s[12:13], v28, v79
	s_waitcnt lgkmcnt(0)
	v_cmp_lt_i64_e64 s[14:15], v[9:10], v[7:8]
                                        ; implicit-def: $vgpr11_vgpr12
	s_or_b64 s[14:15], s[16:17], s[14:15]
	s_and_b64 s[12:13], s[12:13], s[14:15]
	s_xor_b64 s[14:15], s[12:13], -1
	s_and_saveexec_b64 s[16:17], s[14:15]
	s_xor_b64 s[14:15], exec, s[16:17]
; %bb.55:                               ;   in Loop: Header=BB135_2 Depth=1
	ds_read_b64 v[11:12], v13 offset:8
                                        ; implicit-def: $vgpr15
; %bb.56:                               ;   in Loop: Header=BB135_2 Depth=1
	s_or_saveexec_b64 s[14:15], s[14:15]
	v_mov_b32_e32 v14, v10
	v_mov_b32_e32 v13, v9
	s_xor_b64 exec, exec, s[14:15]
	s_cbranch_execz .LBB135_58
; %bb.57:                               ;   in Loop: Header=BB135_2 Depth=1
	ds_read_b64 v[13:14], v15 offset:392
	s_waitcnt lgkmcnt(1)
	v_mov_b32_e32 v12, v8
	v_mov_b32_e32 v11, v7
.LBB135_58:                             ;   in Loop: Header=BB135_2 Depth=1
	s_or_b64 exec, exec, s[14:15]
	v_add_u32_e32 v16, 1, v78
	v_add_u32_e32 v15, 1, v79
	v_cndmask_b32_e64 v81, v16, v78, s[12:13]
	s_waitcnt lgkmcnt(0)
	v_cmp_lt_i64_e64 s[16:17], v[13:14], v[11:12]
	v_cndmask_b32_e64 v80, v79, v15, s[12:13]
	v_cmp_ge_i32_e64 s[18:19], v81, v29
	v_cmp_lt_i32_e64 s[14:15], v80, v28
	s_or_b64 s[16:17], s[18:19], s[16:17]
	s_and_b64 s[14:15], s[14:15], s[16:17]
	s_xor_b64 s[16:17], s[14:15], -1
                                        ; implicit-def: $vgpr15_vgpr16
	s_and_saveexec_b64 s[18:19], s[16:17]
	s_xor_b64 s[16:17], exec, s[18:19]
; %bb.59:                               ;   in Loop: Header=BB135_2 Depth=1
	v_lshlrev_b32_e32 v15, 3, v81
	ds_read_b64 v[15:16], v15 offset:8
; %bb.60:                               ;   in Loop: Header=BB135_2 Depth=1
	s_or_saveexec_b64 s[16:17], s[16:17]
	v_mov_b32_e32 v18, v14
	v_mov_b32_e32 v17, v13
	s_xor_b64 exec, exec, s[16:17]
	s_cbranch_execz .LBB135_62
; %bb.61:                               ;   in Loop: Header=BB135_2 Depth=1
	s_waitcnt lgkmcnt(0)
	v_lshlrev_b32_e32 v15, 3, v80
	ds_read_b64 v[17:18], v15 offset:8
	v_mov_b32_e32 v16, v12
	v_mov_b32_e32 v15, v11
.LBB135_62:                             ;   in Loop: Header=BB135_2 Depth=1
	s_or_b64 exec, exec, s[16:17]
	v_cndmask_b32_e64 v12, v12, v14, s[14:15]
	v_cndmask_b32_e64 v11, v11, v13, s[14:15]
	v_add_u32_e32 v13, 1, v80
	v_add_u32_e32 v14, 1, v81
	v_cndmask_b32_e64 v13, v80, v13, s[14:15]
	v_cndmask_b32_e64 v14, v14, v81, s[14:15]
	;; [unrolled: 1-line block ×3, first 2 shown]
	s_waitcnt lgkmcnt(0)
	v_cmp_lt_i64_e64 s[14:15], v[17:18], v[15:16]
	v_cmp_ge_i32_e64 s[16:17], v14, v29
	v_cndmask_b32_e64 v8, v8, v10, s[12:13]
	v_cndmask_b32_e64 v7, v7, v9, s[12:13]
	;; [unrolled: 1-line block ×3, first 2 shown]
	v_cmp_lt_i32_e64 s[12:13], v13, v28
	s_or_b64 s[14:15], s[16:17], s[14:15]
	s_and_b64 s[12:13], s[12:13], s[14:15]
	v_cndmask_b32_e64 v13, v14, v13, s[12:13]
	s_barrier
	ds_write2_b64 v71, v[1:2], v[5:6] offset1:1
	ds_write_b64 v71, v[3:4] offset:16
	v_lshlrev_b32_e32 v1, 3, v78
	v_lshlrev_b32_e32 v3, 3, v80
	;; [unrolled: 1-line block ×3, first 2 shown]
	s_waitcnt lgkmcnt(0)
	s_barrier
	ds_read_b64 v[1:2], v1
	ds_read_b64 v[5:6], v3
	;; [unrolled: 1-line block ×3, first 2 shown]
	v_cndmask_b32_e64 v10, v16, v18, s[12:13]
	v_cndmask_b32_e64 v9, v15, v17, s[12:13]
	s_waitcnt lgkmcnt(0)
	s_barrier
	ds_write2_b64 v71, v[7:8], v[11:12] offset1:1
	ds_write_b64 v71, v[9:10] offset:16
	v_mov_b32_e32 v11, v62
	s_waitcnt lgkmcnt(0)
	s_barrier
	s_and_saveexec_b64 s[14:15], s[8:9]
	s_cbranch_execz .LBB135_66
; %bb.63:                               ;   in Loop: Header=BB135_2 Depth=1
	s_mov_b64 s[16:17], 0
	v_mov_b32_e32 v11, v62
	v_mov_b32_e32 v7, v63
.LBB135_64:                             ;   Parent Loop BB135_2 Depth=1
                                        ; =>  This Inner Loop Header: Depth=2
	v_sub_u32_e32 v8, v7, v11
	v_lshrrev_b32_e32 v8, 1, v8
	v_add_u32_e32 v10, v8, v11
	v_not_b32_e32 v9, v10
	v_lshl_add_u32 v8, v10, 3, v77
	v_lshl_add_u32 v12, v9, 3, v64
	ds_read_b64 v[8:9], v8
	ds_read_b64 v[12:13], v12 offset:768
	v_add_u32_e32 v14, 1, v10
	s_waitcnt lgkmcnt(0)
	v_cmp_lt_i64_e64 s[12:13], v[12:13], v[8:9]
	v_cndmask_b32_e64 v7, v7, v10, s[12:13]
	v_cndmask_b32_e64 v11, v14, v11, s[12:13]
	v_cmp_ge_i32_e64 s[12:13], v11, v7
	s_or_b64 s[16:17], s[12:13], s[16:17]
	s_andn2_b64 exec, exec, s[16:17]
	s_cbranch_execnz .LBB135_64
; %bb.65:                               ;   in Loop: Header=BB135_2 Depth=1
	s_or_b64 exec, exec, s[16:17]
.LBB135_66:                             ;   in Loop: Header=BB135_2 Depth=1
	s_or_b64 exec, exec, s[14:15]
	v_lshl_add_u32 v13, v11, 3, v77
	v_sub_u32_e32 v7, v65, v11
	v_lshlrev_b32_e32 v15, 3, v7
	ds_read_b64 v[7:8], v13
	ds_read_b64 v[9:10], v15 offset:768
	v_add_u32_e32 v78, v11, v61
	v_sub_u32_e32 v79, v66, v11
	v_cmp_le_i32_e64 s[16:17], v31, v78
	v_cmp_gt_i32_e64 s[12:13], v30, v79
	s_waitcnt lgkmcnt(0)
	v_cmp_lt_i64_e64 s[14:15], v[9:10], v[7:8]
                                        ; implicit-def: $vgpr11_vgpr12
	s_or_b64 s[14:15], s[16:17], s[14:15]
	s_and_b64 s[12:13], s[12:13], s[14:15]
	s_xor_b64 s[14:15], s[12:13], -1
	s_and_saveexec_b64 s[16:17], s[14:15]
	s_xor_b64 s[14:15], exec, s[16:17]
; %bb.67:                               ;   in Loop: Header=BB135_2 Depth=1
	ds_read_b64 v[11:12], v13 offset:8
                                        ; implicit-def: $vgpr15
; %bb.68:                               ;   in Loop: Header=BB135_2 Depth=1
	s_or_saveexec_b64 s[14:15], s[14:15]
	v_mov_b32_e32 v14, v10
	v_mov_b32_e32 v13, v9
	s_xor_b64 exec, exec, s[14:15]
	s_cbranch_execz .LBB135_70
; %bb.69:                               ;   in Loop: Header=BB135_2 Depth=1
	ds_read_b64 v[13:14], v15 offset:776
	s_waitcnt lgkmcnt(1)
	v_mov_b32_e32 v12, v8
	v_mov_b32_e32 v11, v7
.LBB135_70:                             ;   in Loop: Header=BB135_2 Depth=1
	s_or_b64 exec, exec, s[14:15]
	v_add_u32_e32 v16, 1, v78
	v_add_u32_e32 v15, 1, v79
	v_cndmask_b32_e64 v81, v16, v78, s[12:13]
	s_waitcnt lgkmcnt(0)
	v_cmp_lt_i64_e64 s[16:17], v[13:14], v[11:12]
	v_cndmask_b32_e64 v80, v79, v15, s[12:13]
	v_cmp_ge_i32_e64 s[18:19], v81, v31
	v_cmp_lt_i32_e64 s[14:15], v80, v30
	s_or_b64 s[16:17], s[18:19], s[16:17]
	s_and_b64 s[14:15], s[14:15], s[16:17]
	s_xor_b64 s[16:17], s[14:15], -1
                                        ; implicit-def: $vgpr15_vgpr16
	s_and_saveexec_b64 s[18:19], s[16:17]
	s_xor_b64 s[16:17], exec, s[18:19]
; %bb.71:                               ;   in Loop: Header=BB135_2 Depth=1
	v_lshlrev_b32_e32 v15, 3, v81
	ds_read_b64 v[15:16], v15 offset:8
; %bb.72:                               ;   in Loop: Header=BB135_2 Depth=1
	s_or_saveexec_b64 s[16:17], s[16:17]
	v_mov_b32_e32 v18, v14
	v_mov_b32_e32 v17, v13
	s_xor_b64 exec, exec, s[16:17]
	s_cbranch_execz .LBB135_74
; %bb.73:                               ;   in Loop: Header=BB135_2 Depth=1
	s_waitcnt lgkmcnt(0)
	v_lshlrev_b32_e32 v15, 3, v80
	ds_read_b64 v[17:18], v15 offset:8
	v_mov_b32_e32 v16, v12
	v_mov_b32_e32 v15, v11
.LBB135_74:                             ;   in Loop: Header=BB135_2 Depth=1
	s_or_b64 exec, exec, s[16:17]
	v_cndmask_b32_e64 v12, v12, v14, s[14:15]
	v_cndmask_b32_e64 v11, v11, v13, s[14:15]
	v_add_u32_e32 v13, 1, v80
	v_add_u32_e32 v14, 1, v81
	v_cndmask_b32_e64 v13, v80, v13, s[14:15]
	v_cndmask_b32_e64 v14, v14, v81, s[14:15]
	v_cndmask_b32_e64 v80, v81, v80, s[14:15]
	s_waitcnt lgkmcnt(0)
	v_cmp_lt_i64_e64 s[14:15], v[17:18], v[15:16]
	v_cmp_ge_i32_e64 s[16:17], v14, v31
	v_cndmask_b32_e64 v8, v8, v10, s[12:13]
	v_cndmask_b32_e64 v7, v7, v9, s[12:13]
	;; [unrolled: 1-line block ×3, first 2 shown]
	v_cmp_lt_i32_e64 s[12:13], v13, v30
	s_or_b64 s[14:15], s[16:17], s[14:15]
	s_and_b64 s[12:13], s[12:13], s[14:15]
	v_cndmask_b32_e64 v13, v14, v13, s[12:13]
	s_barrier
	ds_write2_b64 v71, v[1:2], v[5:6] offset1:1
	ds_write_b64 v71, v[3:4] offset:16
	v_lshlrev_b32_e32 v1, 3, v78
	v_lshlrev_b32_e32 v3, 3, v80
	;; [unrolled: 1-line block ×3, first 2 shown]
	s_waitcnt lgkmcnt(0)
	s_barrier
	ds_read_b64 v[1:2], v1
	ds_read_b64 v[5:6], v3
	;; [unrolled: 1-line block ×3, first 2 shown]
	v_mov_b32_e32 v78, v69
	v_cndmask_b32_e64 v10, v16, v18, s[12:13]
	v_cndmask_b32_e64 v9, v15, v17, s[12:13]
	s_waitcnt lgkmcnt(0)
	s_barrier
	ds_write2_b64 v71, v[7:8], v[11:12] offset1:1
	ds_write_b64 v71, v[9:10] offset:16
	s_waitcnt lgkmcnt(0)
	s_barrier
	s_and_saveexec_b64 s[14:15], s[10:11]
	s_cbranch_execz .LBB135_78
; %bb.75:                               ;   in Loop: Header=BB135_2 Depth=1
	s_mov_b64 s[16:17], 0
	v_mov_b32_e32 v78, v69
	v_mov_b32_e32 v7, v70
.LBB135_76:                             ;   Parent Loop BB135_2 Depth=1
                                        ; =>  This Inner Loop Header: Depth=2
	v_sub_u32_e32 v8, v7, v78
	v_lshrrev_b32_e32 v8, 1, v8
	v_add_u32_e32 v12, v8, v78
	v_lshlrev_b32_e32 v9, 3, v68
	v_not_b32_e32 v10, v12
	v_lshlrev_b32_e32 v8, 3, v12
	v_lshl_add_u32 v10, v10, 3, v9
	ds_read_b64 v[8:9], v8
	ds_read_b64 v[10:11], v10 offset:1536
	v_add_u32_e32 v13, 1, v12
	s_waitcnt lgkmcnt(0)
	v_cmp_lt_i64_e64 s[12:13], v[10:11], v[8:9]
	v_cndmask_b32_e64 v7, v7, v12, s[12:13]
	v_cndmask_b32_e64 v78, v13, v78, s[12:13]
	v_cmp_ge_i32_e64 s[12:13], v78, v7
	s_or_b64 s[16:17], s[12:13], s[16:17]
	s_andn2_b64 exec, exec, s[16:17]
	s_cbranch_execnz .LBB135_76
; %bb.77:                               ;   in Loop: Header=BB135_2 Depth=1
	s_or_b64 exec, exec, s[16:17]
.LBB135_78:                             ;   in Loop: Header=BB135_2 Depth=1
	s_or_b64 exec, exec, s[14:15]
	v_lshlrev_b32_e32 v11, 3, v78
	v_sub_u32_e32 v7, v68, v78
	v_lshlrev_b32_e32 v15, 3, v7
	ds_read_b64 v[7:8], v11
	ds_read_b64 v[13:14], v15 offset:1536
	v_mad_u32_u24 v9, v0, 3, v67
	v_sub_u32_e32 v79, v9, v78
	v_cmp_le_i32_e64 s[16:17], v67, v78
	v_cmp_gt_i32_e64 s[12:13], s30, v79
	s_waitcnt lgkmcnt(0)
	v_cmp_lt_i64_e64 s[14:15], v[13:14], v[7:8]
                                        ; implicit-def: $vgpr9_vgpr10
	s_or_b64 s[14:15], s[16:17], s[14:15]
	s_and_b64 s[12:13], s[12:13], s[14:15]
	s_xor_b64 s[14:15], s[12:13], -1
	s_and_saveexec_b64 s[16:17], s[14:15]
	s_xor_b64 s[14:15], exec, s[16:17]
; %bb.79:                               ;   in Loop: Header=BB135_2 Depth=1
	ds_read_b64 v[9:10], v11 offset:8
                                        ; implicit-def: $vgpr15
; %bb.80:                               ;   in Loop: Header=BB135_2 Depth=1
	s_or_saveexec_b64 s[14:15], s[14:15]
	v_mov_b32_e32 v11, v13
	v_mov_b32_e32 v12, v14
	s_xor_b64 exec, exec, s[14:15]
	s_cbranch_execz .LBB135_82
; %bb.81:                               ;   in Loop: Header=BB135_2 Depth=1
	ds_read_b64 v[11:12], v15 offset:1544
	s_waitcnt lgkmcnt(1)
	v_mov_b32_e32 v10, v8
	v_mov_b32_e32 v9, v7
.LBB135_82:                             ;   in Loop: Header=BB135_2 Depth=1
	s_or_b64 exec, exec, s[14:15]
	v_add_u32_e32 v16, 1, v78
	v_add_u32_e32 v15, 1, v79
	v_cndmask_b32_e64 v83, v16, v78, s[12:13]
	s_waitcnt lgkmcnt(0)
	v_cmp_lt_i64_e64 s[16:17], v[11:12], v[9:10]
	v_cndmask_b32_e64 v80, v79, v15, s[12:13]
	v_cmp_ge_i32_e64 s[18:19], v83, v67
	v_cmp_gt_i32_e64 s[14:15], s30, v80
	s_or_b64 s[16:17], s[18:19], s[16:17]
	s_and_b64 s[14:15], s[14:15], s[16:17]
	s_xor_b64 s[16:17], s[14:15], -1
                                        ; implicit-def: $vgpr15_vgpr16
                                        ; implicit-def: $vgpr82
	s_and_saveexec_b64 s[18:19], s[16:17]
	s_xor_b64 s[16:17], exec, s[18:19]
; %bb.83:                               ;   in Loop: Header=BB135_2 Depth=1
	v_lshlrev_b32_e32 v15, 3, v83
	ds_read_b64 v[15:16], v15 offset:8
	v_add_u32_e32 v82, 1, v83
; %bb.84:                               ;   in Loop: Header=BB135_2 Depth=1
	s_or_saveexec_b64 s[16:17], s[16:17]
	v_mov_b32_e32 v18, v12
	v_mov_b32_e32 v81, v83
	;; [unrolled: 1-line block ×3, first 2 shown]
	s_xor_b64 exec, exec, s[16:17]
	s_cbranch_execz .LBB135_1
; %bb.85:                               ;   in Loop: Header=BB135_2 Depth=1
	s_waitcnt lgkmcnt(0)
	v_lshlrev_b32_e32 v16, 3, v80
	ds_read_b64 v[17:18], v16 offset:8
	v_add_u32_e32 v15, 1, v80
	v_mov_b32_e32 v81, v80
	v_mov_b32_e32 v80, v15
	;; [unrolled: 1-line block ×5, first 2 shown]
	s_branch .LBB135_1
.LBB135_86:
	s_waitcnt lgkmcnt(2)
	v_add_co_u32_e32 v5, vcc, v7, v5
	v_addc_co_u32_e32 v6, vcc, v8, v6, vcc
	s_waitcnt lgkmcnt(1)
	v_add_co_u32_e32 v3, vcc, v11, v3
	v_addc_co_u32_e32 v4, vcc, v12, v4, vcc
	s_add_u32 s0, s26, s28
	s_waitcnt lgkmcnt(0)
	v_add_co_u32_e32 v1, vcc, v9, v1
	s_addc_u32 s1, s27, s29
	v_lshlrev_b32_e32 v0, 3, v0
	v_addc_co_u32_e32 v2, vcc, v10, v2, vcc
	global_store_dwordx2 v0, v[5:6], s[0:1]
	global_store_dwordx2 v0, v[3:4], s[0:1] offset:1024
	global_store_dwordx2 v0, v[1:2], s[0:1] offset:2048
	s_endpgm
	.section	.rodata,"a",@progbits
	.p2align	6, 0x0
	.amdhsa_kernel _Z17sort_pairs_kernelIxLj128ELj3EN10test_utils4lessELj10EEvPKT_PS2_T2_
		.amdhsa_group_segment_fixed_size 3080
		.amdhsa_private_segment_fixed_size 0
		.amdhsa_kernarg_size 20
		.amdhsa_user_sgpr_count 6
		.amdhsa_user_sgpr_private_segment_buffer 1
		.amdhsa_user_sgpr_dispatch_ptr 0
		.amdhsa_user_sgpr_queue_ptr 0
		.amdhsa_user_sgpr_kernarg_segment_ptr 1
		.amdhsa_user_sgpr_dispatch_id 0
		.amdhsa_user_sgpr_flat_scratch_init 0
		.amdhsa_user_sgpr_private_segment_size 0
		.amdhsa_uses_dynamic_stack 0
		.amdhsa_system_sgpr_private_segment_wavefront_offset 0
		.amdhsa_system_sgpr_workgroup_id_x 1
		.amdhsa_system_sgpr_workgroup_id_y 0
		.amdhsa_system_sgpr_workgroup_id_z 0
		.amdhsa_system_sgpr_workgroup_info 0
		.amdhsa_system_vgpr_workitem_id 0
		.amdhsa_next_free_vgpr 84
		.amdhsa_next_free_sgpr 61
		.amdhsa_reserve_vcc 1
		.amdhsa_reserve_flat_scratch 0
		.amdhsa_float_round_mode_32 0
		.amdhsa_float_round_mode_16_64 0
		.amdhsa_float_denorm_mode_32 3
		.amdhsa_float_denorm_mode_16_64 3
		.amdhsa_dx10_clamp 1
		.amdhsa_ieee_mode 1
		.amdhsa_fp16_overflow 0
		.amdhsa_exception_fp_ieee_invalid_op 0
		.amdhsa_exception_fp_denorm_src 0
		.amdhsa_exception_fp_ieee_div_zero 0
		.amdhsa_exception_fp_ieee_overflow 0
		.amdhsa_exception_fp_ieee_underflow 0
		.amdhsa_exception_fp_ieee_inexact 0
		.amdhsa_exception_int_div_zero 0
	.end_amdhsa_kernel
	.section	.text._Z17sort_pairs_kernelIxLj128ELj3EN10test_utils4lessELj10EEvPKT_PS2_T2_,"axG",@progbits,_Z17sort_pairs_kernelIxLj128ELj3EN10test_utils4lessELj10EEvPKT_PS2_T2_,comdat
.Lfunc_end135:
	.size	_Z17sort_pairs_kernelIxLj128ELj3EN10test_utils4lessELj10EEvPKT_PS2_T2_, .Lfunc_end135-_Z17sort_pairs_kernelIxLj128ELj3EN10test_utils4lessELj10EEvPKT_PS2_T2_
                                        ; -- End function
	.set _Z17sort_pairs_kernelIxLj128ELj3EN10test_utils4lessELj10EEvPKT_PS2_T2_.num_vgpr, 84
	.set _Z17sort_pairs_kernelIxLj128ELj3EN10test_utils4lessELj10EEvPKT_PS2_T2_.num_agpr, 0
	.set _Z17sort_pairs_kernelIxLj128ELj3EN10test_utils4lessELj10EEvPKT_PS2_T2_.numbered_sgpr, 32
	.set _Z17sort_pairs_kernelIxLj128ELj3EN10test_utils4lessELj10EEvPKT_PS2_T2_.num_named_barrier, 0
	.set _Z17sort_pairs_kernelIxLj128ELj3EN10test_utils4lessELj10EEvPKT_PS2_T2_.private_seg_size, 0
	.set _Z17sort_pairs_kernelIxLj128ELj3EN10test_utils4lessELj10EEvPKT_PS2_T2_.uses_vcc, 1
	.set _Z17sort_pairs_kernelIxLj128ELj3EN10test_utils4lessELj10EEvPKT_PS2_T2_.uses_flat_scratch, 0
	.set _Z17sort_pairs_kernelIxLj128ELj3EN10test_utils4lessELj10EEvPKT_PS2_T2_.has_dyn_sized_stack, 0
	.set _Z17sort_pairs_kernelIxLj128ELj3EN10test_utils4lessELj10EEvPKT_PS2_T2_.has_recursion, 0
	.set _Z17sort_pairs_kernelIxLj128ELj3EN10test_utils4lessELj10EEvPKT_PS2_T2_.has_indirect_call, 0
	.section	.AMDGPU.csdata,"",@progbits
; Kernel info:
; codeLenInByte = 5652
; TotalNumSgprs: 36
; NumVgprs: 84
; ScratchSize: 0
; MemoryBound: 0
; FloatMode: 240
; IeeeMode: 1
; LDSByteSize: 3080 bytes/workgroup (compile time only)
; SGPRBlocks: 8
; VGPRBlocks: 20
; NumSGPRsForWavesPerEU: 65
; NumVGPRsForWavesPerEU: 84
; Occupancy: 3
; WaveLimiterHint : 1
; COMPUTE_PGM_RSRC2:SCRATCH_EN: 0
; COMPUTE_PGM_RSRC2:USER_SGPR: 6
; COMPUTE_PGM_RSRC2:TRAP_HANDLER: 0
; COMPUTE_PGM_RSRC2:TGID_X_EN: 1
; COMPUTE_PGM_RSRC2:TGID_Y_EN: 0
; COMPUTE_PGM_RSRC2:TGID_Z_EN: 0
; COMPUTE_PGM_RSRC2:TIDIG_COMP_CNT: 0
	.section	.text._Z16sort_keys_kernelIxLj128ELj4EN10test_utils4lessELj10EEvPKT_PS2_T2_,"axG",@progbits,_Z16sort_keys_kernelIxLj128ELj4EN10test_utils4lessELj10EEvPKT_PS2_T2_,comdat
	.protected	_Z16sort_keys_kernelIxLj128ELj4EN10test_utils4lessELj10EEvPKT_PS2_T2_ ; -- Begin function _Z16sort_keys_kernelIxLj128ELj4EN10test_utils4lessELj10EEvPKT_PS2_T2_
	.globl	_Z16sort_keys_kernelIxLj128ELj4EN10test_utils4lessELj10EEvPKT_PS2_T2_
	.p2align	8
	.type	_Z16sort_keys_kernelIxLj128ELj4EN10test_utils4lessELj10EEvPKT_PS2_T2_,@function
_Z16sort_keys_kernelIxLj128ELj4EN10test_utils4lessELj10EEvPKT_PS2_T2_: ; @_Z16sort_keys_kernelIxLj128ELj4EN10test_utils4lessELj10EEvPKT_PS2_T2_
; %bb.0:
	s_load_dwordx4 s[20:23], s[4:5], 0x0
	s_lshl_b32 s26, s6, 9
	s_mov_b32 s27, 0
	s_lshl_b64 s[24:25], s[26:27], 3
	v_lshlrev_b32_e32 v27, 3, v0
	s_waitcnt lgkmcnt(0)
	s_add_u32 s0, s20, s24
	s_addc_u32 s1, s21, s25
	global_load_dwordx2 v[3:4], v27, s[0:1]
	global_load_dwordx2 v[5:6], v27, s[0:1] offset:1024
	global_load_dwordx2 v[1:2], v27, s[0:1] offset:2048
	;; [unrolled: 1-line block ×3, first 2 shown]
	v_lshlrev_b32_e32 v9, 2, v0
	v_and_b32_e32 v17, 0x1f8, v9
	v_or_b32_e32 v18, 4, v17
	v_add_u32_e32 v19, 8, v17
	v_and_b32_e32 v10, 4, v9
	v_sub_u32_e32 v11, v19, v18
	v_and_b32_e32 v20, 0x1f0, v9
	v_and_b32_e32 v23, 0x1e0, v9
	v_sub_u32_e32 v12, v10, v11
	v_or_b32_e32 v21, 8, v20
	v_or_b32_e32 v24, 16, v23
	v_add_u32_e32 v25, 32, v23
	v_and_b32_e32 v26, 0x1c0, v9
	v_cmp_ge_i32_e32 vcc, v10, v11
	v_sub_u32_e32 v11, v18, v17
	v_mov_b32_e32 v47, 0x100
	v_and_b32_e32 v13, 12, v9
	v_and_b32_e32 v16, 28, v9
	v_sub_u32_e32 v39, v25, v24
	v_and_b32_e32 v58, 60, v9
	v_or_b32_e32 v27, 32, v26
	v_add_u32_e32 v28, 64, v26
	v_and_b32_e32 v29, 0x180, v9
	v_and_b32_e32 v60, 0x7c, v9
	;; [unrolled: 1-line block ×4, first 2 shown]
	v_min_i32_e32 v36, v10, v11
	v_sub_u32_e32 v11, v21, v20
	v_sub_u32_e64 v48, v9, v47 clamp
	v_min_i32_e32 v49, 0x100, v9
	v_add_u32_e32 v50, 0x100, v9
	v_lshlrev_b32_e32 v9, 3, v10
	v_sub_u32_e32 v40, v16, v39
	v_sub_u32_e32 v41, v28, v27
	v_or_b32_e32 v30, 64, v29
	v_add_u32_e32 v31, 0x80, v29
	v_min_i32_e32 v38, v13, v11
	v_cmp_ge_i32_e64 s[2:3], v16, v39
	v_sub_u32_e32 v11, v24, v23
	v_lshl_add_u32 v52, v18, 3, v9
	v_lshlrev_b32_e32 v9, 3, v13
	v_add_u32_e32 v22, 16, v20
	v_sub_u32_e32 v42, v58, v41
	v_sub_u32_e32 v43, v31, v30
	v_or_b32_e32 v33, 0x80, v32
	v_add_u32_e32 v34, 0x100, v32
	v_cndmask_b32_e64 v39, 0, v40, s[2:3]
	v_min_i32_e32 v40, v16, v11
	v_cmp_ge_i32_e64 s[4:5], v58, v41
	v_sub_u32_e32 v11, v27, v26
	v_lshl_add_u32 v54, v21, 3, v9
	v_lshlrev_b32_e32 v9, 3, v16
	v_sub_u32_e32 v14, v22, v21
	v_sub_u32_e32 v44, v60, v43
	;; [unrolled: 1-line block ×3, first 2 shown]
	v_cndmask_b32_e64 v41, 0, v42, s[4:5]
	v_min_i32_e32 v42, v58, v11
	v_cmp_ge_i32_e64 s[6:7], v60, v43
	v_sub_u32_e32 v11, v30, v29
	v_lshl_add_u32 v56, v24, 3, v9
	v_lshlrev_b32_e32 v9, 3, v58
	v_sub_u32_e32 v15, v13, v14
	v_sub_u32_e32 v46, v62, v45
	v_cmp_ge_i32_e64 s[0:1], v13, v14
	v_cndmask_b32_e64 v43, 0, v44, s[6:7]
	v_min_i32_e32 v44, v60, v11
	v_cmp_ge_i32_e64 s[8:9], v62, v45
	v_sub_u32_e32 v11, v33, v32
	v_add_u32_e32 v57, v27, v58
	v_lshl_add_u32 v58, v27, 3, v9
	v_lshlrev_b32_e32 v9, 3, v60
	v_cndmask_b32_e32 v35, 0, v12, vcc
	v_cndmask_b32_e64 v37, 0, v15, s[0:1]
	v_cndmask_b32_e64 v45, 0, v46, s[8:9]
	v_min_i32_e32 v46, v62, v11
	v_add_u32_e32 v59, v30, v60
	v_lshl_add_u32 v60, v30, 3, v9
	v_lshlrev_b32_e32 v9, 3, v62
	v_lshlrev_b32_e32 v63, 5, v0
	v_cmp_lt_i32_e32 vcc, v35, v36
	v_cmp_lt_i32_e64 s[0:1], v37, v38
	v_cmp_lt_i32_e64 s[2:3], v39, v40
	;; [unrolled: 1-line block ×6, first 2 shown]
	v_add_u32_e32 v51, v18, v10
	v_add_u32_e32 v53, v21, v13
	;; [unrolled: 1-line block ×4, first 2 shown]
	v_lshl_add_u32 v62, v33, 3, v9
	s_movk_i32 s26, 0x200
	v_lshlrev_b32_e32 v64, 3, v17
	v_lshlrev_b32_e32 v65, 3, v20
	v_lshlrev_b32_e32 v66, 3, v23
	v_lshlrev_b32_e32 v67, 3, v26
	v_lshlrev_b32_e32 v68, 3, v29
	v_lshlrev_b32_e32 v69, 3, v32
	v_add_u32_e32 v70, 0x800, v63
	s_branch .LBB136_2
.LBB136_1:                              ;   in Loop: Header=BB136_2 Depth=1
	s_or_b64 exec, exec, s[18:19]
	v_cndmask_b32_e64 v6, v6, v8, s[14:15]
	v_cndmask_b32_e64 v5, v5, v7, s[14:15]
	s_waitcnt lgkmcnt(0)
	v_cmp_lt_i64_e64 s[14:15], v[15:16], v[13:14]
	v_cndmask_b32_e64 v4, v2, v4, s[12:13]
	v_cndmask_b32_e64 v3, v1, v3, s[12:13]
	;; [unrolled: 1-line block ×4, first 2 shown]
	v_cmp_ge_i32_e64 s[16:17], v72, v47
	v_cmp_gt_i32_e64 s[12:13], s26, v71
	s_or_b64 s[14:15], s[16:17], s[14:15]
	s_and_b64 s[12:13], s[12:13], s[14:15]
	s_add_i32 s27, s27, 1
	v_cndmask_b32_e64 v8, v14, v16, s[12:13]
	s_cmp_eq_u32 s27, 10
	v_cndmask_b32_e64 v7, v13, v15, s[12:13]
	s_cbranch_scc1 .LBB136_114
.LBB136_2:                              ; =>This Loop Header: Depth=1
                                        ;     Child Loop BB136_4 Depth 2
                                        ;     Child Loop BB136_20 Depth 2
	;; [unrolled: 1-line block ×7, first 2 shown]
	s_waitcnt vmcnt(2)
	v_cmp_lt_i64_e64 s[12:13], v[5:6], v[3:4]
	v_cmp_gt_i64_e64 s[14:15], v[5:6], v[3:4]
	v_cndmask_b32_e64 v10, v4, v6, s[12:13]
	v_cndmask_b32_e64 v9, v3, v5, s[12:13]
	v_cndmask_b32_e64 v11, v5, v3, s[12:13]
	v_cndmask_b32_e64 v12, v6, v4, s[12:13]
	s_waitcnt vmcnt(0)
	v_cmp_lt_i64_e64 s[12:13], v[7:8], v[1:2]
	v_cndmask_b32_e64 v4, v4, v6, s[14:15]
	v_cndmask_b32_e64 v3, v3, v5, s[14:15]
	v_cmp_gt_i64_e64 s[14:15], v[7:8], v[1:2]
	v_cndmask_b32_e64 v6, v2, v8, s[12:13]
	v_cndmask_b32_e64 v5, v1, v7, s[12:13]
	;; [unrolled: 1-line block ×5, first 2 shown]
	v_cmp_lt_i64_e64 s[12:13], v[5:6], v[3:4]
	v_cndmask_b32_e64 v1, v1, v7, s[14:15]
	v_cmp_gt_i64_e64 s[14:15], v[5:6], v[3:4]
	v_cndmask_b32_e64 v15, v6, v4, s[12:13]
	v_cndmask_b32_e64 v16, v5, v3, s[12:13]
	;; [unrolled: 1-line block ×7, first 2 shown]
	v_cmp_lt_i64_e64 s[14:15], v[5:6], v[9:10]
	v_cndmask_b32_e64 v72, v4, v6, s[12:13]
	v_cmp_gt_i64_e64 s[12:13], v[3:4], v[1:2]
	v_cndmask_b32_e64 v6, v10, v72, s[14:15]
	v_cndmask_b32_e64 v5, v9, v71, s[14:15]
	;; [unrolled: 1-line block ×8, first 2 shown]
	v_cmp_lt_i64_e64 s[14:15], v[9:10], v[7:8]
	v_cndmask_b32_e64 v3, v13, v11, s[12:13]
	v_cndmask_b32_e64 v13, v16, v1, s[12:13]
	;; [unrolled: 1-line block ×8, first 2 shown]
	s_barrier
	ds_write2_b64 v63, v[5:6], v[7:8] offset1:1
	ds_write2_b64 v63, v[1:2], v[3:4] offset0:2 offset1:3
	v_mov_b32_e32 v5, v35
	s_waitcnt lgkmcnt(0)
	s_barrier
	s_and_saveexec_b64 s[14:15], vcc
	s_cbranch_execz .LBB136_6
; %bb.3:                                ;   in Loop: Header=BB136_2 Depth=1
	s_mov_b64 s[16:17], 0
	v_mov_b32_e32 v5, v35
	v_mov_b32_e32 v1, v36
.LBB136_4:                              ;   Parent Loop BB136_2 Depth=1
                                        ; =>  This Inner Loop Header: Depth=2
	v_sub_u32_e32 v2, v1, v5
	v_lshrrev_b32_e32 v2, 1, v2
	v_add_u32_e32 v4, v2, v5
	v_not_b32_e32 v3, v4
	v_lshl_add_u32 v2, v4, 3, v64
	v_lshl_add_u32 v6, v3, 3, v52
	ds_read_b64 v[2:3], v2
	ds_read_b64 v[6:7], v6
	v_add_u32_e32 v8, 1, v4
	s_waitcnt lgkmcnt(0)
	v_cmp_lt_i64_e64 s[12:13], v[6:7], v[2:3]
	v_cndmask_b32_e64 v1, v1, v4, s[12:13]
	v_cndmask_b32_e64 v5, v8, v5, s[12:13]
	v_cmp_ge_i32_e64 s[12:13], v5, v1
	s_or_b64 s[16:17], s[12:13], s[16:17]
	s_andn2_b64 exec, exec, s[16:17]
	s_cbranch_execnz .LBB136_4
; %bb.5:                                ;   in Loop: Header=BB136_2 Depth=1
	s_or_b64 exec, exec, s[16:17]
.LBB136_6:                              ;   in Loop: Header=BB136_2 Depth=1
	s_or_b64 exec, exec, s[14:15]
	v_sub_u32_e32 v9, v51, v5
	v_lshl_add_u32 v7, v5, 3, v64
	v_lshlrev_b32_e32 v11, 3, v9
	ds_read_b64 v[1:2], v7
	ds_read_b64 v[3:4], v11
	v_add_u32_e32 v10, v5, v17
	v_cmp_le_i32_e64 s[16:17], v18, v10
	v_cmp_gt_i32_e64 s[12:13], v19, v9
                                        ; implicit-def: $vgpr5_vgpr6
	s_waitcnt lgkmcnt(0)
	v_cmp_lt_i64_e64 s[14:15], v[3:4], v[1:2]
	s_or_b64 s[14:15], s[16:17], s[14:15]
	s_and_b64 s[12:13], s[12:13], s[14:15]
	s_xor_b64 s[14:15], s[12:13], -1
	s_and_saveexec_b64 s[16:17], s[14:15]
	s_xor_b64 s[14:15], exec, s[16:17]
; %bb.7:                                ;   in Loop: Header=BB136_2 Depth=1
	ds_read_b64 v[5:6], v7 offset:8
                                        ; implicit-def: $vgpr11
; %bb.8:                                ;   in Loop: Header=BB136_2 Depth=1
	s_or_saveexec_b64 s[14:15], s[14:15]
	v_mov_b32_e32 v8, v4
	v_mov_b32_e32 v7, v3
	s_xor_b64 exec, exec, s[14:15]
	s_cbranch_execz .LBB136_10
; %bb.9:                                ;   in Loop: Header=BB136_2 Depth=1
	ds_read_b64 v[7:8], v11 offset:8
	s_waitcnt lgkmcnt(1)
	v_mov_b32_e32 v6, v2
	v_mov_b32_e32 v5, v1
.LBB136_10:                             ;   in Loop: Header=BB136_2 Depth=1
	s_or_b64 exec, exec, s[14:15]
	v_add_u32_e32 v12, 1, v10
	v_add_u32_e32 v11, 1, v9
	v_cndmask_b32_e64 v14, v12, v10, s[12:13]
	s_waitcnt lgkmcnt(0)
	v_cmp_lt_i64_e64 s[16:17], v[7:8], v[5:6]
	v_cndmask_b32_e64 v13, v9, v11, s[12:13]
	v_cmp_ge_i32_e64 s[18:19], v14, v18
	v_cmp_lt_i32_e64 s[14:15], v13, v19
	s_or_b64 s[16:17], s[18:19], s[16:17]
	s_and_b64 s[14:15], s[14:15], s[16:17]
	s_xor_b64 s[16:17], s[14:15], -1
                                        ; implicit-def: $vgpr9_vgpr10
	s_and_saveexec_b64 s[18:19], s[16:17]
	s_xor_b64 s[16:17], exec, s[18:19]
; %bb.11:                               ;   in Loop: Header=BB136_2 Depth=1
	v_lshlrev_b32_e32 v9, 3, v14
	ds_read_b64 v[9:10], v9 offset:8
; %bb.12:                               ;   in Loop: Header=BB136_2 Depth=1
	s_or_saveexec_b64 s[16:17], s[16:17]
	v_mov_b32_e32 v12, v8
	v_mov_b32_e32 v11, v7
	s_xor_b64 exec, exec, s[16:17]
	s_cbranch_execz .LBB136_14
; %bb.13:                               ;   in Loop: Header=BB136_2 Depth=1
	s_waitcnt lgkmcnt(0)
	v_lshlrev_b32_e32 v9, 3, v13
	ds_read_b64 v[11:12], v9 offset:8
	v_mov_b32_e32 v10, v6
	v_mov_b32_e32 v9, v5
.LBB136_14:                             ;   in Loop: Header=BB136_2 Depth=1
	s_or_b64 exec, exec, s[16:17]
	v_add_u32_e32 v16, 1, v14
	v_add_u32_e32 v15, 1, v13
	v_cndmask_b32_e64 v72, v16, v14, s[14:15]
	s_waitcnt lgkmcnt(0)
	v_cmp_lt_i64_e64 s[18:19], v[11:12], v[9:10]
	v_cndmask_b32_e64 v71, v13, v15, s[14:15]
	v_cmp_ge_i32_e64 s[20:21], v72, v18
	v_cmp_lt_i32_e64 s[16:17], v71, v19
	s_or_b64 s[18:19], s[20:21], s[18:19]
	s_and_b64 s[16:17], s[16:17], s[18:19]
	s_xor_b64 s[18:19], s[16:17], -1
                                        ; implicit-def: $vgpr13_vgpr14
	s_and_saveexec_b64 s[20:21], s[18:19]
	s_xor_b64 s[18:19], exec, s[20:21]
; %bb.15:                               ;   in Loop: Header=BB136_2 Depth=1
	v_lshlrev_b32_e32 v13, 3, v72
	ds_read_b64 v[13:14], v13 offset:8
; %bb.16:                               ;   in Loop: Header=BB136_2 Depth=1
	s_or_saveexec_b64 s[18:19], s[18:19]
	v_mov_b32_e32 v16, v12
	v_mov_b32_e32 v15, v11
	s_xor_b64 exec, exec, s[18:19]
	s_cbranch_execz .LBB136_18
; %bb.17:                               ;   in Loop: Header=BB136_2 Depth=1
	s_waitcnt lgkmcnt(0)
	v_lshlrev_b32_e32 v13, 3, v71
	ds_read_b64 v[15:16], v13 offset:8
	v_mov_b32_e32 v14, v10
	v_mov_b32_e32 v13, v9
.LBB136_18:                             ;   in Loop: Header=BB136_2 Depth=1
	s_or_b64 exec, exec, s[18:19]
	v_cndmask_b32_e64 v10, v10, v12, s[16:17]
	v_add_u32_e32 v12, 1, v72
	v_cndmask_b32_e64 v9, v9, v11, s[16:17]
	v_add_u32_e32 v11, 1, v71
	v_cndmask_b32_e64 v12, v12, v72, s[16:17]
	v_cndmask_b32_e64 v6, v6, v8, s[14:15]
	v_cndmask_b32_e64 v5, v5, v7, s[14:15]
	s_waitcnt lgkmcnt(0)
	v_cmp_lt_i64_e64 s[14:15], v[15:16], v[13:14]
	v_cndmask_b32_e64 v11, v71, v11, s[16:17]
	v_cmp_ge_i32_e64 s[16:17], v12, v18
	v_cndmask_b32_e64 v2, v2, v4, s[12:13]
	v_cndmask_b32_e64 v1, v1, v3, s[12:13]
	v_cmp_lt_i32_e64 s[12:13], v11, v19
	s_or_b64 s[14:15], s[16:17], s[14:15]
	s_and_b64 s[12:13], s[12:13], s[14:15]
	v_cndmask_b32_e64 v4, v14, v16, s[12:13]
	v_cndmask_b32_e64 v3, v13, v15, s[12:13]
	s_barrier
	ds_write2_b64 v63, v[1:2], v[5:6] offset1:1
	ds_write2_b64 v63, v[9:10], v[3:4] offset0:2 offset1:3
	v_mov_b32_e32 v5, v37
	s_waitcnt lgkmcnt(0)
	s_barrier
	s_and_saveexec_b64 s[14:15], s[0:1]
	s_cbranch_execz .LBB136_22
; %bb.19:                               ;   in Loop: Header=BB136_2 Depth=1
	s_mov_b64 s[16:17], 0
	v_mov_b32_e32 v5, v37
	v_mov_b32_e32 v1, v38
.LBB136_20:                             ;   Parent Loop BB136_2 Depth=1
                                        ; =>  This Inner Loop Header: Depth=2
	v_sub_u32_e32 v2, v1, v5
	v_lshrrev_b32_e32 v2, 1, v2
	v_add_u32_e32 v4, v2, v5
	v_not_b32_e32 v3, v4
	v_lshl_add_u32 v2, v4, 3, v65
	v_lshl_add_u32 v6, v3, 3, v54
	ds_read_b64 v[2:3], v2
	ds_read_b64 v[6:7], v6
	v_add_u32_e32 v8, 1, v4
	s_waitcnt lgkmcnt(0)
	v_cmp_lt_i64_e64 s[12:13], v[6:7], v[2:3]
	v_cndmask_b32_e64 v1, v1, v4, s[12:13]
	v_cndmask_b32_e64 v5, v8, v5, s[12:13]
	v_cmp_ge_i32_e64 s[12:13], v5, v1
	s_or_b64 s[16:17], s[12:13], s[16:17]
	s_andn2_b64 exec, exec, s[16:17]
	s_cbranch_execnz .LBB136_20
; %bb.21:                               ;   in Loop: Header=BB136_2 Depth=1
	s_or_b64 exec, exec, s[16:17]
.LBB136_22:                             ;   in Loop: Header=BB136_2 Depth=1
	s_or_b64 exec, exec, s[14:15]
	v_sub_u32_e32 v9, v53, v5
	v_lshl_add_u32 v7, v5, 3, v65
	v_lshlrev_b32_e32 v11, 3, v9
	ds_read_b64 v[1:2], v7
	ds_read_b64 v[3:4], v11
	v_add_u32_e32 v10, v5, v20
	v_cmp_le_i32_e64 s[16:17], v21, v10
	v_cmp_gt_i32_e64 s[12:13], v22, v9
                                        ; implicit-def: $vgpr5_vgpr6
	s_waitcnt lgkmcnt(0)
	v_cmp_lt_i64_e64 s[14:15], v[3:4], v[1:2]
	s_or_b64 s[14:15], s[16:17], s[14:15]
	s_and_b64 s[12:13], s[12:13], s[14:15]
	s_xor_b64 s[14:15], s[12:13], -1
	s_and_saveexec_b64 s[16:17], s[14:15]
	s_xor_b64 s[14:15], exec, s[16:17]
; %bb.23:                               ;   in Loop: Header=BB136_2 Depth=1
	ds_read_b64 v[5:6], v7 offset:8
                                        ; implicit-def: $vgpr11
; %bb.24:                               ;   in Loop: Header=BB136_2 Depth=1
	s_or_saveexec_b64 s[14:15], s[14:15]
	v_mov_b32_e32 v8, v4
	v_mov_b32_e32 v7, v3
	s_xor_b64 exec, exec, s[14:15]
	s_cbranch_execz .LBB136_26
; %bb.25:                               ;   in Loop: Header=BB136_2 Depth=1
	ds_read_b64 v[7:8], v11 offset:8
	s_waitcnt lgkmcnt(1)
	v_mov_b32_e32 v6, v2
	v_mov_b32_e32 v5, v1
.LBB136_26:                             ;   in Loop: Header=BB136_2 Depth=1
	s_or_b64 exec, exec, s[14:15]
	v_add_u32_e32 v12, 1, v10
	v_add_u32_e32 v11, 1, v9
	v_cndmask_b32_e64 v14, v12, v10, s[12:13]
	s_waitcnt lgkmcnt(0)
	v_cmp_lt_i64_e64 s[16:17], v[7:8], v[5:6]
	v_cndmask_b32_e64 v13, v9, v11, s[12:13]
	v_cmp_ge_i32_e64 s[18:19], v14, v21
	v_cmp_lt_i32_e64 s[14:15], v13, v22
	s_or_b64 s[16:17], s[18:19], s[16:17]
	s_and_b64 s[14:15], s[14:15], s[16:17]
	s_xor_b64 s[16:17], s[14:15], -1
                                        ; implicit-def: $vgpr9_vgpr10
	s_and_saveexec_b64 s[18:19], s[16:17]
	s_xor_b64 s[16:17], exec, s[18:19]
; %bb.27:                               ;   in Loop: Header=BB136_2 Depth=1
	v_lshlrev_b32_e32 v9, 3, v14
	ds_read_b64 v[9:10], v9 offset:8
; %bb.28:                               ;   in Loop: Header=BB136_2 Depth=1
	s_or_saveexec_b64 s[16:17], s[16:17]
	v_mov_b32_e32 v12, v8
	v_mov_b32_e32 v11, v7
	s_xor_b64 exec, exec, s[16:17]
	s_cbranch_execz .LBB136_30
; %bb.29:                               ;   in Loop: Header=BB136_2 Depth=1
	s_waitcnt lgkmcnt(0)
	v_lshlrev_b32_e32 v9, 3, v13
	ds_read_b64 v[11:12], v9 offset:8
	v_mov_b32_e32 v10, v6
	v_mov_b32_e32 v9, v5
.LBB136_30:                             ;   in Loop: Header=BB136_2 Depth=1
	s_or_b64 exec, exec, s[16:17]
	v_add_u32_e32 v16, 1, v14
	v_add_u32_e32 v15, 1, v13
	v_cndmask_b32_e64 v72, v16, v14, s[14:15]
	s_waitcnt lgkmcnt(0)
	v_cmp_lt_i64_e64 s[18:19], v[11:12], v[9:10]
	v_cndmask_b32_e64 v71, v13, v15, s[14:15]
	v_cmp_ge_i32_e64 s[20:21], v72, v21
	v_cmp_lt_i32_e64 s[16:17], v71, v22
	s_or_b64 s[18:19], s[20:21], s[18:19]
	s_and_b64 s[16:17], s[16:17], s[18:19]
	s_xor_b64 s[18:19], s[16:17], -1
                                        ; implicit-def: $vgpr13_vgpr14
	s_and_saveexec_b64 s[20:21], s[18:19]
	s_xor_b64 s[18:19], exec, s[20:21]
; %bb.31:                               ;   in Loop: Header=BB136_2 Depth=1
	v_lshlrev_b32_e32 v13, 3, v72
	ds_read_b64 v[13:14], v13 offset:8
; %bb.32:                               ;   in Loop: Header=BB136_2 Depth=1
	s_or_saveexec_b64 s[18:19], s[18:19]
	v_mov_b32_e32 v16, v12
	v_mov_b32_e32 v15, v11
	s_xor_b64 exec, exec, s[18:19]
	s_cbranch_execz .LBB136_34
; %bb.33:                               ;   in Loop: Header=BB136_2 Depth=1
	s_waitcnt lgkmcnt(0)
	v_lshlrev_b32_e32 v13, 3, v71
	ds_read_b64 v[15:16], v13 offset:8
	v_mov_b32_e32 v14, v10
	v_mov_b32_e32 v13, v9
.LBB136_34:                             ;   in Loop: Header=BB136_2 Depth=1
	s_or_b64 exec, exec, s[18:19]
	v_cndmask_b32_e64 v10, v10, v12, s[16:17]
	v_add_u32_e32 v12, 1, v72
	v_cndmask_b32_e64 v9, v9, v11, s[16:17]
	v_add_u32_e32 v11, 1, v71
	v_cndmask_b32_e64 v12, v12, v72, s[16:17]
	v_cndmask_b32_e64 v6, v6, v8, s[14:15]
	;; [unrolled: 1-line block ×3, first 2 shown]
	s_waitcnt lgkmcnt(0)
	v_cmp_lt_i64_e64 s[14:15], v[15:16], v[13:14]
	v_cndmask_b32_e64 v11, v71, v11, s[16:17]
	v_cmp_ge_i32_e64 s[16:17], v12, v21
	v_cndmask_b32_e64 v2, v2, v4, s[12:13]
	v_cndmask_b32_e64 v1, v1, v3, s[12:13]
	v_cmp_lt_i32_e64 s[12:13], v11, v22
	s_or_b64 s[14:15], s[16:17], s[14:15]
	s_and_b64 s[12:13], s[12:13], s[14:15]
	v_cndmask_b32_e64 v4, v14, v16, s[12:13]
	v_cndmask_b32_e64 v3, v13, v15, s[12:13]
	s_barrier
	ds_write2_b64 v63, v[1:2], v[5:6] offset1:1
	ds_write2_b64 v63, v[9:10], v[3:4] offset0:2 offset1:3
	v_mov_b32_e32 v5, v39
	s_waitcnt lgkmcnt(0)
	s_barrier
	s_and_saveexec_b64 s[14:15], s[2:3]
	s_cbranch_execz .LBB136_38
; %bb.35:                               ;   in Loop: Header=BB136_2 Depth=1
	s_mov_b64 s[16:17], 0
	v_mov_b32_e32 v5, v39
	v_mov_b32_e32 v1, v40
.LBB136_36:                             ;   Parent Loop BB136_2 Depth=1
                                        ; =>  This Inner Loop Header: Depth=2
	v_sub_u32_e32 v2, v1, v5
	v_lshrrev_b32_e32 v2, 1, v2
	v_add_u32_e32 v4, v2, v5
	v_not_b32_e32 v3, v4
	v_lshl_add_u32 v2, v4, 3, v66
	v_lshl_add_u32 v6, v3, 3, v56
	ds_read_b64 v[2:3], v2
	ds_read_b64 v[6:7], v6
	v_add_u32_e32 v8, 1, v4
	s_waitcnt lgkmcnt(0)
	v_cmp_lt_i64_e64 s[12:13], v[6:7], v[2:3]
	v_cndmask_b32_e64 v1, v1, v4, s[12:13]
	v_cndmask_b32_e64 v5, v8, v5, s[12:13]
	v_cmp_ge_i32_e64 s[12:13], v5, v1
	s_or_b64 s[16:17], s[12:13], s[16:17]
	s_andn2_b64 exec, exec, s[16:17]
	s_cbranch_execnz .LBB136_36
; %bb.37:                               ;   in Loop: Header=BB136_2 Depth=1
	s_or_b64 exec, exec, s[16:17]
.LBB136_38:                             ;   in Loop: Header=BB136_2 Depth=1
	s_or_b64 exec, exec, s[14:15]
	v_sub_u32_e32 v9, v55, v5
	v_lshl_add_u32 v7, v5, 3, v66
	v_lshlrev_b32_e32 v11, 3, v9
	ds_read_b64 v[1:2], v7
	ds_read_b64 v[3:4], v11
	v_add_u32_e32 v10, v5, v23
	v_cmp_le_i32_e64 s[16:17], v24, v10
	v_cmp_gt_i32_e64 s[12:13], v25, v9
                                        ; implicit-def: $vgpr5_vgpr6
	s_waitcnt lgkmcnt(0)
	v_cmp_lt_i64_e64 s[14:15], v[3:4], v[1:2]
	s_or_b64 s[14:15], s[16:17], s[14:15]
	s_and_b64 s[12:13], s[12:13], s[14:15]
	s_xor_b64 s[14:15], s[12:13], -1
	s_and_saveexec_b64 s[16:17], s[14:15]
	s_xor_b64 s[14:15], exec, s[16:17]
; %bb.39:                               ;   in Loop: Header=BB136_2 Depth=1
	ds_read_b64 v[5:6], v7 offset:8
                                        ; implicit-def: $vgpr11
; %bb.40:                               ;   in Loop: Header=BB136_2 Depth=1
	s_or_saveexec_b64 s[14:15], s[14:15]
	v_mov_b32_e32 v8, v4
	v_mov_b32_e32 v7, v3
	s_xor_b64 exec, exec, s[14:15]
	s_cbranch_execz .LBB136_42
; %bb.41:                               ;   in Loop: Header=BB136_2 Depth=1
	ds_read_b64 v[7:8], v11 offset:8
	s_waitcnt lgkmcnt(1)
	v_mov_b32_e32 v6, v2
	v_mov_b32_e32 v5, v1
.LBB136_42:                             ;   in Loop: Header=BB136_2 Depth=1
	s_or_b64 exec, exec, s[14:15]
	v_add_u32_e32 v12, 1, v10
	v_add_u32_e32 v11, 1, v9
	v_cndmask_b32_e64 v14, v12, v10, s[12:13]
	s_waitcnt lgkmcnt(0)
	v_cmp_lt_i64_e64 s[16:17], v[7:8], v[5:6]
	v_cndmask_b32_e64 v13, v9, v11, s[12:13]
	v_cmp_ge_i32_e64 s[18:19], v14, v24
	v_cmp_lt_i32_e64 s[14:15], v13, v25
	s_or_b64 s[16:17], s[18:19], s[16:17]
	s_and_b64 s[14:15], s[14:15], s[16:17]
	s_xor_b64 s[16:17], s[14:15], -1
                                        ; implicit-def: $vgpr9_vgpr10
	s_and_saveexec_b64 s[18:19], s[16:17]
	s_xor_b64 s[16:17], exec, s[18:19]
; %bb.43:                               ;   in Loop: Header=BB136_2 Depth=1
	v_lshlrev_b32_e32 v9, 3, v14
	ds_read_b64 v[9:10], v9 offset:8
; %bb.44:                               ;   in Loop: Header=BB136_2 Depth=1
	s_or_saveexec_b64 s[16:17], s[16:17]
	v_mov_b32_e32 v12, v8
	v_mov_b32_e32 v11, v7
	s_xor_b64 exec, exec, s[16:17]
	s_cbranch_execz .LBB136_46
; %bb.45:                               ;   in Loop: Header=BB136_2 Depth=1
	s_waitcnt lgkmcnt(0)
	v_lshlrev_b32_e32 v9, 3, v13
	ds_read_b64 v[11:12], v9 offset:8
	v_mov_b32_e32 v10, v6
	v_mov_b32_e32 v9, v5
.LBB136_46:                             ;   in Loop: Header=BB136_2 Depth=1
	s_or_b64 exec, exec, s[16:17]
	v_add_u32_e32 v16, 1, v14
	v_add_u32_e32 v15, 1, v13
	v_cndmask_b32_e64 v72, v16, v14, s[14:15]
	s_waitcnt lgkmcnt(0)
	v_cmp_lt_i64_e64 s[18:19], v[11:12], v[9:10]
	v_cndmask_b32_e64 v71, v13, v15, s[14:15]
	v_cmp_ge_i32_e64 s[20:21], v72, v24
	v_cmp_lt_i32_e64 s[16:17], v71, v25
	s_or_b64 s[18:19], s[20:21], s[18:19]
	s_and_b64 s[16:17], s[16:17], s[18:19]
	s_xor_b64 s[18:19], s[16:17], -1
                                        ; implicit-def: $vgpr13_vgpr14
	s_and_saveexec_b64 s[20:21], s[18:19]
	s_xor_b64 s[18:19], exec, s[20:21]
; %bb.47:                               ;   in Loop: Header=BB136_2 Depth=1
	v_lshlrev_b32_e32 v13, 3, v72
	ds_read_b64 v[13:14], v13 offset:8
; %bb.48:                               ;   in Loop: Header=BB136_2 Depth=1
	s_or_saveexec_b64 s[18:19], s[18:19]
	v_mov_b32_e32 v16, v12
	v_mov_b32_e32 v15, v11
	s_xor_b64 exec, exec, s[18:19]
	s_cbranch_execz .LBB136_50
; %bb.49:                               ;   in Loop: Header=BB136_2 Depth=1
	s_waitcnt lgkmcnt(0)
	v_lshlrev_b32_e32 v13, 3, v71
	ds_read_b64 v[15:16], v13 offset:8
	v_mov_b32_e32 v14, v10
	v_mov_b32_e32 v13, v9
.LBB136_50:                             ;   in Loop: Header=BB136_2 Depth=1
	s_or_b64 exec, exec, s[18:19]
	v_cndmask_b32_e64 v10, v10, v12, s[16:17]
	v_add_u32_e32 v12, 1, v72
	v_cndmask_b32_e64 v9, v9, v11, s[16:17]
	v_add_u32_e32 v11, 1, v71
	v_cndmask_b32_e64 v12, v12, v72, s[16:17]
	v_cndmask_b32_e64 v6, v6, v8, s[14:15]
	;; [unrolled: 1-line block ×3, first 2 shown]
	s_waitcnt lgkmcnt(0)
	v_cmp_lt_i64_e64 s[14:15], v[15:16], v[13:14]
	v_cndmask_b32_e64 v11, v71, v11, s[16:17]
	v_cmp_ge_i32_e64 s[16:17], v12, v24
	v_cndmask_b32_e64 v2, v2, v4, s[12:13]
	v_cndmask_b32_e64 v1, v1, v3, s[12:13]
	v_cmp_lt_i32_e64 s[12:13], v11, v25
	s_or_b64 s[14:15], s[16:17], s[14:15]
	s_and_b64 s[12:13], s[12:13], s[14:15]
	v_cndmask_b32_e64 v4, v14, v16, s[12:13]
	v_cndmask_b32_e64 v3, v13, v15, s[12:13]
	s_barrier
	ds_write2_b64 v63, v[1:2], v[5:6] offset1:1
	ds_write2_b64 v63, v[9:10], v[3:4] offset0:2 offset1:3
	v_mov_b32_e32 v5, v41
	s_waitcnt lgkmcnt(0)
	s_barrier
	s_and_saveexec_b64 s[14:15], s[4:5]
	s_cbranch_execz .LBB136_54
; %bb.51:                               ;   in Loop: Header=BB136_2 Depth=1
	s_mov_b64 s[16:17], 0
	v_mov_b32_e32 v5, v41
	v_mov_b32_e32 v1, v42
.LBB136_52:                             ;   Parent Loop BB136_2 Depth=1
                                        ; =>  This Inner Loop Header: Depth=2
	v_sub_u32_e32 v2, v1, v5
	v_lshrrev_b32_e32 v2, 1, v2
	v_add_u32_e32 v4, v2, v5
	v_not_b32_e32 v3, v4
	v_lshl_add_u32 v2, v4, 3, v67
	v_lshl_add_u32 v6, v3, 3, v58
	ds_read_b64 v[2:3], v2
	ds_read_b64 v[6:7], v6
	v_add_u32_e32 v8, 1, v4
	s_waitcnt lgkmcnt(0)
	v_cmp_lt_i64_e64 s[12:13], v[6:7], v[2:3]
	v_cndmask_b32_e64 v1, v1, v4, s[12:13]
	v_cndmask_b32_e64 v5, v8, v5, s[12:13]
	v_cmp_ge_i32_e64 s[12:13], v5, v1
	s_or_b64 s[16:17], s[12:13], s[16:17]
	s_andn2_b64 exec, exec, s[16:17]
	s_cbranch_execnz .LBB136_52
; %bb.53:                               ;   in Loop: Header=BB136_2 Depth=1
	s_or_b64 exec, exec, s[16:17]
.LBB136_54:                             ;   in Loop: Header=BB136_2 Depth=1
	s_or_b64 exec, exec, s[14:15]
	v_sub_u32_e32 v9, v57, v5
	v_lshl_add_u32 v7, v5, 3, v67
	v_lshlrev_b32_e32 v11, 3, v9
	ds_read_b64 v[1:2], v7
	ds_read_b64 v[3:4], v11
	v_add_u32_e32 v10, v5, v26
	v_cmp_le_i32_e64 s[16:17], v27, v10
	v_cmp_gt_i32_e64 s[12:13], v28, v9
                                        ; implicit-def: $vgpr5_vgpr6
	s_waitcnt lgkmcnt(0)
	v_cmp_lt_i64_e64 s[14:15], v[3:4], v[1:2]
	s_or_b64 s[14:15], s[16:17], s[14:15]
	s_and_b64 s[12:13], s[12:13], s[14:15]
	s_xor_b64 s[14:15], s[12:13], -1
	s_and_saveexec_b64 s[16:17], s[14:15]
	s_xor_b64 s[14:15], exec, s[16:17]
; %bb.55:                               ;   in Loop: Header=BB136_2 Depth=1
	ds_read_b64 v[5:6], v7 offset:8
                                        ; implicit-def: $vgpr11
; %bb.56:                               ;   in Loop: Header=BB136_2 Depth=1
	s_or_saveexec_b64 s[14:15], s[14:15]
	v_mov_b32_e32 v8, v4
	v_mov_b32_e32 v7, v3
	s_xor_b64 exec, exec, s[14:15]
	s_cbranch_execz .LBB136_58
; %bb.57:                               ;   in Loop: Header=BB136_2 Depth=1
	ds_read_b64 v[7:8], v11 offset:8
	s_waitcnt lgkmcnt(1)
	v_mov_b32_e32 v6, v2
	v_mov_b32_e32 v5, v1
.LBB136_58:                             ;   in Loop: Header=BB136_2 Depth=1
	s_or_b64 exec, exec, s[14:15]
	v_add_u32_e32 v12, 1, v10
	v_add_u32_e32 v11, 1, v9
	v_cndmask_b32_e64 v14, v12, v10, s[12:13]
	s_waitcnt lgkmcnt(0)
	v_cmp_lt_i64_e64 s[16:17], v[7:8], v[5:6]
	v_cndmask_b32_e64 v13, v9, v11, s[12:13]
	v_cmp_ge_i32_e64 s[18:19], v14, v27
	v_cmp_lt_i32_e64 s[14:15], v13, v28
	s_or_b64 s[16:17], s[18:19], s[16:17]
	s_and_b64 s[14:15], s[14:15], s[16:17]
	s_xor_b64 s[16:17], s[14:15], -1
                                        ; implicit-def: $vgpr9_vgpr10
	s_and_saveexec_b64 s[18:19], s[16:17]
	s_xor_b64 s[16:17], exec, s[18:19]
; %bb.59:                               ;   in Loop: Header=BB136_2 Depth=1
	v_lshlrev_b32_e32 v9, 3, v14
	ds_read_b64 v[9:10], v9 offset:8
; %bb.60:                               ;   in Loop: Header=BB136_2 Depth=1
	s_or_saveexec_b64 s[16:17], s[16:17]
	v_mov_b32_e32 v12, v8
	v_mov_b32_e32 v11, v7
	s_xor_b64 exec, exec, s[16:17]
	s_cbranch_execz .LBB136_62
; %bb.61:                               ;   in Loop: Header=BB136_2 Depth=1
	s_waitcnt lgkmcnt(0)
	v_lshlrev_b32_e32 v9, 3, v13
	ds_read_b64 v[11:12], v9 offset:8
	v_mov_b32_e32 v10, v6
	v_mov_b32_e32 v9, v5
.LBB136_62:                             ;   in Loop: Header=BB136_2 Depth=1
	s_or_b64 exec, exec, s[16:17]
	v_add_u32_e32 v16, 1, v14
	v_add_u32_e32 v15, 1, v13
	v_cndmask_b32_e64 v72, v16, v14, s[14:15]
	s_waitcnt lgkmcnt(0)
	v_cmp_lt_i64_e64 s[18:19], v[11:12], v[9:10]
	v_cndmask_b32_e64 v71, v13, v15, s[14:15]
	v_cmp_ge_i32_e64 s[20:21], v72, v27
	v_cmp_lt_i32_e64 s[16:17], v71, v28
	s_or_b64 s[18:19], s[20:21], s[18:19]
	s_and_b64 s[16:17], s[16:17], s[18:19]
	s_xor_b64 s[18:19], s[16:17], -1
                                        ; implicit-def: $vgpr13_vgpr14
	s_and_saveexec_b64 s[20:21], s[18:19]
	s_xor_b64 s[18:19], exec, s[20:21]
; %bb.63:                               ;   in Loop: Header=BB136_2 Depth=1
	v_lshlrev_b32_e32 v13, 3, v72
	ds_read_b64 v[13:14], v13 offset:8
; %bb.64:                               ;   in Loop: Header=BB136_2 Depth=1
	s_or_saveexec_b64 s[18:19], s[18:19]
	v_mov_b32_e32 v16, v12
	v_mov_b32_e32 v15, v11
	s_xor_b64 exec, exec, s[18:19]
	s_cbranch_execz .LBB136_66
; %bb.65:                               ;   in Loop: Header=BB136_2 Depth=1
	s_waitcnt lgkmcnt(0)
	v_lshlrev_b32_e32 v13, 3, v71
	ds_read_b64 v[15:16], v13 offset:8
	v_mov_b32_e32 v14, v10
	v_mov_b32_e32 v13, v9
.LBB136_66:                             ;   in Loop: Header=BB136_2 Depth=1
	s_or_b64 exec, exec, s[18:19]
	v_cndmask_b32_e64 v10, v10, v12, s[16:17]
	v_add_u32_e32 v12, 1, v72
	v_cndmask_b32_e64 v9, v9, v11, s[16:17]
	v_add_u32_e32 v11, 1, v71
	v_cndmask_b32_e64 v12, v12, v72, s[16:17]
	v_cndmask_b32_e64 v6, v6, v8, s[14:15]
	;; [unrolled: 1-line block ×3, first 2 shown]
	s_waitcnt lgkmcnt(0)
	v_cmp_lt_i64_e64 s[14:15], v[15:16], v[13:14]
	v_cndmask_b32_e64 v11, v71, v11, s[16:17]
	v_cmp_ge_i32_e64 s[16:17], v12, v27
	v_cndmask_b32_e64 v2, v2, v4, s[12:13]
	v_cndmask_b32_e64 v1, v1, v3, s[12:13]
	v_cmp_lt_i32_e64 s[12:13], v11, v28
	s_or_b64 s[14:15], s[16:17], s[14:15]
	s_and_b64 s[12:13], s[12:13], s[14:15]
	v_cndmask_b32_e64 v4, v14, v16, s[12:13]
	v_cndmask_b32_e64 v3, v13, v15, s[12:13]
	s_barrier
	ds_write2_b64 v63, v[1:2], v[5:6] offset1:1
	ds_write2_b64 v63, v[9:10], v[3:4] offset0:2 offset1:3
	v_mov_b32_e32 v5, v43
	s_waitcnt lgkmcnt(0)
	s_barrier
	s_and_saveexec_b64 s[14:15], s[6:7]
	s_cbranch_execz .LBB136_70
; %bb.67:                               ;   in Loop: Header=BB136_2 Depth=1
	s_mov_b64 s[16:17], 0
	v_mov_b32_e32 v5, v43
	v_mov_b32_e32 v1, v44
.LBB136_68:                             ;   Parent Loop BB136_2 Depth=1
                                        ; =>  This Inner Loop Header: Depth=2
	v_sub_u32_e32 v2, v1, v5
	v_lshrrev_b32_e32 v2, 1, v2
	v_add_u32_e32 v4, v2, v5
	v_not_b32_e32 v3, v4
	v_lshl_add_u32 v2, v4, 3, v68
	v_lshl_add_u32 v6, v3, 3, v60
	ds_read_b64 v[2:3], v2
	ds_read_b64 v[6:7], v6
	v_add_u32_e32 v8, 1, v4
	s_waitcnt lgkmcnt(0)
	v_cmp_lt_i64_e64 s[12:13], v[6:7], v[2:3]
	v_cndmask_b32_e64 v1, v1, v4, s[12:13]
	v_cndmask_b32_e64 v5, v8, v5, s[12:13]
	v_cmp_ge_i32_e64 s[12:13], v5, v1
	s_or_b64 s[16:17], s[12:13], s[16:17]
	s_andn2_b64 exec, exec, s[16:17]
	s_cbranch_execnz .LBB136_68
; %bb.69:                               ;   in Loop: Header=BB136_2 Depth=1
	s_or_b64 exec, exec, s[16:17]
.LBB136_70:                             ;   in Loop: Header=BB136_2 Depth=1
	s_or_b64 exec, exec, s[14:15]
	v_sub_u32_e32 v9, v59, v5
	v_lshl_add_u32 v7, v5, 3, v68
	v_lshlrev_b32_e32 v11, 3, v9
	ds_read_b64 v[1:2], v7
	ds_read_b64 v[3:4], v11
	v_add_u32_e32 v10, v5, v29
	v_cmp_le_i32_e64 s[16:17], v30, v10
	v_cmp_gt_i32_e64 s[12:13], v31, v9
                                        ; implicit-def: $vgpr5_vgpr6
	s_waitcnt lgkmcnt(0)
	v_cmp_lt_i64_e64 s[14:15], v[3:4], v[1:2]
	s_or_b64 s[14:15], s[16:17], s[14:15]
	s_and_b64 s[12:13], s[12:13], s[14:15]
	s_xor_b64 s[14:15], s[12:13], -1
	s_and_saveexec_b64 s[16:17], s[14:15]
	s_xor_b64 s[14:15], exec, s[16:17]
; %bb.71:                               ;   in Loop: Header=BB136_2 Depth=1
	ds_read_b64 v[5:6], v7 offset:8
                                        ; implicit-def: $vgpr11
; %bb.72:                               ;   in Loop: Header=BB136_2 Depth=1
	s_or_saveexec_b64 s[14:15], s[14:15]
	v_mov_b32_e32 v8, v4
	v_mov_b32_e32 v7, v3
	s_xor_b64 exec, exec, s[14:15]
	s_cbranch_execz .LBB136_74
; %bb.73:                               ;   in Loop: Header=BB136_2 Depth=1
	ds_read_b64 v[7:8], v11 offset:8
	s_waitcnt lgkmcnt(1)
	v_mov_b32_e32 v6, v2
	v_mov_b32_e32 v5, v1
.LBB136_74:                             ;   in Loop: Header=BB136_2 Depth=1
	s_or_b64 exec, exec, s[14:15]
	v_add_u32_e32 v12, 1, v10
	v_add_u32_e32 v11, 1, v9
	v_cndmask_b32_e64 v14, v12, v10, s[12:13]
	s_waitcnt lgkmcnt(0)
	v_cmp_lt_i64_e64 s[16:17], v[7:8], v[5:6]
	v_cndmask_b32_e64 v13, v9, v11, s[12:13]
	v_cmp_ge_i32_e64 s[18:19], v14, v30
	v_cmp_lt_i32_e64 s[14:15], v13, v31
	s_or_b64 s[16:17], s[18:19], s[16:17]
	s_and_b64 s[14:15], s[14:15], s[16:17]
	s_xor_b64 s[16:17], s[14:15], -1
                                        ; implicit-def: $vgpr9_vgpr10
	s_and_saveexec_b64 s[18:19], s[16:17]
	s_xor_b64 s[16:17], exec, s[18:19]
; %bb.75:                               ;   in Loop: Header=BB136_2 Depth=1
	v_lshlrev_b32_e32 v9, 3, v14
	ds_read_b64 v[9:10], v9 offset:8
; %bb.76:                               ;   in Loop: Header=BB136_2 Depth=1
	s_or_saveexec_b64 s[16:17], s[16:17]
	v_mov_b32_e32 v12, v8
	v_mov_b32_e32 v11, v7
	s_xor_b64 exec, exec, s[16:17]
	s_cbranch_execz .LBB136_78
; %bb.77:                               ;   in Loop: Header=BB136_2 Depth=1
	s_waitcnt lgkmcnt(0)
	v_lshlrev_b32_e32 v9, 3, v13
	ds_read_b64 v[11:12], v9 offset:8
	v_mov_b32_e32 v10, v6
	v_mov_b32_e32 v9, v5
.LBB136_78:                             ;   in Loop: Header=BB136_2 Depth=1
	s_or_b64 exec, exec, s[16:17]
	v_add_u32_e32 v16, 1, v14
	v_add_u32_e32 v15, 1, v13
	v_cndmask_b32_e64 v72, v16, v14, s[14:15]
	s_waitcnt lgkmcnt(0)
	v_cmp_lt_i64_e64 s[18:19], v[11:12], v[9:10]
	v_cndmask_b32_e64 v71, v13, v15, s[14:15]
	v_cmp_ge_i32_e64 s[20:21], v72, v30
	v_cmp_lt_i32_e64 s[16:17], v71, v31
	s_or_b64 s[18:19], s[20:21], s[18:19]
	s_and_b64 s[16:17], s[16:17], s[18:19]
	s_xor_b64 s[18:19], s[16:17], -1
                                        ; implicit-def: $vgpr13_vgpr14
	s_and_saveexec_b64 s[20:21], s[18:19]
	s_xor_b64 s[18:19], exec, s[20:21]
; %bb.79:                               ;   in Loop: Header=BB136_2 Depth=1
	v_lshlrev_b32_e32 v13, 3, v72
	ds_read_b64 v[13:14], v13 offset:8
; %bb.80:                               ;   in Loop: Header=BB136_2 Depth=1
	s_or_saveexec_b64 s[18:19], s[18:19]
	v_mov_b32_e32 v16, v12
	v_mov_b32_e32 v15, v11
	s_xor_b64 exec, exec, s[18:19]
	s_cbranch_execz .LBB136_82
; %bb.81:                               ;   in Loop: Header=BB136_2 Depth=1
	s_waitcnt lgkmcnt(0)
	v_lshlrev_b32_e32 v13, 3, v71
	ds_read_b64 v[15:16], v13 offset:8
	v_mov_b32_e32 v14, v10
	v_mov_b32_e32 v13, v9
.LBB136_82:                             ;   in Loop: Header=BB136_2 Depth=1
	s_or_b64 exec, exec, s[18:19]
	v_cndmask_b32_e64 v10, v10, v12, s[16:17]
	v_add_u32_e32 v12, 1, v72
	v_cndmask_b32_e64 v9, v9, v11, s[16:17]
	v_add_u32_e32 v11, 1, v71
	v_cndmask_b32_e64 v12, v12, v72, s[16:17]
	v_cndmask_b32_e64 v6, v6, v8, s[14:15]
	;; [unrolled: 1-line block ×3, first 2 shown]
	s_waitcnt lgkmcnt(0)
	v_cmp_lt_i64_e64 s[14:15], v[15:16], v[13:14]
	v_cndmask_b32_e64 v11, v71, v11, s[16:17]
	v_cmp_ge_i32_e64 s[16:17], v12, v30
	v_cndmask_b32_e64 v2, v2, v4, s[12:13]
	v_cndmask_b32_e64 v1, v1, v3, s[12:13]
	v_cmp_lt_i32_e64 s[12:13], v11, v31
	s_or_b64 s[14:15], s[16:17], s[14:15]
	s_and_b64 s[12:13], s[12:13], s[14:15]
	v_cndmask_b32_e64 v4, v14, v16, s[12:13]
	v_cndmask_b32_e64 v3, v13, v15, s[12:13]
	s_barrier
	ds_write2_b64 v63, v[1:2], v[5:6] offset1:1
	ds_write2_b64 v63, v[9:10], v[3:4] offset0:2 offset1:3
	v_mov_b32_e32 v5, v45
	s_waitcnt lgkmcnt(0)
	s_barrier
	s_and_saveexec_b64 s[14:15], s[8:9]
	s_cbranch_execz .LBB136_86
; %bb.83:                               ;   in Loop: Header=BB136_2 Depth=1
	s_mov_b64 s[16:17], 0
	v_mov_b32_e32 v5, v45
	v_mov_b32_e32 v1, v46
.LBB136_84:                             ;   Parent Loop BB136_2 Depth=1
                                        ; =>  This Inner Loop Header: Depth=2
	v_sub_u32_e32 v2, v1, v5
	v_lshrrev_b32_e32 v2, 1, v2
	v_add_u32_e32 v4, v2, v5
	v_not_b32_e32 v3, v4
	v_lshl_add_u32 v2, v4, 3, v69
	v_lshl_add_u32 v6, v3, 3, v62
	ds_read_b64 v[2:3], v2
	ds_read_b64 v[6:7], v6
	v_add_u32_e32 v8, 1, v4
	s_waitcnt lgkmcnt(0)
	v_cmp_lt_i64_e64 s[12:13], v[6:7], v[2:3]
	v_cndmask_b32_e64 v1, v1, v4, s[12:13]
	v_cndmask_b32_e64 v5, v8, v5, s[12:13]
	v_cmp_ge_i32_e64 s[12:13], v5, v1
	s_or_b64 s[16:17], s[12:13], s[16:17]
	s_andn2_b64 exec, exec, s[16:17]
	s_cbranch_execnz .LBB136_84
; %bb.85:                               ;   in Loop: Header=BB136_2 Depth=1
	s_or_b64 exec, exec, s[16:17]
.LBB136_86:                             ;   in Loop: Header=BB136_2 Depth=1
	s_or_b64 exec, exec, s[14:15]
	v_sub_u32_e32 v9, v61, v5
	v_lshl_add_u32 v7, v5, 3, v69
	v_lshlrev_b32_e32 v11, 3, v9
	ds_read_b64 v[1:2], v7
	ds_read_b64 v[3:4], v11
	v_add_u32_e32 v10, v5, v32
	v_cmp_le_i32_e64 s[16:17], v33, v10
	v_cmp_gt_i32_e64 s[12:13], v34, v9
                                        ; implicit-def: $vgpr5_vgpr6
	s_waitcnt lgkmcnt(0)
	v_cmp_lt_i64_e64 s[14:15], v[3:4], v[1:2]
	s_or_b64 s[14:15], s[16:17], s[14:15]
	s_and_b64 s[12:13], s[12:13], s[14:15]
	s_xor_b64 s[14:15], s[12:13], -1
	s_and_saveexec_b64 s[16:17], s[14:15]
	s_xor_b64 s[14:15], exec, s[16:17]
; %bb.87:                               ;   in Loop: Header=BB136_2 Depth=1
	ds_read_b64 v[5:6], v7 offset:8
                                        ; implicit-def: $vgpr11
; %bb.88:                               ;   in Loop: Header=BB136_2 Depth=1
	s_or_saveexec_b64 s[14:15], s[14:15]
	v_mov_b32_e32 v8, v4
	v_mov_b32_e32 v7, v3
	s_xor_b64 exec, exec, s[14:15]
	s_cbranch_execz .LBB136_90
; %bb.89:                               ;   in Loop: Header=BB136_2 Depth=1
	ds_read_b64 v[7:8], v11 offset:8
	s_waitcnt lgkmcnt(1)
	v_mov_b32_e32 v6, v2
	v_mov_b32_e32 v5, v1
.LBB136_90:                             ;   in Loop: Header=BB136_2 Depth=1
	s_or_b64 exec, exec, s[14:15]
	v_add_u32_e32 v12, 1, v10
	v_add_u32_e32 v11, 1, v9
	v_cndmask_b32_e64 v14, v12, v10, s[12:13]
	s_waitcnt lgkmcnt(0)
	v_cmp_lt_i64_e64 s[16:17], v[7:8], v[5:6]
	v_cndmask_b32_e64 v13, v9, v11, s[12:13]
	v_cmp_ge_i32_e64 s[18:19], v14, v33
	v_cmp_lt_i32_e64 s[14:15], v13, v34
	s_or_b64 s[16:17], s[18:19], s[16:17]
	s_and_b64 s[14:15], s[14:15], s[16:17]
	s_xor_b64 s[16:17], s[14:15], -1
                                        ; implicit-def: $vgpr9_vgpr10
	s_and_saveexec_b64 s[18:19], s[16:17]
	s_xor_b64 s[16:17], exec, s[18:19]
; %bb.91:                               ;   in Loop: Header=BB136_2 Depth=1
	v_lshlrev_b32_e32 v9, 3, v14
	ds_read_b64 v[9:10], v9 offset:8
; %bb.92:                               ;   in Loop: Header=BB136_2 Depth=1
	s_or_saveexec_b64 s[16:17], s[16:17]
	v_mov_b32_e32 v12, v8
	v_mov_b32_e32 v11, v7
	s_xor_b64 exec, exec, s[16:17]
	s_cbranch_execz .LBB136_94
; %bb.93:                               ;   in Loop: Header=BB136_2 Depth=1
	s_waitcnt lgkmcnt(0)
	v_lshlrev_b32_e32 v9, 3, v13
	ds_read_b64 v[11:12], v9 offset:8
	v_mov_b32_e32 v10, v6
	v_mov_b32_e32 v9, v5
.LBB136_94:                             ;   in Loop: Header=BB136_2 Depth=1
	s_or_b64 exec, exec, s[16:17]
	v_add_u32_e32 v16, 1, v14
	v_add_u32_e32 v15, 1, v13
	v_cndmask_b32_e64 v72, v16, v14, s[14:15]
	s_waitcnt lgkmcnt(0)
	v_cmp_lt_i64_e64 s[18:19], v[11:12], v[9:10]
	v_cndmask_b32_e64 v71, v13, v15, s[14:15]
	v_cmp_ge_i32_e64 s[20:21], v72, v33
	v_cmp_lt_i32_e64 s[16:17], v71, v34
	s_or_b64 s[18:19], s[20:21], s[18:19]
	s_and_b64 s[16:17], s[16:17], s[18:19]
	s_xor_b64 s[18:19], s[16:17], -1
                                        ; implicit-def: $vgpr13_vgpr14
	s_and_saveexec_b64 s[20:21], s[18:19]
	s_xor_b64 s[18:19], exec, s[20:21]
; %bb.95:                               ;   in Loop: Header=BB136_2 Depth=1
	v_lshlrev_b32_e32 v13, 3, v72
	ds_read_b64 v[13:14], v13 offset:8
; %bb.96:                               ;   in Loop: Header=BB136_2 Depth=1
	s_or_saveexec_b64 s[18:19], s[18:19]
	v_mov_b32_e32 v16, v12
	v_mov_b32_e32 v15, v11
	s_xor_b64 exec, exec, s[18:19]
	s_cbranch_execz .LBB136_98
; %bb.97:                               ;   in Loop: Header=BB136_2 Depth=1
	s_waitcnt lgkmcnt(0)
	v_lshlrev_b32_e32 v13, 3, v71
	ds_read_b64 v[15:16], v13 offset:8
	v_mov_b32_e32 v14, v10
	v_mov_b32_e32 v13, v9
.LBB136_98:                             ;   in Loop: Header=BB136_2 Depth=1
	s_or_b64 exec, exec, s[18:19]
	v_cndmask_b32_e64 v10, v10, v12, s[16:17]
	v_add_u32_e32 v12, 1, v72
	v_cndmask_b32_e64 v9, v9, v11, s[16:17]
	v_add_u32_e32 v11, 1, v71
	v_cndmask_b32_e64 v12, v12, v72, s[16:17]
	v_cndmask_b32_e64 v6, v6, v8, s[14:15]
	;; [unrolled: 1-line block ×3, first 2 shown]
	s_waitcnt lgkmcnt(0)
	v_cmp_lt_i64_e64 s[14:15], v[15:16], v[13:14]
	v_cndmask_b32_e64 v11, v71, v11, s[16:17]
	v_cmp_ge_i32_e64 s[16:17], v12, v33
	v_cndmask_b32_e64 v2, v2, v4, s[12:13]
	v_cndmask_b32_e64 v1, v1, v3, s[12:13]
	v_cmp_lt_i32_e64 s[12:13], v11, v34
	s_or_b64 s[14:15], s[16:17], s[14:15]
	s_and_b64 s[12:13], s[12:13], s[14:15]
	v_cndmask_b32_e64 v4, v14, v16, s[12:13]
	v_cndmask_b32_e64 v3, v13, v15, s[12:13]
	s_barrier
	ds_write2_b64 v63, v[1:2], v[5:6] offset1:1
	ds_write2_b64 v63, v[9:10], v[3:4] offset0:2 offset1:3
	v_mov_b32_e32 v9, v48
	s_waitcnt lgkmcnt(0)
	s_barrier
	s_and_saveexec_b64 s[14:15], s[10:11]
	s_cbranch_execz .LBB136_102
; %bb.99:                               ;   in Loop: Header=BB136_2 Depth=1
	s_mov_b64 s[16:17], 0
	v_mov_b32_e32 v9, v48
	v_mov_b32_e32 v1, v49
.LBB136_100:                            ;   Parent Loop BB136_2 Depth=1
                                        ; =>  This Inner Loop Header: Depth=2
	v_sub_u32_e32 v2, v1, v9
	v_lshrrev_b32_e32 v2, 1, v2
	v_add_u32_e32 v6, v2, v9
	v_not_b32_e32 v3, v6
	v_lshlrev_b32_e32 v2, 3, v6
	v_lshl_add_u32 v4, v3, 3, v70
	ds_read_b64 v[2:3], v2
	ds_read_b64 v[4:5], v4
	v_add_u32_e32 v7, 1, v6
	s_waitcnt lgkmcnt(0)
	v_cmp_lt_i64_e64 s[12:13], v[4:5], v[2:3]
	v_cndmask_b32_e64 v1, v1, v6, s[12:13]
	v_cndmask_b32_e64 v9, v7, v9, s[12:13]
	v_cmp_ge_i32_e64 s[12:13], v9, v1
	s_or_b64 s[16:17], s[12:13], s[16:17]
	s_andn2_b64 exec, exec, s[16:17]
	s_cbranch_execnz .LBB136_100
; %bb.101:                              ;   in Loop: Header=BB136_2 Depth=1
	s_or_b64 exec, exec, s[16:17]
.LBB136_102:                            ;   in Loop: Header=BB136_2 Depth=1
	s_or_b64 exec, exec, s[14:15]
	v_sub_u32_e32 v10, v50, v9
	v_lshlrev_b32_e32 v7, 3, v9
	v_lshlrev_b32_e32 v11, 3, v10
	ds_read_b64 v[1:2], v7
	ds_read_b64 v[3:4], v11
	v_cmp_le_i32_e64 s[16:17], v47, v9
	v_cmp_gt_i32_e64 s[12:13], s26, v10
                                        ; implicit-def: $vgpr5_vgpr6
	s_waitcnt lgkmcnt(0)
	v_cmp_lt_i64_e64 s[14:15], v[3:4], v[1:2]
	s_or_b64 s[14:15], s[16:17], s[14:15]
	s_and_b64 s[12:13], s[12:13], s[14:15]
	s_xor_b64 s[14:15], s[12:13], -1
	s_and_saveexec_b64 s[16:17], s[14:15]
	s_xor_b64 s[14:15], exec, s[16:17]
; %bb.103:                              ;   in Loop: Header=BB136_2 Depth=1
	ds_read_b64 v[5:6], v7 offset:8
                                        ; implicit-def: $vgpr11
; %bb.104:                              ;   in Loop: Header=BB136_2 Depth=1
	s_or_saveexec_b64 s[14:15], s[14:15]
	v_mov_b32_e32 v8, v4
	v_mov_b32_e32 v7, v3
	s_xor_b64 exec, exec, s[14:15]
	s_cbranch_execz .LBB136_106
; %bb.105:                              ;   in Loop: Header=BB136_2 Depth=1
	ds_read_b64 v[7:8], v11 offset:8
	s_waitcnt lgkmcnt(1)
	v_mov_b32_e32 v6, v2
	v_mov_b32_e32 v5, v1
.LBB136_106:                            ;   in Loop: Header=BB136_2 Depth=1
	s_or_b64 exec, exec, s[14:15]
	v_add_u32_e32 v12, 1, v9
	v_add_u32_e32 v11, 1, v10
	v_cndmask_b32_e64 v14, v12, v9, s[12:13]
	s_waitcnt lgkmcnt(0)
	v_cmp_lt_i64_e64 s[16:17], v[7:8], v[5:6]
	v_cndmask_b32_e64 v13, v10, v11, s[12:13]
	v_cmp_ge_i32_e64 s[18:19], v14, v47
	v_cmp_gt_i32_e64 s[14:15], s26, v13
	s_or_b64 s[16:17], s[18:19], s[16:17]
	s_and_b64 s[14:15], s[14:15], s[16:17]
	s_xor_b64 s[16:17], s[14:15], -1
                                        ; implicit-def: $vgpr9_vgpr10
	s_and_saveexec_b64 s[18:19], s[16:17]
	s_xor_b64 s[16:17], exec, s[18:19]
; %bb.107:                              ;   in Loop: Header=BB136_2 Depth=1
	v_lshlrev_b32_e32 v9, 3, v14
	ds_read_b64 v[9:10], v9 offset:8
; %bb.108:                              ;   in Loop: Header=BB136_2 Depth=1
	s_or_saveexec_b64 s[16:17], s[16:17]
	v_mov_b32_e32 v12, v8
	v_mov_b32_e32 v11, v7
	s_xor_b64 exec, exec, s[16:17]
	s_cbranch_execz .LBB136_110
; %bb.109:                              ;   in Loop: Header=BB136_2 Depth=1
	s_waitcnt lgkmcnt(0)
	v_lshlrev_b32_e32 v9, 3, v13
	ds_read_b64 v[11:12], v9 offset:8
	v_mov_b32_e32 v10, v6
	v_mov_b32_e32 v9, v5
.LBB136_110:                            ;   in Loop: Header=BB136_2 Depth=1
	s_or_b64 exec, exec, s[16:17]
	v_add_u32_e32 v16, 1, v14
	v_add_u32_e32 v15, 1, v13
	v_cndmask_b32_e64 v73, v16, v14, s[14:15]
	s_waitcnt lgkmcnt(0)
	v_cmp_lt_i64_e64 s[18:19], v[11:12], v[9:10]
	v_cndmask_b32_e64 v71, v13, v15, s[14:15]
	v_cmp_ge_i32_e64 s[20:21], v73, v47
	v_cmp_gt_i32_e64 s[16:17], s26, v71
	s_or_b64 s[18:19], s[20:21], s[18:19]
	s_and_b64 s[16:17], s[16:17], s[18:19]
	s_xor_b64 s[18:19], s[16:17], -1
                                        ; implicit-def: $vgpr13_vgpr14
                                        ; implicit-def: $vgpr72
	s_and_saveexec_b64 s[20:21], s[18:19]
	s_xor_b64 s[18:19], exec, s[20:21]
; %bb.111:                              ;   in Loop: Header=BB136_2 Depth=1
	v_lshlrev_b32_e32 v13, 3, v73
	ds_read_b64 v[13:14], v13 offset:8
	v_add_u32_e32 v72, 1, v73
                                        ; implicit-def: $vgpr73
; %bb.112:                              ;   in Loop: Header=BB136_2 Depth=1
	s_or_saveexec_b64 s[18:19], s[18:19]
	v_mov_b32_e32 v16, v12
	v_mov_b32_e32 v15, v11
	s_xor_b64 exec, exec, s[18:19]
	s_cbranch_execz .LBB136_1
; %bb.113:                              ;   in Loop: Header=BB136_2 Depth=1
	s_waitcnt lgkmcnt(0)
	v_lshlrev_b32_e32 v13, 3, v71
	ds_read_b64 v[15:16], v13 offset:8
	v_mov_b32_e32 v14, v10
	v_add_u32_e32 v71, 1, v71
	v_mov_b32_e32 v72, v73
	v_mov_b32_e32 v13, v9
	s_branch .LBB136_1
.LBB136_114:
	s_add_u32 s0, s22, s24
	s_addc_u32 s1, s23, s25
	v_lshlrev_b32_e32 v0, 3, v0
	global_store_dwordx2 v0, v[3:4], s[0:1]
	global_store_dwordx2 v0, v[5:6], s[0:1] offset:1024
	global_store_dwordx2 v0, v[1:2], s[0:1] offset:2048
	;; [unrolled: 1-line block ×3, first 2 shown]
	s_endpgm
	.section	.rodata,"a",@progbits
	.p2align	6, 0x0
	.amdhsa_kernel _Z16sort_keys_kernelIxLj128ELj4EN10test_utils4lessELj10EEvPKT_PS2_T2_
		.amdhsa_group_segment_fixed_size 4104
		.amdhsa_private_segment_fixed_size 0
		.amdhsa_kernarg_size 20
		.amdhsa_user_sgpr_count 6
		.amdhsa_user_sgpr_private_segment_buffer 1
		.amdhsa_user_sgpr_dispatch_ptr 0
		.amdhsa_user_sgpr_queue_ptr 0
		.amdhsa_user_sgpr_kernarg_segment_ptr 1
		.amdhsa_user_sgpr_dispatch_id 0
		.amdhsa_user_sgpr_flat_scratch_init 0
		.amdhsa_user_sgpr_private_segment_size 0
		.amdhsa_uses_dynamic_stack 0
		.amdhsa_system_sgpr_private_segment_wavefront_offset 0
		.amdhsa_system_sgpr_workgroup_id_x 1
		.amdhsa_system_sgpr_workgroup_id_y 0
		.amdhsa_system_sgpr_workgroup_id_z 0
		.amdhsa_system_sgpr_workgroup_info 0
		.amdhsa_system_vgpr_workitem_id 0
		.amdhsa_next_free_vgpr 75
		.amdhsa_next_free_sgpr 61
		.amdhsa_reserve_vcc 1
		.amdhsa_reserve_flat_scratch 0
		.amdhsa_float_round_mode_32 0
		.amdhsa_float_round_mode_16_64 0
		.amdhsa_float_denorm_mode_32 3
		.amdhsa_float_denorm_mode_16_64 3
		.amdhsa_dx10_clamp 1
		.amdhsa_ieee_mode 1
		.amdhsa_fp16_overflow 0
		.amdhsa_exception_fp_ieee_invalid_op 0
		.amdhsa_exception_fp_denorm_src 0
		.amdhsa_exception_fp_ieee_div_zero 0
		.amdhsa_exception_fp_ieee_overflow 0
		.amdhsa_exception_fp_ieee_underflow 0
		.amdhsa_exception_fp_ieee_inexact 0
		.amdhsa_exception_int_div_zero 0
	.end_amdhsa_kernel
	.section	.text._Z16sort_keys_kernelIxLj128ELj4EN10test_utils4lessELj10EEvPKT_PS2_T2_,"axG",@progbits,_Z16sort_keys_kernelIxLj128ELj4EN10test_utils4lessELj10EEvPKT_PS2_T2_,comdat
.Lfunc_end136:
	.size	_Z16sort_keys_kernelIxLj128ELj4EN10test_utils4lessELj10EEvPKT_PS2_T2_, .Lfunc_end136-_Z16sort_keys_kernelIxLj128ELj4EN10test_utils4lessELj10EEvPKT_PS2_T2_
                                        ; -- End function
	.set _Z16sort_keys_kernelIxLj128ELj4EN10test_utils4lessELj10EEvPKT_PS2_T2_.num_vgpr, 75
	.set _Z16sort_keys_kernelIxLj128ELj4EN10test_utils4lessELj10EEvPKT_PS2_T2_.num_agpr, 0
	.set _Z16sort_keys_kernelIxLj128ELj4EN10test_utils4lessELj10EEvPKT_PS2_T2_.numbered_sgpr, 28
	.set _Z16sort_keys_kernelIxLj128ELj4EN10test_utils4lessELj10EEvPKT_PS2_T2_.num_named_barrier, 0
	.set _Z16sort_keys_kernelIxLj128ELj4EN10test_utils4lessELj10EEvPKT_PS2_T2_.private_seg_size, 0
	.set _Z16sort_keys_kernelIxLj128ELj4EN10test_utils4lessELj10EEvPKT_PS2_T2_.uses_vcc, 1
	.set _Z16sort_keys_kernelIxLj128ELj4EN10test_utils4lessELj10EEvPKT_PS2_T2_.uses_flat_scratch, 0
	.set _Z16sort_keys_kernelIxLj128ELj4EN10test_utils4lessELj10EEvPKT_PS2_T2_.has_dyn_sized_stack, 0
	.set _Z16sort_keys_kernelIxLj128ELj4EN10test_utils4lessELj10EEvPKT_PS2_T2_.has_recursion, 0
	.set _Z16sort_keys_kernelIxLj128ELj4EN10test_utils4lessELj10EEvPKT_PS2_T2_.has_indirect_call, 0
	.section	.AMDGPU.csdata,"",@progbits
; Kernel info:
; codeLenInByte = 5816
; TotalNumSgprs: 32
; NumVgprs: 75
; ScratchSize: 0
; MemoryBound: 0
; FloatMode: 240
; IeeeMode: 1
; LDSByteSize: 4104 bytes/workgroup (compile time only)
; SGPRBlocks: 8
; VGPRBlocks: 18
; NumSGPRsForWavesPerEU: 65
; NumVGPRsForWavesPerEU: 75
; Occupancy: 3
; WaveLimiterHint : 1
; COMPUTE_PGM_RSRC2:SCRATCH_EN: 0
; COMPUTE_PGM_RSRC2:USER_SGPR: 6
; COMPUTE_PGM_RSRC2:TRAP_HANDLER: 0
; COMPUTE_PGM_RSRC2:TGID_X_EN: 1
; COMPUTE_PGM_RSRC2:TGID_Y_EN: 0
; COMPUTE_PGM_RSRC2:TGID_Z_EN: 0
; COMPUTE_PGM_RSRC2:TIDIG_COMP_CNT: 0
	.section	.text._Z17sort_pairs_kernelIxLj128ELj4EN10test_utils4lessELj10EEvPKT_PS2_T2_,"axG",@progbits,_Z17sort_pairs_kernelIxLj128ELj4EN10test_utils4lessELj10EEvPKT_PS2_T2_,comdat
	.protected	_Z17sort_pairs_kernelIxLj128ELj4EN10test_utils4lessELj10EEvPKT_PS2_T2_ ; -- Begin function _Z17sort_pairs_kernelIxLj128ELj4EN10test_utils4lessELj10EEvPKT_PS2_T2_
	.globl	_Z17sort_pairs_kernelIxLj128ELj4EN10test_utils4lessELj10EEvPKT_PS2_T2_
	.p2align	8
	.type	_Z17sort_pairs_kernelIxLj128ELj4EN10test_utils4lessELj10EEvPKT_PS2_T2_,@function
_Z17sort_pairs_kernelIxLj128ELj4EN10test_utils4lessELj10EEvPKT_PS2_T2_: ; @_Z17sort_pairs_kernelIxLj128ELj4EN10test_utils4lessELj10EEvPKT_PS2_T2_
; %bb.0:
	s_load_dwordx4 s[36:39], s[4:5], 0x0
	s_lshl_b32 s42, s6, 9
	s_mov_b32 s43, 0
	s_lshl_b64 s[40:41], s[42:43], 3
	v_lshlrev_b32_e32 v1, 3, v0
	s_waitcnt lgkmcnt(0)
	s_add_u32 s0, s36, s40
	s_addc_u32 s1, s37, s41
	global_load_dwordx2 v[11:12], v1, s[0:1]
	global_load_dwordx2 v[13:14], v1, s[0:1] offset:1024
	global_load_dwordx2 v[9:10], v1, s[0:1] offset:2048
	;; [unrolled: 1-line block ×3, first 2 shown]
	v_lshlrev_b32_e32 v17, 2, v0
	v_and_b32_e32 v25, 0x1f8, v17
	v_and_b32_e32 v26, 0x1f0, v17
	v_or_b32_e32 v31, 4, v25
	v_add_u32_e32 v32, 8, v25
	v_and_b32_e32 v18, 4, v17
	v_and_b32_e32 v27, 0x1e0, v17
	v_or_b32_e32 v33, 8, v26
	v_add_u32_e32 v34, 16, v26
	v_sub_u32_e32 v1, v32, v31
	v_and_b32_e32 v19, 12, v17
	v_and_b32_e32 v28, 0x1c0, v17
	v_or_b32_e32 v35, 16, v27
	v_add_u32_e32 v36, 32, v27
	v_sub_u32_e32 v2, v34, v33
	v_sub_u32_e32 v47, v18, v1
	v_cmp_ge_i32_e32 vcc, v18, v1
	v_and_b32_e32 v20, 28, v17
	v_and_b32_e32 v29, 0x180, v17
	v_or_b32_e32 v37, 32, v28
	v_add_u32_e32 v38, 64, v28
	v_sub_u32_e32 v3, v36, v35
	v_sub_u32_e32 v7, v33, v26
	;; [unrolled: 1-line block ×3, first 2 shown]
	v_cndmask_b32_e32 v47, 0, v47, vcc
	v_cmp_ge_i32_e32 vcc, v19, v2
	v_and_b32_e32 v21, 60, v17
	v_or_b32_e32 v39, 64, v29
	v_add_u32_e32 v40, 0x80, v29
	v_sub_u32_e32 v4, v38, v37
	v_sub_u32_e32 v8, v35, v27
	;; [unrolled: 1-line block ×3, first 2 shown]
	v_min_i32_e32 v44, v19, v7
	v_cndmask_b32_e32 v48, 0, v48, vcc
	v_cmp_ge_i32_e32 vcc, v20, v3
	v_and_b32_e32 v22, 0x7c, v17
	v_sub_u32_e32 v5, v40, v39
	v_sub_u32_e32 v50, v21, v4
	v_min_i32_e32 v45, v20, v8
	v_cndmask_b32_e32 v49, 0, v49, vcc
	v_cmp_ge_i32_e32 vcc, v21, v4
	v_mov_b32_e32 v55, 0x100
	v_and_b32_e32 v30, 0x100, v17
	v_and_b32_e32 v23, 0xfc, v17
	v_sub_u32_e32 v6, v31, v25
	v_sub_u32_e32 v51, v22, v5
	v_cndmask_b32_e32 v50, 0, v50, vcc
	v_cmp_ge_i32_e32 vcc, v22, v5
	v_sub_u32_e64 v56, v17, v55 clamp
	v_min_i32_e32 v57, 0x100, v17
	v_add_u32_e32 v58, 0x100, v17
	v_lshlrev_b32_e32 v17, 3, v18
	v_min_i32_e32 v43, v18, v6
	v_lshl_add_u32 v60, v31, 3, v17
	v_lshlrev_b32_e32 v17, 3, v19
	v_or_b32_e32 v41, 0x80, v30
	v_add_u32_e32 v42, 0x100, v30
	v_lshl_add_u32 v62, v33, 3, v17
	v_lshlrev_b32_e32 v17, 3, v20
	v_sub_u32_e32 v24, v42, v41
	v_lshl_add_u32 v64, v35, 3, v17
	v_lshlrev_b32_e32 v17, 3, v21
	v_sub_u32_e32 v46, v37, v28
	v_sub_u32_e32 v53, v23, v24
	;; [unrolled: 1-line block ×3, first 2 shown]
	v_cmp_ge_i32_e64 s[8:9], v23, v24
	v_sub_u32_e32 v24, v41, v30
	v_lshl_add_u32 v66, v37, 3, v17
	v_lshlrev_b32_e32 v17, 3, v22
	v_min_i32_e32 v46, v21, v46
	v_cndmask_b32_e32 v51, 0, v51, vcc
	v_min_i32_e32 v52, v22, v52
	v_cndmask_b32_e64 v53, 0, v53, s[8:9]
	v_min_i32_e32 v54, v23, v24
	v_lshl_add_u32 v68, v39, 3, v17
	v_lshlrev_b32_e32 v17, 3, v23
	s_waitcnt vmcnt(3)
	v_add_co_u32_e64 v7, s[6:7], 1, v11
	v_addc_co_u32_e64 v8, s[6:7], 0, v12, s[6:7]
	s_waitcnt vmcnt(2)
	v_add_co_u32_e64 v5, s[6:7], 1, v13
	v_addc_co_u32_e64 v6, s[6:7], 0, v14, s[6:7]
	;; [unrolled: 3-line block ×4, first 2 shown]
	v_lshlrev_b32_e32 v71, 5, v0
	v_cmp_lt_i32_e32 vcc, v47, v43
	v_cmp_lt_i32_e64 s[0:1], v48, v44
	v_cmp_lt_i32_e64 s[2:3], v49, v45
	;; [unrolled: 1-line block ×6, first 2 shown]
	v_add_u32_e32 v59, v31, v18
	v_add_u32_e32 v61, v33, v19
	;; [unrolled: 1-line block ×6, first 2 shown]
	v_lshl_add_u32 v70, v41, 3, v17
	s_movk_i32 s33, 0x200
	v_lshlrev_b32_e32 v72, 3, v25
	v_lshlrev_b32_e32 v73, 3, v26
	;; [unrolled: 1-line block ×6, first 2 shown]
	v_add_u32_e32 v78, 0x800, v71
	s_branch .LBB137_2
.LBB137_1:                              ;   in Loop: Header=BB137_2 Depth=1
	s_or_b64 exec, exec, s[18:19]
	v_cndmask_b32_e64 v11, v9, v11, s[12:13]
	v_cndmask_b32_e64 v14, v14, v20, s[14:15]
	;; [unrolled: 1-line block ×4, first 2 shown]
	s_waitcnt lgkmcnt(0)
	v_cmp_lt_i64_e64 s[14:15], v[23:24], v[21:22]
	v_cmp_ge_i32_e64 s[18:19], v85, v55
	v_cndmask_b32_e64 v12, v10, v12, s[12:13]
	v_cndmask_b32_e64 v10, v16, v18, s[16:17]
	;; [unrolled: 1-line block ×3, first 2 shown]
	v_cmp_gt_i32_e64 s[12:13], s33, v83
	s_or_b64 s[14:15], s[18:19], s[14:15]
	s_and_b64 s[12:13], s[12:13], s[14:15]
	v_cndmask_b32_e64 v19, v85, v83, s[12:13]
	s_barrier
	ds_write2_b64 v71, v[5:6], v[7:8] offset1:1
	ds_write2_b64 v71, v[1:2], v[3:4] offset0:2 offset1:3
	v_lshlrev_b32_e32 v1, 3, v18
	v_lshlrev_b32_e32 v2, 3, v9
	;; [unrolled: 1-line block ×3, first 2 shown]
	s_waitcnt lgkmcnt(0)
	s_barrier
	v_lshlrev_b32_e32 v9, 3, v19
	ds_read_b64 v[7:8], v1
	ds_read_b64 v[5:6], v2
	;; [unrolled: 1-line block ×4, first 2 shown]
	s_add_i32 s43, s43, 1
	v_cndmask_b32_e64 v16, v22, v24, s[12:13]
	v_cndmask_b32_e64 v9, v15, v17, s[16:17]
	s_cmp_eq_u32 s43, 10
	v_cndmask_b32_e64 v15, v21, v23, s[12:13]
	s_cbranch_scc1 .LBB137_114
.LBB137_2:                              ; =>This Loop Header: Depth=1
                                        ;     Child Loop BB137_4 Depth 2
                                        ;     Child Loop BB137_20 Depth 2
	;; [unrolled: 1-line block ×7, first 2 shown]
	v_cmp_lt_i64_e64 s[12:13], v[13:14], v[11:12]
	v_cmp_lt_i64_e64 s[14:15], v[15:16], v[9:10]
	v_cndmask_b32_e64 v18, v12, v14, s[12:13]
	v_cndmask_b32_e64 v17, v11, v13, s[12:13]
	;; [unrolled: 1-line block ×8, first 2 shown]
	v_cmp_lt_i64_e64 s[16:17], v[9:10], v[11:12]
	v_cndmask_b32_e64 v16, v10, v12, s[16:17]
	v_cndmask_b32_e64 v15, v9, v11, s[16:17]
	;; [unrolled: 1-line block ×4, first 2 shown]
	v_cmp_lt_i64_e64 s[18:19], v[9:10], v[17:18]
	v_cmp_lt_i64_e64 s[20:21], v[13:14], v[15:16]
	v_cndmask_b32_e64 v12, v10, v18, s[18:19]
	v_cndmask_b32_e64 v11, v9, v17, s[18:19]
	;; [unrolled: 1-line block ×8, first 2 shown]
	v_cmp_lt_i64_e64 s[22:23], v[13:14], v[11:12]
	s_waitcnt lgkmcnt(0)
	s_barrier
	v_cndmask_b32_e64 v16, v14, v12, s[22:23]
	v_cndmask_b32_e64 v15, v13, v11, s[22:23]
	;; [unrolled: 1-line block ×4, first 2 shown]
	v_mov_b32_e32 v13, v47
	ds_write2_b64 v71, v[9:10], v[11:12] offset1:1
	ds_write2_b64 v71, v[15:16], v[17:18] offset0:2 offset1:3
	s_waitcnt lgkmcnt(0)
	s_barrier
	s_and_saveexec_b64 s[26:27], vcc
	s_cbranch_execz .LBB137_6
; %bb.3:                                ;   in Loop: Header=BB137_2 Depth=1
	s_mov_b64 s[28:29], 0
	v_mov_b32_e32 v13, v47
	v_mov_b32_e32 v9, v43
.LBB137_4:                              ;   Parent Loop BB137_2 Depth=1
                                        ; =>  This Inner Loop Header: Depth=2
	v_sub_u32_e32 v10, v9, v13
	v_lshrrev_b32_e32 v10, 1, v10
	v_add_u32_e32 v12, v10, v13
	v_not_b32_e32 v11, v12
	v_lshl_add_u32 v10, v12, 3, v72
	v_lshl_add_u32 v14, v11, 3, v60
	ds_read_b64 v[10:11], v10
	ds_read_b64 v[14:15], v14
	v_add_u32_e32 v16, 1, v12
	s_waitcnt lgkmcnt(0)
	v_cmp_lt_i64_e64 s[24:25], v[14:15], v[10:11]
	v_cndmask_b32_e64 v9, v9, v12, s[24:25]
	v_cndmask_b32_e64 v13, v16, v13, s[24:25]
	v_cmp_ge_i32_e64 s[24:25], v13, v9
	s_or_b64 s[28:29], s[24:25], s[28:29]
	s_andn2_b64 exec, exec, s[28:29]
	s_cbranch_execnz .LBB137_4
; %bb.5:                                ;   in Loop: Header=BB137_2 Depth=1
	s_or_b64 exec, exec, s[28:29]
.LBB137_6:                              ;   in Loop: Header=BB137_2 Depth=1
	s_or_b64 exec, exec, s[26:27]
	v_sub_u32_e32 v79, v59, v13
	v_lshl_add_u32 v15, v13, 3, v72
	v_lshlrev_b32_e32 v17, 3, v79
	ds_read_b64 v[9:10], v15
	ds_read_b64 v[11:12], v17
	v_add_u32_e32 v80, v13, v25
	v_cmp_le_i32_e64 s[28:29], v31, v80
	v_cmp_gt_i32_e64 s[24:25], v32, v79
                                        ; implicit-def: $vgpr13_vgpr14
	s_waitcnt lgkmcnt(0)
	v_cmp_lt_i64_e64 s[26:27], v[11:12], v[9:10]
	s_or_b64 s[26:27], s[28:29], s[26:27]
	s_and_b64 s[24:25], s[24:25], s[26:27]
	s_xor_b64 s[26:27], s[24:25], -1
	s_and_saveexec_b64 s[28:29], s[26:27]
	s_xor_b64 s[26:27], exec, s[28:29]
; %bb.7:                                ;   in Loop: Header=BB137_2 Depth=1
	ds_read_b64 v[13:14], v15 offset:8
                                        ; implicit-def: $vgpr17
; %bb.8:                                ;   in Loop: Header=BB137_2 Depth=1
	s_or_saveexec_b64 s[26:27], s[26:27]
	v_mov_b32_e32 v16, v12
	v_mov_b32_e32 v15, v11
	s_xor_b64 exec, exec, s[26:27]
	s_cbranch_execz .LBB137_10
; %bb.9:                                ;   in Loop: Header=BB137_2 Depth=1
	ds_read_b64 v[15:16], v17 offset:8
	s_waitcnt lgkmcnt(1)
	v_mov_b32_e32 v14, v10
	v_mov_b32_e32 v13, v9
.LBB137_10:                             ;   in Loop: Header=BB137_2 Depth=1
	s_or_b64 exec, exec, s[26:27]
	v_add_u32_e32 v18, 1, v80
	v_add_u32_e32 v17, 1, v79
	v_cndmask_b32_e64 v82, v18, v80, s[24:25]
	s_waitcnt lgkmcnt(0)
	v_cmp_lt_i64_e64 s[28:29], v[15:16], v[13:14]
	v_cndmask_b32_e64 v81, v79, v17, s[24:25]
	v_cmp_ge_i32_e64 s[30:31], v82, v31
	v_cmp_lt_i32_e64 s[26:27], v81, v32
	s_or_b64 s[28:29], s[30:31], s[28:29]
	s_and_b64 s[26:27], s[26:27], s[28:29]
	s_xor_b64 s[28:29], s[26:27], -1
                                        ; implicit-def: $vgpr19_vgpr20
	s_and_saveexec_b64 s[30:31], s[28:29]
	s_xor_b64 s[28:29], exec, s[30:31]
; %bb.11:                               ;   in Loop: Header=BB137_2 Depth=1
	v_lshlrev_b32_e32 v17, 3, v82
	ds_read_b64 v[19:20], v17 offset:8
; %bb.12:                               ;   in Loop: Header=BB137_2 Depth=1
	s_or_saveexec_b64 s[28:29], s[28:29]
	v_mov_b32_e32 v24, v16
	v_mov_b32_e32 v23, v15
	s_xor_b64 exec, exec, s[28:29]
	s_cbranch_execz .LBB137_14
; %bb.13:                               ;   in Loop: Header=BB137_2 Depth=1
	v_lshlrev_b32_e32 v17, 3, v81
	ds_read_b64 v[23:24], v17 offset:8
	s_waitcnt lgkmcnt(1)
	v_mov_b32_e32 v20, v14
	v_mov_b32_e32 v19, v13
.LBB137_14:                             ;   in Loop: Header=BB137_2 Depth=1
	s_or_b64 exec, exec, s[28:29]
	v_add_u32_e32 v18, 1, v82
	v_add_u32_e32 v17, 1, v81
	v_cndmask_b32_e64 v84, v18, v82, s[26:27]
	s_waitcnt lgkmcnt(0)
	v_cmp_lt_i64_e64 s[30:31], v[23:24], v[19:20]
	v_cndmask_b32_e64 v83, v81, v17, s[26:27]
	v_cmp_ge_i32_e64 s[34:35], v84, v31
	v_cmp_lt_i32_e64 s[28:29], v83, v32
	s_or_b64 s[30:31], s[34:35], s[30:31]
	s_and_b64 s[28:29], s[28:29], s[30:31]
	s_xor_b64 s[30:31], s[28:29], -1
                                        ; implicit-def: $vgpr17_vgpr18
	s_and_saveexec_b64 s[34:35], s[30:31]
	s_xor_b64 s[30:31], exec, s[34:35]
; %bb.15:                               ;   in Loop: Header=BB137_2 Depth=1
	v_lshlrev_b32_e32 v17, 3, v84
	ds_read_b64 v[17:18], v17 offset:8
; %bb.16:                               ;   in Loop: Header=BB137_2 Depth=1
	s_or_saveexec_b64 s[30:31], s[30:31]
	v_mov_b32_e32 v21, v23
	v_mov_b32_e32 v22, v24
	s_xor_b64 exec, exec, s[30:31]
	s_cbranch_execz .LBB137_18
; %bb.17:                               ;   in Loop: Header=BB137_2 Depth=1
	s_waitcnt lgkmcnt(0)
	v_lshlrev_b32_e32 v17, 3, v83
	ds_read_b64 v[21:22], v17 offset:8
	v_mov_b32_e32 v17, v19
	v_mov_b32_e32 v18, v20
.LBB137_18:                             ;   in Loop: Header=BB137_2 Depth=1
	s_or_b64 exec, exec, s[30:31]
	v_cndmask_b32_e64 v20, v20, v24, s[28:29]
	v_add_u32_e32 v24, 1, v84
	v_cndmask_b32_e64 v19, v19, v23, s[28:29]
	v_add_u32_e32 v23, 1, v83
	v_cndmask_b32_e64 v24, v24, v84, s[28:29]
	v_cndmask_b32_e64 v10, v10, v12, s[24:25]
	v_cndmask_b32_e64 v9, v9, v11, s[24:25]
	v_cndmask_b32_e64 v11, v7, v5, s[12:13]
	v_cndmask_b32_e64 v12, v8, v6, s[12:13]
	v_cndmask_b32_e64 v6, v6, v8, s[12:13]
	v_cndmask_b32_e64 v5, v5, v7, s[12:13]
	v_cndmask_b32_e64 v7, v1, v3, s[14:15]
	v_cndmask_b32_e64 v8, v2, v4, s[14:15]
	v_cndmask_b32_e64 v2, v4, v2, s[14:15]
	v_cndmask_b32_e64 v1, v3, v1, s[14:15]
	s_waitcnt lgkmcnt(0)
	v_cmp_lt_i64_e64 s[14:15], v[21:22], v[17:18]
	v_cndmask_b32_e64 v23, v83, v23, s[28:29]
	v_cndmask_b32_e64 v14, v14, v16, s[26:27]
	;; [unrolled: 1-line block ×7, first 2 shown]
	v_cmp_ge_i32_e64 s[16:17], v24, v31
	v_cmp_lt_i32_e64 s[12:13], v23, v32
	s_or_b64 s[14:15], s[16:17], s[14:15]
	v_cndmask_b32_e64 v2, v12, v4, s[18:19]
	v_cndmask_b32_e64 v1, v11, v3, s[18:19]
	;; [unrolled: 1-line block ×8, first 2 shown]
	s_and_b64 s[12:13], s[12:13], s[14:15]
	v_cndmask_b32_e64 v83, v84, v83, s[28:29]
	v_cndmask_b32_e64 v13, v13, v15, s[26:27]
	v_cndmask_b32_e64 v15, v82, v81, s[26:27]
	v_cndmask_b32_e64 v6, v8, v12, s[22:23]
	v_cndmask_b32_e64 v5, v7, v11, s[22:23]
	v_cndmask_b32_e64 v8, v12, v8, s[22:23]
	v_cndmask_b32_e64 v7, v11, v7, s[22:23]
	v_cndmask_b32_e64 v11, v17, v21, s[12:13]
	v_cndmask_b32_e64 v17, v24, v23, s[12:13]
	s_barrier
	ds_write2_b64 v71, v[1:2], v[7:8] offset1:1
	ds_write2_b64 v71, v[5:6], v[3:4] offset0:2 offset1:3
	v_lshlrev_b32_e32 v1, 3, v16
	v_lshlrev_b32_e32 v2, 3, v15
	v_lshlrev_b32_e32 v3, 3, v83
	v_lshlrev_b32_e32 v4, 3, v17
	s_waitcnt lgkmcnt(0)
	s_barrier
	ds_read_b64 v[5:6], v1
	ds_read_b64 v[7:8], v2
	;; [unrolled: 1-line block ×4, first 2 shown]
	v_cndmask_b32_e64 v12, v18, v22, s[12:13]
	s_waitcnt lgkmcnt(0)
	s_barrier
	ds_write2_b64 v71, v[9:10], v[13:14] offset1:1
	ds_write2_b64 v71, v[19:20], v[11:12] offset0:2 offset1:3
	v_mov_b32_e32 v13, v48
	s_waitcnt lgkmcnt(0)
	s_barrier
	s_and_saveexec_b64 s[14:15], s[0:1]
	s_cbranch_execz .LBB137_22
; %bb.19:                               ;   in Loop: Header=BB137_2 Depth=1
	s_mov_b64 s[16:17], 0
	v_mov_b32_e32 v13, v48
	v_mov_b32_e32 v9, v44
.LBB137_20:                             ;   Parent Loop BB137_2 Depth=1
                                        ; =>  This Inner Loop Header: Depth=2
	v_sub_u32_e32 v10, v9, v13
	v_lshrrev_b32_e32 v10, 1, v10
	v_add_u32_e32 v12, v10, v13
	v_not_b32_e32 v11, v12
	v_lshl_add_u32 v10, v12, 3, v73
	v_lshl_add_u32 v14, v11, 3, v62
	ds_read_b64 v[10:11], v10
	ds_read_b64 v[14:15], v14
	v_add_u32_e32 v16, 1, v12
	s_waitcnt lgkmcnt(0)
	v_cmp_lt_i64_e64 s[12:13], v[14:15], v[10:11]
	v_cndmask_b32_e64 v9, v9, v12, s[12:13]
	v_cndmask_b32_e64 v13, v16, v13, s[12:13]
	v_cmp_ge_i32_e64 s[12:13], v13, v9
	s_or_b64 s[16:17], s[12:13], s[16:17]
	s_andn2_b64 exec, exec, s[16:17]
	s_cbranch_execnz .LBB137_20
; %bb.21:                               ;   in Loop: Header=BB137_2 Depth=1
	s_or_b64 exec, exec, s[16:17]
.LBB137_22:                             ;   in Loop: Header=BB137_2 Depth=1
	s_or_b64 exec, exec, s[14:15]
	v_sub_u32_e32 v79, v61, v13
	v_lshl_add_u32 v15, v13, 3, v73
	v_lshlrev_b32_e32 v17, 3, v79
	ds_read_b64 v[9:10], v15
	ds_read_b64 v[11:12], v17
	v_add_u32_e32 v80, v13, v26
	v_cmp_le_i32_e64 s[16:17], v33, v80
	v_cmp_gt_i32_e64 s[12:13], v34, v79
                                        ; implicit-def: $vgpr13_vgpr14
	s_waitcnt lgkmcnt(0)
	v_cmp_lt_i64_e64 s[14:15], v[11:12], v[9:10]
	s_or_b64 s[14:15], s[16:17], s[14:15]
	s_and_b64 s[12:13], s[12:13], s[14:15]
	s_xor_b64 s[14:15], s[12:13], -1
	s_and_saveexec_b64 s[16:17], s[14:15]
	s_xor_b64 s[14:15], exec, s[16:17]
; %bb.23:                               ;   in Loop: Header=BB137_2 Depth=1
	ds_read_b64 v[13:14], v15 offset:8
                                        ; implicit-def: $vgpr17
; %bb.24:                               ;   in Loop: Header=BB137_2 Depth=1
	s_or_saveexec_b64 s[14:15], s[14:15]
	v_mov_b32_e32 v16, v12
	v_mov_b32_e32 v15, v11
	s_xor_b64 exec, exec, s[14:15]
	s_cbranch_execz .LBB137_26
; %bb.25:                               ;   in Loop: Header=BB137_2 Depth=1
	ds_read_b64 v[15:16], v17 offset:8
	s_waitcnt lgkmcnt(1)
	v_mov_b32_e32 v14, v10
	v_mov_b32_e32 v13, v9
.LBB137_26:                             ;   in Loop: Header=BB137_2 Depth=1
	s_or_b64 exec, exec, s[14:15]
	v_add_u32_e32 v18, 1, v80
	v_add_u32_e32 v17, 1, v79
	v_cndmask_b32_e64 v82, v18, v80, s[12:13]
	s_waitcnt lgkmcnt(0)
	v_cmp_lt_i64_e64 s[16:17], v[15:16], v[13:14]
	v_cndmask_b32_e64 v81, v79, v17, s[12:13]
	v_cmp_ge_i32_e64 s[18:19], v82, v33
	v_cmp_lt_i32_e64 s[14:15], v81, v34
	s_or_b64 s[16:17], s[18:19], s[16:17]
	s_and_b64 s[14:15], s[14:15], s[16:17]
	s_xor_b64 s[16:17], s[14:15], -1
                                        ; implicit-def: $vgpr17_vgpr18
	s_and_saveexec_b64 s[18:19], s[16:17]
	s_xor_b64 s[16:17], exec, s[18:19]
; %bb.27:                               ;   in Loop: Header=BB137_2 Depth=1
	v_lshlrev_b32_e32 v17, 3, v82
	ds_read_b64 v[17:18], v17 offset:8
; %bb.28:                               ;   in Loop: Header=BB137_2 Depth=1
	s_or_saveexec_b64 s[16:17], s[16:17]
	v_mov_b32_e32 v20, v16
	v_mov_b32_e32 v19, v15
	s_xor_b64 exec, exec, s[16:17]
	s_cbranch_execz .LBB137_30
; %bb.29:                               ;   in Loop: Header=BB137_2 Depth=1
	s_waitcnt lgkmcnt(0)
	v_lshlrev_b32_e32 v17, 3, v81
	ds_read_b64 v[19:20], v17 offset:8
	v_mov_b32_e32 v18, v14
	v_mov_b32_e32 v17, v13
.LBB137_30:                             ;   in Loop: Header=BB137_2 Depth=1
	s_or_b64 exec, exec, s[16:17]
	v_add_u32_e32 v22, 1, v82
	v_add_u32_e32 v21, 1, v81
	v_cndmask_b32_e64 v84, v22, v82, s[14:15]
	s_waitcnt lgkmcnt(0)
	v_cmp_lt_i64_e64 s[18:19], v[19:20], v[17:18]
	v_cndmask_b32_e64 v83, v81, v21, s[14:15]
	v_cmp_ge_i32_e64 s[20:21], v84, v33
	v_cmp_lt_i32_e64 s[16:17], v83, v34
	s_or_b64 s[18:19], s[20:21], s[18:19]
	s_and_b64 s[16:17], s[16:17], s[18:19]
	s_xor_b64 s[18:19], s[16:17], -1
                                        ; implicit-def: $vgpr21_vgpr22
	s_and_saveexec_b64 s[20:21], s[18:19]
	s_xor_b64 s[18:19], exec, s[20:21]
; %bb.31:                               ;   in Loop: Header=BB137_2 Depth=1
	v_lshlrev_b32_e32 v21, 3, v84
	ds_read_b64 v[21:22], v21 offset:8
; %bb.32:                               ;   in Loop: Header=BB137_2 Depth=1
	s_or_saveexec_b64 s[18:19], s[18:19]
	v_mov_b32_e32 v24, v20
	v_mov_b32_e32 v23, v19
	s_xor_b64 exec, exec, s[18:19]
	s_cbranch_execz .LBB137_34
; %bb.33:                               ;   in Loop: Header=BB137_2 Depth=1
	s_waitcnt lgkmcnt(0)
	v_lshlrev_b32_e32 v21, 3, v83
	ds_read_b64 v[23:24], v21 offset:8
	v_mov_b32_e32 v22, v18
	v_mov_b32_e32 v21, v17
.LBB137_34:                             ;   in Loop: Header=BB137_2 Depth=1
	s_or_b64 exec, exec, s[18:19]
	v_cndmask_b32_e64 v18, v18, v20, s[16:17]
	v_add_u32_e32 v20, 1, v84
	v_cndmask_b32_e64 v17, v17, v19, s[16:17]
	v_add_u32_e32 v19, 1, v83
	v_cndmask_b32_e64 v20, v20, v84, s[16:17]
	v_cndmask_b32_e64 v14, v14, v16, s[14:15]
	;; [unrolled: 1-line block ×4, first 2 shown]
	s_waitcnt lgkmcnt(0)
	v_cmp_lt_i64_e64 s[14:15], v[23:24], v[21:22]
	v_cndmask_b32_e64 v19, v83, v19, s[16:17]
	v_cndmask_b32_e64 v83, v84, v83, s[16:17]
	v_cmp_ge_i32_e64 s[16:17], v20, v33
	v_cndmask_b32_e64 v10, v10, v12, s[12:13]
	v_cndmask_b32_e64 v9, v9, v11, s[12:13]
	;; [unrolled: 1-line block ×3, first 2 shown]
	v_cmp_lt_i32_e64 s[12:13], v19, v34
	s_or_b64 s[14:15], s[16:17], s[14:15]
	s_and_b64 s[12:13], s[12:13], s[14:15]
	v_cndmask_b32_e64 v19, v20, v19, s[12:13]
	s_barrier
	ds_write2_b64 v71, v[5:6], v[7:8] offset1:1
	ds_write2_b64 v71, v[1:2], v[3:4] offset0:2 offset1:3
	v_lshlrev_b32_e32 v1, 3, v16
	v_lshlrev_b32_e32 v2, 3, v15
	;; [unrolled: 1-line block ×4, first 2 shown]
	s_waitcnt lgkmcnt(0)
	s_barrier
	ds_read_b64 v[5:6], v1
	ds_read_b64 v[7:8], v2
	;; [unrolled: 1-line block ×4, first 2 shown]
	v_cndmask_b32_e64 v12, v22, v24, s[12:13]
	v_cndmask_b32_e64 v11, v21, v23, s[12:13]
	s_waitcnt lgkmcnt(0)
	s_barrier
	ds_write2_b64 v71, v[9:10], v[13:14] offset1:1
	ds_write2_b64 v71, v[17:18], v[11:12] offset0:2 offset1:3
	v_mov_b32_e32 v13, v49
	s_waitcnt lgkmcnt(0)
	s_barrier
	s_and_saveexec_b64 s[14:15], s[2:3]
	s_cbranch_execz .LBB137_38
; %bb.35:                               ;   in Loop: Header=BB137_2 Depth=1
	s_mov_b64 s[16:17], 0
	v_mov_b32_e32 v13, v49
	v_mov_b32_e32 v9, v45
.LBB137_36:                             ;   Parent Loop BB137_2 Depth=1
                                        ; =>  This Inner Loop Header: Depth=2
	v_sub_u32_e32 v10, v9, v13
	v_lshrrev_b32_e32 v10, 1, v10
	v_add_u32_e32 v12, v10, v13
	v_not_b32_e32 v11, v12
	v_lshl_add_u32 v10, v12, 3, v74
	v_lshl_add_u32 v14, v11, 3, v64
	ds_read_b64 v[10:11], v10
	ds_read_b64 v[14:15], v14
	v_add_u32_e32 v16, 1, v12
	s_waitcnt lgkmcnt(0)
	v_cmp_lt_i64_e64 s[12:13], v[14:15], v[10:11]
	v_cndmask_b32_e64 v9, v9, v12, s[12:13]
	v_cndmask_b32_e64 v13, v16, v13, s[12:13]
	v_cmp_ge_i32_e64 s[12:13], v13, v9
	s_or_b64 s[16:17], s[12:13], s[16:17]
	s_andn2_b64 exec, exec, s[16:17]
	s_cbranch_execnz .LBB137_36
; %bb.37:                               ;   in Loop: Header=BB137_2 Depth=1
	s_or_b64 exec, exec, s[16:17]
.LBB137_38:                             ;   in Loop: Header=BB137_2 Depth=1
	s_or_b64 exec, exec, s[14:15]
	v_sub_u32_e32 v79, v63, v13
	v_lshl_add_u32 v15, v13, 3, v74
	v_lshlrev_b32_e32 v17, 3, v79
	ds_read_b64 v[9:10], v15
	ds_read_b64 v[11:12], v17
	v_add_u32_e32 v80, v13, v27
	v_cmp_le_i32_e64 s[16:17], v35, v80
	v_cmp_gt_i32_e64 s[12:13], v36, v79
                                        ; implicit-def: $vgpr13_vgpr14
	s_waitcnt lgkmcnt(0)
	v_cmp_lt_i64_e64 s[14:15], v[11:12], v[9:10]
	s_or_b64 s[14:15], s[16:17], s[14:15]
	s_and_b64 s[12:13], s[12:13], s[14:15]
	s_xor_b64 s[14:15], s[12:13], -1
	s_and_saveexec_b64 s[16:17], s[14:15]
	s_xor_b64 s[14:15], exec, s[16:17]
; %bb.39:                               ;   in Loop: Header=BB137_2 Depth=1
	ds_read_b64 v[13:14], v15 offset:8
                                        ; implicit-def: $vgpr17
; %bb.40:                               ;   in Loop: Header=BB137_2 Depth=1
	s_or_saveexec_b64 s[14:15], s[14:15]
	v_mov_b32_e32 v16, v12
	v_mov_b32_e32 v15, v11
	s_xor_b64 exec, exec, s[14:15]
	s_cbranch_execz .LBB137_42
; %bb.41:                               ;   in Loop: Header=BB137_2 Depth=1
	ds_read_b64 v[15:16], v17 offset:8
	s_waitcnt lgkmcnt(1)
	v_mov_b32_e32 v14, v10
	v_mov_b32_e32 v13, v9
.LBB137_42:                             ;   in Loop: Header=BB137_2 Depth=1
	s_or_b64 exec, exec, s[14:15]
	v_add_u32_e32 v18, 1, v80
	v_add_u32_e32 v17, 1, v79
	v_cndmask_b32_e64 v82, v18, v80, s[12:13]
	s_waitcnt lgkmcnt(0)
	v_cmp_lt_i64_e64 s[16:17], v[15:16], v[13:14]
	v_cndmask_b32_e64 v81, v79, v17, s[12:13]
	v_cmp_ge_i32_e64 s[18:19], v82, v35
	v_cmp_lt_i32_e64 s[14:15], v81, v36
	s_or_b64 s[16:17], s[18:19], s[16:17]
	s_and_b64 s[14:15], s[14:15], s[16:17]
	s_xor_b64 s[16:17], s[14:15], -1
                                        ; implicit-def: $vgpr17_vgpr18
	s_and_saveexec_b64 s[18:19], s[16:17]
	s_xor_b64 s[16:17], exec, s[18:19]
; %bb.43:                               ;   in Loop: Header=BB137_2 Depth=1
	v_lshlrev_b32_e32 v17, 3, v82
	ds_read_b64 v[17:18], v17 offset:8
; %bb.44:                               ;   in Loop: Header=BB137_2 Depth=1
	s_or_saveexec_b64 s[16:17], s[16:17]
	v_mov_b32_e32 v20, v16
	v_mov_b32_e32 v19, v15
	s_xor_b64 exec, exec, s[16:17]
	s_cbranch_execz .LBB137_46
; %bb.45:                               ;   in Loop: Header=BB137_2 Depth=1
	s_waitcnt lgkmcnt(0)
	v_lshlrev_b32_e32 v17, 3, v81
	ds_read_b64 v[19:20], v17 offset:8
	v_mov_b32_e32 v18, v14
	v_mov_b32_e32 v17, v13
.LBB137_46:                             ;   in Loop: Header=BB137_2 Depth=1
	s_or_b64 exec, exec, s[16:17]
	v_add_u32_e32 v22, 1, v82
	v_add_u32_e32 v21, 1, v81
	v_cndmask_b32_e64 v84, v22, v82, s[14:15]
	s_waitcnt lgkmcnt(0)
	v_cmp_lt_i64_e64 s[18:19], v[19:20], v[17:18]
	v_cndmask_b32_e64 v83, v81, v21, s[14:15]
	v_cmp_ge_i32_e64 s[20:21], v84, v35
	v_cmp_lt_i32_e64 s[16:17], v83, v36
	s_or_b64 s[18:19], s[20:21], s[18:19]
	s_and_b64 s[16:17], s[16:17], s[18:19]
	s_xor_b64 s[18:19], s[16:17], -1
                                        ; implicit-def: $vgpr21_vgpr22
	s_and_saveexec_b64 s[20:21], s[18:19]
	s_xor_b64 s[18:19], exec, s[20:21]
; %bb.47:                               ;   in Loop: Header=BB137_2 Depth=1
	v_lshlrev_b32_e32 v21, 3, v84
	ds_read_b64 v[21:22], v21 offset:8
; %bb.48:                               ;   in Loop: Header=BB137_2 Depth=1
	s_or_saveexec_b64 s[18:19], s[18:19]
	v_mov_b32_e32 v24, v20
	v_mov_b32_e32 v23, v19
	s_xor_b64 exec, exec, s[18:19]
	s_cbranch_execz .LBB137_50
; %bb.49:                               ;   in Loop: Header=BB137_2 Depth=1
	s_waitcnt lgkmcnt(0)
	v_lshlrev_b32_e32 v21, 3, v83
	ds_read_b64 v[23:24], v21 offset:8
	v_mov_b32_e32 v22, v18
	v_mov_b32_e32 v21, v17
.LBB137_50:                             ;   in Loop: Header=BB137_2 Depth=1
	s_or_b64 exec, exec, s[18:19]
	v_cndmask_b32_e64 v18, v18, v20, s[16:17]
	v_add_u32_e32 v20, 1, v84
	v_cndmask_b32_e64 v17, v17, v19, s[16:17]
	v_add_u32_e32 v19, 1, v83
	v_cndmask_b32_e64 v20, v20, v84, s[16:17]
	v_cndmask_b32_e64 v14, v14, v16, s[14:15]
	;; [unrolled: 1-line block ×4, first 2 shown]
	s_waitcnt lgkmcnt(0)
	v_cmp_lt_i64_e64 s[14:15], v[23:24], v[21:22]
	v_cndmask_b32_e64 v19, v83, v19, s[16:17]
	v_cndmask_b32_e64 v83, v84, v83, s[16:17]
	v_cmp_ge_i32_e64 s[16:17], v20, v35
	v_cndmask_b32_e64 v10, v10, v12, s[12:13]
	v_cndmask_b32_e64 v9, v9, v11, s[12:13]
	;; [unrolled: 1-line block ×3, first 2 shown]
	v_cmp_lt_i32_e64 s[12:13], v19, v36
	s_or_b64 s[14:15], s[16:17], s[14:15]
	s_and_b64 s[12:13], s[12:13], s[14:15]
	v_cndmask_b32_e64 v19, v20, v19, s[12:13]
	s_barrier
	ds_write2_b64 v71, v[5:6], v[7:8] offset1:1
	ds_write2_b64 v71, v[1:2], v[3:4] offset0:2 offset1:3
	v_lshlrev_b32_e32 v1, 3, v16
	v_lshlrev_b32_e32 v2, 3, v15
	;; [unrolled: 1-line block ×4, first 2 shown]
	s_waitcnt lgkmcnt(0)
	s_barrier
	ds_read_b64 v[5:6], v1
	ds_read_b64 v[7:8], v2
	;; [unrolled: 1-line block ×4, first 2 shown]
	v_cndmask_b32_e64 v12, v22, v24, s[12:13]
	v_cndmask_b32_e64 v11, v21, v23, s[12:13]
	s_waitcnt lgkmcnt(0)
	s_barrier
	ds_write2_b64 v71, v[9:10], v[13:14] offset1:1
	ds_write2_b64 v71, v[17:18], v[11:12] offset0:2 offset1:3
	v_mov_b32_e32 v13, v50
	s_waitcnt lgkmcnt(0)
	s_barrier
	s_and_saveexec_b64 s[14:15], s[4:5]
	s_cbranch_execz .LBB137_54
; %bb.51:                               ;   in Loop: Header=BB137_2 Depth=1
	s_mov_b64 s[16:17], 0
	v_mov_b32_e32 v13, v50
	v_mov_b32_e32 v9, v46
.LBB137_52:                             ;   Parent Loop BB137_2 Depth=1
                                        ; =>  This Inner Loop Header: Depth=2
	v_sub_u32_e32 v10, v9, v13
	v_lshrrev_b32_e32 v10, 1, v10
	v_add_u32_e32 v12, v10, v13
	v_not_b32_e32 v11, v12
	v_lshl_add_u32 v10, v12, 3, v75
	v_lshl_add_u32 v14, v11, 3, v66
	ds_read_b64 v[10:11], v10
	ds_read_b64 v[14:15], v14
	v_add_u32_e32 v16, 1, v12
	s_waitcnt lgkmcnt(0)
	v_cmp_lt_i64_e64 s[12:13], v[14:15], v[10:11]
	v_cndmask_b32_e64 v9, v9, v12, s[12:13]
	v_cndmask_b32_e64 v13, v16, v13, s[12:13]
	v_cmp_ge_i32_e64 s[12:13], v13, v9
	s_or_b64 s[16:17], s[12:13], s[16:17]
	s_andn2_b64 exec, exec, s[16:17]
	s_cbranch_execnz .LBB137_52
; %bb.53:                               ;   in Loop: Header=BB137_2 Depth=1
	s_or_b64 exec, exec, s[16:17]
.LBB137_54:                             ;   in Loop: Header=BB137_2 Depth=1
	s_or_b64 exec, exec, s[14:15]
	v_sub_u32_e32 v79, v65, v13
	v_lshl_add_u32 v15, v13, 3, v75
	v_lshlrev_b32_e32 v17, 3, v79
	ds_read_b64 v[9:10], v15
	ds_read_b64 v[11:12], v17
	v_add_u32_e32 v80, v13, v28
	v_cmp_le_i32_e64 s[16:17], v37, v80
	v_cmp_gt_i32_e64 s[12:13], v38, v79
                                        ; implicit-def: $vgpr13_vgpr14
	s_waitcnt lgkmcnt(0)
	v_cmp_lt_i64_e64 s[14:15], v[11:12], v[9:10]
	s_or_b64 s[14:15], s[16:17], s[14:15]
	s_and_b64 s[12:13], s[12:13], s[14:15]
	s_xor_b64 s[14:15], s[12:13], -1
	s_and_saveexec_b64 s[16:17], s[14:15]
	s_xor_b64 s[14:15], exec, s[16:17]
; %bb.55:                               ;   in Loop: Header=BB137_2 Depth=1
	ds_read_b64 v[13:14], v15 offset:8
                                        ; implicit-def: $vgpr17
; %bb.56:                               ;   in Loop: Header=BB137_2 Depth=1
	s_or_saveexec_b64 s[14:15], s[14:15]
	v_mov_b32_e32 v16, v12
	v_mov_b32_e32 v15, v11
	s_xor_b64 exec, exec, s[14:15]
	s_cbranch_execz .LBB137_58
; %bb.57:                               ;   in Loop: Header=BB137_2 Depth=1
	ds_read_b64 v[15:16], v17 offset:8
	s_waitcnt lgkmcnt(1)
	v_mov_b32_e32 v14, v10
	v_mov_b32_e32 v13, v9
.LBB137_58:                             ;   in Loop: Header=BB137_2 Depth=1
	s_or_b64 exec, exec, s[14:15]
	v_add_u32_e32 v18, 1, v80
	v_add_u32_e32 v17, 1, v79
	v_cndmask_b32_e64 v82, v18, v80, s[12:13]
	s_waitcnt lgkmcnt(0)
	v_cmp_lt_i64_e64 s[16:17], v[15:16], v[13:14]
	v_cndmask_b32_e64 v81, v79, v17, s[12:13]
	v_cmp_ge_i32_e64 s[18:19], v82, v37
	v_cmp_lt_i32_e64 s[14:15], v81, v38
	s_or_b64 s[16:17], s[18:19], s[16:17]
	s_and_b64 s[14:15], s[14:15], s[16:17]
	s_xor_b64 s[16:17], s[14:15], -1
                                        ; implicit-def: $vgpr17_vgpr18
	s_and_saveexec_b64 s[18:19], s[16:17]
	s_xor_b64 s[16:17], exec, s[18:19]
; %bb.59:                               ;   in Loop: Header=BB137_2 Depth=1
	v_lshlrev_b32_e32 v17, 3, v82
	ds_read_b64 v[17:18], v17 offset:8
; %bb.60:                               ;   in Loop: Header=BB137_2 Depth=1
	s_or_saveexec_b64 s[16:17], s[16:17]
	v_mov_b32_e32 v20, v16
	v_mov_b32_e32 v19, v15
	s_xor_b64 exec, exec, s[16:17]
	s_cbranch_execz .LBB137_62
; %bb.61:                               ;   in Loop: Header=BB137_2 Depth=1
	s_waitcnt lgkmcnt(0)
	v_lshlrev_b32_e32 v17, 3, v81
	ds_read_b64 v[19:20], v17 offset:8
	v_mov_b32_e32 v18, v14
	v_mov_b32_e32 v17, v13
.LBB137_62:                             ;   in Loop: Header=BB137_2 Depth=1
	s_or_b64 exec, exec, s[16:17]
	v_add_u32_e32 v22, 1, v82
	v_add_u32_e32 v21, 1, v81
	v_cndmask_b32_e64 v84, v22, v82, s[14:15]
	s_waitcnt lgkmcnt(0)
	v_cmp_lt_i64_e64 s[18:19], v[19:20], v[17:18]
	v_cndmask_b32_e64 v83, v81, v21, s[14:15]
	v_cmp_ge_i32_e64 s[20:21], v84, v37
	v_cmp_lt_i32_e64 s[16:17], v83, v38
	s_or_b64 s[18:19], s[20:21], s[18:19]
	s_and_b64 s[16:17], s[16:17], s[18:19]
	s_xor_b64 s[18:19], s[16:17], -1
                                        ; implicit-def: $vgpr21_vgpr22
	s_and_saveexec_b64 s[20:21], s[18:19]
	s_xor_b64 s[18:19], exec, s[20:21]
; %bb.63:                               ;   in Loop: Header=BB137_2 Depth=1
	v_lshlrev_b32_e32 v21, 3, v84
	ds_read_b64 v[21:22], v21 offset:8
; %bb.64:                               ;   in Loop: Header=BB137_2 Depth=1
	s_or_saveexec_b64 s[18:19], s[18:19]
	v_mov_b32_e32 v24, v20
	v_mov_b32_e32 v23, v19
	s_xor_b64 exec, exec, s[18:19]
	s_cbranch_execz .LBB137_66
; %bb.65:                               ;   in Loop: Header=BB137_2 Depth=1
	s_waitcnt lgkmcnt(0)
	v_lshlrev_b32_e32 v21, 3, v83
	ds_read_b64 v[23:24], v21 offset:8
	v_mov_b32_e32 v22, v18
	v_mov_b32_e32 v21, v17
.LBB137_66:                             ;   in Loop: Header=BB137_2 Depth=1
	s_or_b64 exec, exec, s[18:19]
	v_cndmask_b32_e64 v18, v18, v20, s[16:17]
	v_add_u32_e32 v20, 1, v84
	v_cndmask_b32_e64 v17, v17, v19, s[16:17]
	v_add_u32_e32 v19, 1, v83
	v_cndmask_b32_e64 v20, v20, v84, s[16:17]
	v_cndmask_b32_e64 v14, v14, v16, s[14:15]
	;; [unrolled: 1-line block ×4, first 2 shown]
	s_waitcnt lgkmcnt(0)
	v_cmp_lt_i64_e64 s[14:15], v[23:24], v[21:22]
	v_cndmask_b32_e64 v19, v83, v19, s[16:17]
	v_cndmask_b32_e64 v83, v84, v83, s[16:17]
	v_cmp_ge_i32_e64 s[16:17], v20, v37
	v_cndmask_b32_e64 v10, v10, v12, s[12:13]
	v_cndmask_b32_e64 v9, v9, v11, s[12:13]
	v_cndmask_b32_e64 v16, v80, v79, s[12:13]
	v_cmp_lt_i32_e64 s[12:13], v19, v38
	s_or_b64 s[14:15], s[16:17], s[14:15]
	s_and_b64 s[12:13], s[12:13], s[14:15]
	v_cndmask_b32_e64 v19, v20, v19, s[12:13]
	s_barrier
	ds_write2_b64 v71, v[5:6], v[7:8] offset1:1
	ds_write2_b64 v71, v[1:2], v[3:4] offset0:2 offset1:3
	v_lshlrev_b32_e32 v1, 3, v16
	v_lshlrev_b32_e32 v2, 3, v15
	;; [unrolled: 1-line block ×4, first 2 shown]
	s_waitcnt lgkmcnt(0)
	s_barrier
	ds_read_b64 v[5:6], v1
	ds_read_b64 v[7:8], v2
	;; [unrolled: 1-line block ×4, first 2 shown]
	v_cndmask_b32_e64 v12, v22, v24, s[12:13]
	v_cndmask_b32_e64 v11, v21, v23, s[12:13]
	s_waitcnt lgkmcnt(0)
	s_barrier
	ds_write2_b64 v71, v[9:10], v[13:14] offset1:1
	ds_write2_b64 v71, v[17:18], v[11:12] offset0:2 offset1:3
	v_mov_b32_e32 v13, v51
	s_waitcnt lgkmcnt(0)
	s_barrier
	s_and_saveexec_b64 s[14:15], s[6:7]
	s_cbranch_execz .LBB137_70
; %bb.67:                               ;   in Loop: Header=BB137_2 Depth=1
	s_mov_b64 s[16:17], 0
	v_mov_b32_e32 v13, v51
	v_mov_b32_e32 v9, v52
.LBB137_68:                             ;   Parent Loop BB137_2 Depth=1
                                        ; =>  This Inner Loop Header: Depth=2
	v_sub_u32_e32 v10, v9, v13
	v_lshrrev_b32_e32 v10, 1, v10
	v_add_u32_e32 v12, v10, v13
	v_not_b32_e32 v11, v12
	v_lshl_add_u32 v10, v12, 3, v76
	v_lshl_add_u32 v14, v11, 3, v68
	ds_read_b64 v[10:11], v10
	ds_read_b64 v[14:15], v14
	v_add_u32_e32 v16, 1, v12
	s_waitcnt lgkmcnt(0)
	v_cmp_lt_i64_e64 s[12:13], v[14:15], v[10:11]
	v_cndmask_b32_e64 v9, v9, v12, s[12:13]
	v_cndmask_b32_e64 v13, v16, v13, s[12:13]
	v_cmp_ge_i32_e64 s[12:13], v13, v9
	s_or_b64 s[16:17], s[12:13], s[16:17]
	s_andn2_b64 exec, exec, s[16:17]
	s_cbranch_execnz .LBB137_68
; %bb.69:                               ;   in Loop: Header=BB137_2 Depth=1
	s_or_b64 exec, exec, s[16:17]
.LBB137_70:                             ;   in Loop: Header=BB137_2 Depth=1
	s_or_b64 exec, exec, s[14:15]
	v_sub_u32_e32 v79, v67, v13
	v_lshl_add_u32 v15, v13, 3, v76
	v_lshlrev_b32_e32 v17, 3, v79
	ds_read_b64 v[9:10], v15
	ds_read_b64 v[11:12], v17
	v_add_u32_e32 v80, v13, v29
	v_cmp_le_i32_e64 s[16:17], v39, v80
	v_cmp_gt_i32_e64 s[12:13], v40, v79
                                        ; implicit-def: $vgpr13_vgpr14
	s_waitcnt lgkmcnt(0)
	v_cmp_lt_i64_e64 s[14:15], v[11:12], v[9:10]
	s_or_b64 s[14:15], s[16:17], s[14:15]
	s_and_b64 s[12:13], s[12:13], s[14:15]
	s_xor_b64 s[14:15], s[12:13], -1
	s_and_saveexec_b64 s[16:17], s[14:15]
	s_xor_b64 s[14:15], exec, s[16:17]
; %bb.71:                               ;   in Loop: Header=BB137_2 Depth=1
	ds_read_b64 v[13:14], v15 offset:8
                                        ; implicit-def: $vgpr17
; %bb.72:                               ;   in Loop: Header=BB137_2 Depth=1
	s_or_saveexec_b64 s[14:15], s[14:15]
	v_mov_b32_e32 v16, v12
	v_mov_b32_e32 v15, v11
	s_xor_b64 exec, exec, s[14:15]
	s_cbranch_execz .LBB137_74
; %bb.73:                               ;   in Loop: Header=BB137_2 Depth=1
	ds_read_b64 v[15:16], v17 offset:8
	s_waitcnt lgkmcnt(1)
	v_mov_b32_e32 v14, v10
	v_mov_b32_e32 v13, v9
.LBB137_74:                             ;   in Loop: Header=BB137_2 Depth=1
	s_or_b64 exec, exec, s[14:15]
	v_add_u32_e32 v18, 1, v80
	v_add_u32_e32 v17, 1, v79
	v_cndmask_b32_e64 v82, v18, v80, s[12:13]
	s_waitcnt lgkmcnt(0)
	v_cmp_lt_i64_e64 s[16:17], v[15:16], v[13:14]
	v_cndmask_b32_e64 v81, v79, v17, s[12:13]
	v_cmp_ge_i32_e64 s[18:19], v82, v39
	v_cmp_lt_i32_e64 s[14:15], v81, v40
	s_or_b64 s[16:17], s[18:19], s[16:17]
	s_and_b64 s[14:15], s[14:15], s[16:17]
	s_xor_b64 s[16:17], s[14:15], -1
                                        ; implicit-def: $vgpr17_vgpr18
	s_and_saveexec_b64 s[18:19], s[16:17]
	s_xor_b64 s[16:17], exec, s[18:19]
; %bb.75:                               ;   in Loop: Header=BB137_2 Depth=1
	v_lshlrev_b32_e32 v17, 3, v82
	ds_read_b64 v[17:18], v17 offset:8
; %bb.76:                               ;   in Loop: Header=BB137_2 Depth=1
	s_or_saveexec_b64 s[16:17], s[16:17]
	v_mov_b32_e32 v20, v16
	v_mov_b32_e32 v19, v15
	s_xor_b64 exec, exec, s[16:17]
	s_cbranch_execz .LBB137_78
; %bb.77:                               ;   in Loop: Header=BB137_2 Depth=1
	s_waitcnt lgkmcnt(0)
	v_lshlrev_b32_e32 v17, 3, v81
	ds_read_b64 v[19:20], v17 offset:8
	v_mov_b32_e32 v18, v14
	v_mov_b32_e32 v17, v13
.LBB137_78:                             ;   in Loop: Header=BB137_2 Depth=1
	s_or_b64 exec, exec, s[16:17]
	v_add_u32_e32 v22, 1, v82
	v_add_u32_e32 v21, 1, v81
	v_cndmask_b32_e64 v84, v22, v82, s[14:15]
	s_waitcnt lgkmcnt(0)
	v_cmp_lt_i64_e64 s[18:19], v[19:20], v[17:18]
	v_cndmask_b32_e64 v83, v81, v21, s[14:15]
	v_cmp_ge_i32_e64 s[20:21], v84, v39
	v_cmp_lt_i32_e64 s[16:17], v83, v40
	s_or_b64 s[18:19], s[20:21], s[18:19]
	s_and_b64 s[16:17], s[16:17], s[18:19]
	s_xor_b64 s[18:19], s[16:17], -1
                                        ; implicit-def: $vgpr21_vgpr22
	s_and_saveexec_b64 s[20:21], s[18:19]
	s_xor_b64 s[18:19], exec, s[20:21]
; %bb.79:                               ;   in Loop: Header=BB137_2 Depth=1
	v_lshlrev_b32_e32 v21, 3, v84
	ds_read_b64 v[21:22], v21 offset:8
; %bb.80:                               ;   in Loop: Header=BB137_2 Depth=1
	s_or_saveexec_b64 s[18:19], s[18:19]
	v_mov_b32_e32 v24, v20
	v_mov_b32_e32 v23, v19
	s_xor_b64 exec, exec, s[18:19]
	s_cbranch_execz .LBB137_82
; %bb.81:                               ;   in Loop: Header=BB137_2 Depth=1
	s_waitcnt lgkmcnt(0)
	v_lshlrev_b32_e32 v21, 3, v83
	ds_read_b64 v[23:24], v21 offset:8
	v_mov_b32_e32 v22, v18
	v_mov_b32_e32 v21, v17
.LBB137_82:                             ;   in Loop: Header=BB137_2 Depth=1
	s_or_b64 exec, exec, s[18:19]
	v_cndmask_b32_e64 v18, v18, v20, s[16:17]
	v_add_u32_e32 v20, 1, v84
	v_cndmask_b32_e64 v17, v17, v19, s[16:17]
	v_add_u32_e32 v19, 1, v83
	v_cndmask_b32_e64 v20, v20, v84, s[16:17]
	v_cndmask_b32_e64 v14, v14, v16, s[14:15]
	;; [unrolled: 1-line block ×4, first 2 shown]
	s_waitcnt lgkmcnt(0)
	v_cmp_lt_i64_e64 s[14:15], v[23:24], v[21:22]
	v_cndmask_b32_e64 v19, v83, v19, s[16:17]
	v_cndmask_b32_e64 v83, v84, v83, s[16:17]
	v_cmp_ge_i32_e64 s[16:17], v20, v39
	v_cndmask_b32_e64 v10, v10, v12, s[12:13]
	v_cndmask_b32_e64 v9, v9, v11, s[12:13]
	;; [unrolled: 1-line block ×3, first 2 shown]
	v_cmp_lt_i32_e64 s[12:13], v19, v40
	s_or_b64 s[14:15], s[16:17], s[14:15]
	s_and_b64 s[12:13], s[12:13], s[14:15]
	v_cndmask_b32_e64 v19, v20, v19, s[12:13]
	s_barrier
	ds_write2_b64 v71, v[5:6], v[7:8] offset1:1
	ds_write2_b64 v71, v[1:2], v[3:4] offset0:2 offset1:3
	v_lshlrev_b32_e32 v1, 3, v16
	v_lshlrev_b32_e32 v2, 3, v15
	;; [unrolled: 1-line block ×4, first 2 shown]
	s_waitcnt lgkmcnt(0)
	s_barrier
	ds_read_b64 v[5:6], v1
	ds_read_b64 v[7:8], v2
	;; [unrolled: 1-line block ×4, first 2 shown]
	v_cndmask_b32_e64 v12, v22, v24, s[12:13]
	v_cndmask_b32_e64 v11, v21, v23, s[12:13]
	s_waitcnt lgkmcnt(0)
	s_barrier
	ds_write2_b64 v71, v[9:10], v[13:14] offset1:1
	ds_write2_b64 v71, v[17:18], v[11:12] offset0:2 offset1:3
	v_mov_b32_e32 v13, v53
	s_waitcnt lgkmcnt(0)
	s_barrier
	s_and_saveexec_b64 s[14:15], s[8:9]
	s_cbranch_execz .LBB137_86
; %bb.83:                               ;   in Loop: Header=BB137_2 Depth=1
	s_mov_b64 s[16:17], 0
	v_mov_b32_e32 v13, v53
	v_mov_b32_e32 v9, v54
.LBB137_84:                             ;   Parent Loop BB137_2 Depth=1
                                        ; =>  This Inner Loop Header: Depth=2
	v_sub_u32_e32 v10, v9, v13
	v_lshrrev_b32_e32 v10, 1, v10
	v_add_u32_e32 v12, v10, v13
	v_not_b32_e32 v11, v12
	v_lshl_add_u32 v10, v12, 3, v77
	v_lshl_add_u32 v14, v11, 3, v70
	ds_read_b64 v[10:11], v10
	ds_read_b64 v[14:15], v14
	v_add_u32_e32 v16, 1, v12
	s_waitcnt lgkmcnt(0)
	v_cmp_lt_i64_e64 s[12:13], v[14:15], v[10:11]
	v_cndmask_b32_e64 v9, v9, v12, s[12:13]
	v_cndmask_b32_e64 v13, v16, v13, s[12:13]
	v_cmp_ge_i32_e64 s[12:13], v13, v9
	s_or_b64 s[16:17], s[12:13], s[16:17]
	s_andn2_b64 exec, exec, s[16:17]
	s_cbranch_execnz .LBB137_84
; %bb.85:                               ;   in Loop: Header=BB137_2 Depth=1
	s_or_b64 exec, exec, s[16:17]
.LBB137_86:                             ;   in Loop: Header=BB137_2 Depth=1
	s_or_b64 exec, exec, s[14:15]
	v_sub_u32_e32 v79, v69, v13
	v_lshl_add_u32 v15, v13, 3, v77
	v_lshlrev_b32_e32 v17, 3, v79
	ds_read_b64 v[9:10], v15
	ds_read_b64 v[11:12], v17
	v_add_u32_e32 v80, v13, v30
	v_cmp_le_i32_e64 s[16:17], v41, v80
	v_cmp_gt_i32_e64 s[12:13], v42, v79
                                        ; implicit-def: $vgpr13_vgpr14
	s_waitcnt lgkmcnt(0)
	v_cmp_lt_i64_e64 s[14:15], v[11:12], v[9:10]
	s_or_b64 s[14:15], s[16:17], s[14:15]
	s_and_b64 s[12:13], s[12:13], s[14:15]
	s_xor_b64 s[14:15], s[12:13], -1
	s_and_saveexec_b64 s[16:17], s[14:15]
	s_xor_b64 s[14:15], exec, s[16:17]
; %bb.87:                               ;   in Loop: Header=BB137_2 Depth=1
	ds_read_b64 v[13:14], v15 offset:8
                                        ; implicit-def: $vgpr17
; %bb.88:                               ;   in Loop: Header=BB137_2 Depth=1
	s_or_saveexec_b64 s[14:15], s[14:15]
	v_mov_b32_e32 v16, v12
	v_mov_b32_e32 v15, v11
	s_xor_b64 exec, exec, s[14:15]
	s_cbranch_execz .LBB137_90
; %bb.89:                               ;   in Loop: Header=BB137_2 Depth=1
	ds_read_b64 v[15:16], v17 offset:8
	s_waitcnt lgkmcnt(1)
	v_mov_b32_e32 v14, v10
	v_mov_b32_e32 v13, v9
.LBB137_90:                             ;   in Loop: Header=BB137_2 Depth=1
	s_or_b64 exec, exec, s[14:15]
	v_add_u32_e32 v18, 1, v80
	v_add_u32_e32 v17, 1, v79
	v_cndmask_b32_e64 v82, v18, v80, s[12:13]
	s_waitcnt lgkmcnt(0)
	v_cmp_lt_i64_e64 s[16:17], v[15:16], v[13:14]
	v_cndmask_b32_e64 v81, v79, v17, s[12:13]
	v_cmp_ge_i32_e64 s[18:19], v82, v41
	v_cmp_lt_i32_e64 s[14:15], v81, v42
	s_or_b64 s[16:17], s[18:19], s[16:17]
	s_and_b64 s[14:15], s[14:15], s[16:17]
	s_xor_b64 s[16:17], s[14:15], -1
                                        ; implicit-def: $vgpr17_vgpr18
	s_and_saveexec_b64 s[18:19], s[16:17]
	s_xor_b64 s[16:17], exec, s[18:19]
; %bb.91:                               ;   in Loop: Header=BB137_2 Depth=1
	v_lshlrev_b32_e32 v17, 3, v82
	ds_read_b64 v[17:18], v17 offset:8
; %bb.92:                               ;   in Loop: Header=BB137_2 Depth=1
	s_or_saveexec_b64 s[16:17], s[16:17]
	v_mov_b32_e32 v20, v16
	v_mov_b32_e32 v19, v15
	s_xor_b64 exec, exec, s[16:17]
	s_cbranch_execz .LBB137_94
; %bb.93:                               ;   in Loop: Header=BB137_2 Depth=1
	s_waitcnt lgkmcnt(0)
	v_lshlrev_b32_e32 v17, 3, v81
	ds_read_b64 v[19:20], v17 offset:8
	v_mov_b32_e32 v18, v14
	v_mov_b32_e32 v17, v13
.LBB137_94:                             ;   in Loop: Header=BB137_2 Depth=1
	s_or_b64 exec, exec, s[16:17]
	v_add_u32_e32 v22, 1, v82
	v_add_u32_e32 v21, 1, v81
	v_cndmask_b32_e64 v84, v22, v82, s[14:15]
	s_waitcnt lgkmcnt(0)
	v_cmp_lt_i64_e64 s[18:19], v[19:20], v[17:18]
	v_cndmask_b32_e64 v83, v81, v21, s[14:15]
	v_cmp_ge_i32_e64 s[20:21], v84, v41
	v_cmp_lt_i32_e64 s[16:17], v83, v42
	s_or_b64 s[18:19], s[20:21], s[18:19]
	s_and_b64 s[16:17], s[16:17], s[18:19]
	s_xor_b64 s[18:19], s[16:17], -1
                                        ; implicit-def: $vgpr21_vgpr22
	s_and_saveexec_b64 s[20:21], s[18:19]
	s_xor_b64 s[18:19], exec, s[20:21]
; %bb.95:                               ;   in Loop: Header=BB137_2 Depth=1
	v_lshlrev_b32_e32 v21, 3, v84
	ds_read_b64 v[21:22], v21 offset:8
; %bb.96:                               ;   in Loop: Header=BB137_2 Depth=1
	s_or_saveexec_b64 s[18:19], s[18:19]
	v_mov_b32_e32 v24, v20
	v_mov_b32_e32 v23, v19
	s_xor_b64 exec, exec, s[18:19]
	s_cbranch_execz .LBB137_98
; %bb.97:                               ;   in Loop: Header=BB137_2 Depth=1
	s_waitcnt lgkmcnt(0)
	v_lshlrev_b32_e32 v21, 3, v83
	ds_read_b64 v[23:24], v21 offset:8
	v_mov_b32_e32 v22, v18
	v_mov_b32_e32 v21, v17
.LBB137_98:                             ;   in Loop: Header=BB137_2 Depth=1
	s_or_b64 exec, exec, s[18:19]
	v_cndmask_b32_e64 v18, v18, v20, s[16:17]
	v_add_u32_e32 v20, 1, v84
	v_cndmask_b32_e64 v17, v17, v19, s[16:17]
	v_add_u32_e32 v19, 1, v83
	v_cndmask_b32_e64 v20, v20, v84, s[16:17]
	v_cndmask_b32_e64 v14, v14, v16, s[14:15]
	;; [unrolled: 1-line block ×4, first 2 shown]
	s_waitcnt lgkmcnt(0)
	v_cmp_lt_i64_e64 s[14:15], v[23:24], v[21:22]
	v_cndmask_b32_e64 v19, v83, v19, s[16:17]
	v_cndmask_b32_e64 v83, v84, v83, s[16:17]
	v_cmp_ge_i32_e64 s[16:17], v20, v41
	v_cndmask_b32_e64 v10, v10, v12, s[12:13]
	v_cndmask_b32_e64 v9, v9, v11, s[12:13]
	;; [unrolled: 1-line block ×3, first 2 shown]
	v_cmp_lt_i32_e64 s[12:13], v19, v42
	s_or_b64 s[14:15], s[16:17], s[14:15]
	s_and_b64 s[12:13], s[12:13], s[14:15]
	v_cndmask_b32_e64 v19, v20, v19, s[12:13]
	s_barrier
	ds_write2_b64 v71, v[5:6], v[7:8] offset1:1
	ds_write2_b64 v71, v[1:2], v[3:4] offset0:2 offset1:3
	v_lshlrev_b32_e32 v1, 3, v16
	v_lshlrev_b32_e32 v2, 3, v15
	;; [unrolled: 1-line block ×4, first 2 shown]
	s_waitcnt lgkmcnt(0)
	s_barrier
	ds_read_b64 v[5:6], v1
	ds_read_b64 v[7:8], v2
	;; [unrolled: 1-line block ×4, first 2 shown]
	v_mov_b32_e32 v79, v56
	v_cndmask_b32_e64 v12, v22, v24, s[12:13]
	v_cndmask_b32_e64 v11, v21, v23, s[12:13]
	s_waitcnt lgkmcnt(0)
	s_barrier
	ds_write2_b64 v71, v[9:10], v[13:14] offset1:1
	ds_write2_b64 v71, v[17:18], v[11:12] offset0:2 offset1:3
	s_waitcnt lgkmcnt(0)
	s_barrier
	s_and_saveexec_b64 s[14:15], s[10:11]
	s_cbranch_execz .LBB137_102
; %bb.99:                               ;   in Loop: Header=BB137_2 Depth=1
	s_mov_b64 s[16:17], 0
	v_mov_b32_e32 v79, v56
	v_mov_b32_e32 v9, v57
.LBB137_100:                            ;   Parent Loop BB137_2 Depth=1
                                        ; =>  This Inner Loop Header: Depth=2
	v_sub_u32_e32 v10, v9, v79
	v_lshrrev_b32_e32 v10, 1, v10
	v_add_u32_e32 v14, v10, v79
	v_not_b32_e32 v11, v14
	v_lshlrev_b32_e32 v10, 3, v14
	v_lshl_add_u32 v12, v11, 3, v78
	ds_read_b64 v[10:11], v10
	ds_read_b64 v[12:13], v12
	v_add_u32_e32 v15, 1, v14
	s_waitcnt lgkmcnt(0)
	v_cmp_lt_i64_e64 s[12:13], v[12:13], v[10:11]
	v_cndmask_b32_e64 v9, v9, v14, s[12:13]
	v_cndmask_b32_e64 v79, v15, v79, s[12:13]
	v_cmp_ge_i32_e64 s[12:13], v79, v9
	s_or_b64 s[16:17], s[12:13], s[16:17]
	s_andn2_b64 exec, exec, s[16:17]
	s_cbranch_execnz .LBB137_100
; %bb.101:                              ;   in Loop: Header=BB137_2 Depth=1
	s_or_b64 exec, exec, s[16:17]
.LBB137_102:                            ;   in Loop: Header=BB137_2 Depth=1
	s_or_b64 exec, exec, s[14:15]
	v_sub_u32_e32 v80, v58, v79
	v_lshlrev_b32_e32 v16, 3, v79
	v_lshlrev_b32_e32 v15, 3, v80
	ds_read_b64 v[9:10], v16
	ds_read_b64 v[11:12], v15
	v_cmp_le_i32_e64 s[16:17], v55, v79
	v_cmp_gt_i32_e64 s[12:13], s33, v80
                                        ; implicit-def: $vgpr13_vgpr14
	s_waitcnt lgkmcnt(0)
	v_cmp_lt_i64_e64 s[14:15], v[11:12], v[9:10]
	s_or_b64 s[14:15], s[16:17], s[14:15]
	s_and_b64 s[12:13], s[12:13], s[14:15]
	s_xor_b64 s[14:15], s[12:13], -1
	s_and_saveexec_b64 s[16:17], s[14:15]
	s_xor_b64 s[14:15], exec, s[16:17]
; %bb.103:                              ;   in Loop: Header=BB137_2 Depth=1
	ds_read_b64 v[13:14], v16 offset:8
                                        ; implicit-def: $vgpr15
; %bb.104:                              ;   in Loop: Header=BB137_2 Depth=1
	s_or_saveexec_b64 s[14:15], s[14:15]
	v_mov_b32_e32 v20, v12
	v_mov_b32_e32 v19, v11
	s_xor_b64 exec, exec, s[14:15]
	s_cbranch_execz .LBB137_106
; %bb.105:                              ;   in Loop: Header=BB137_2 Depth=1
	ds_read_b64 v[19:20], v15 offset:8
	s_waitcnt lgkmcnt(1)
	v_mov_b32_e32 v14, v10
	v_mov_b32_e32 v13, v9
.LBB137_106:                            ;   in Loop: Header=BB137_2 Depth=1
	s_or_b64 exec, exec, s[14:15]
	v_add_u32_e32 v16, 1, v79
	v_add_u32_e32 v15, 1, v80
	v_cndmask_b32_e64 v82, v16, v79, s[12:13]
	s_waitcnt lgkmcnt(0)
	v_cmp_lt_i64_e64 s[16:17], v[19:20], v[13:14]
	v_cndmask_b32_e64 v81, v80, v15, s[12:13]
	v_cmp_ge_i32_e64 s[18:19], v82, v55
	v_cmp_gt_i32_e64 s[14:15], s33, v81
	s_or_b64 s[16:17], s[18:19], s[16:17]
	s_and_b64 s[14:15], s[14:15], s[16:17]
	s_xor_b64 s[16:17], s[14:15], -1
                                        ; implicit-def: $vgpr15_vgpr16
	s_and_saveexec_b64 s[18:19], s[16:17]
	s_xor_b64 s[16:17], exec, s[18:19]
; %bb.107:                              ;   in Loop: Header=BB137_2 Depth=1
	v_lshlrev_b32_e32 v15, 3, v82
	ds_read_b64 v[15:16], v15 offset:8
; %bb.108:                              ;   in Loop: Header=BB137_2 Depth=1
	s_or_saveexec_b64 s[16:17], s[16:17]
	v_mov_b32_e32 v17, v19
	v_mov_b32_e32 v18, v20
	s_xor_b64 exec, exec, s[16:17]
	s_cbranch_execz .LBB137_110
; %bb.109:                              ;   in Loop: Header=BB137_2 Depth=1
	s_waitcnt lgkmcnt(0)
	v_lshlrev_b32_e32 v15, 3, v81
	ds_read_b64 v[17:18], v15 offset:8
	v_mov_b32_e32 v16, v14
	v_mov_b32_e32 v15, v13
.LBB137_110:                            ;   in Loop: Header=BB137_2 Depth=1
	s_or_b64 exec, exec, s[16:17]
	v_add_u32_e32 v22, 1, v82
	v_add_u32_e32 v21, 1, v81
	v_cndmask_b32_e64 v86, v22, v82, s[14:15]
	s_waitcnt lgkmcnt(0)
	v_cmp_lt_i64_e64 s[18:19], v[17:18], v[15:16]
	v_cndmask_b32_e64 v83, v81, v21, s[14:15]
	v_cmp_ge_i32_e64 s[20:21], v86, v55
	v_cmp_gt_i32_e64 s[16:17], s33, v83
	s_or_b64 s[18:19], s[20:21], s[18:19]
	s_and_b64 s[16:17], s[16:17], s[18:19]
	s_xor_b64 s[18:19], s[16:17], -1
                                        ; implicit-def: $vgpr21_vgpr22
                                        ; implicit-def: $vgpr85
	s_and_saveexec_b64 s[20:21], s[18:19]
	s_xor_b64 s[18:19], exec, s[20:21]
; %bb.111:                              ;   in Loop: Header=BB137_2 Depth=1
	v_lshlrev_b32_e32 v21, 3, v86
	ds_read_b64 v[21:22], v21 offset:8
	v_add_u32_e32 v85, 1, v86
; %bb.112:                              ;   in Loop: Header=BB137_2 Depth=1
	s_or_saveexec_b64 s[18:19], s[18:19]
	v_mov_b32_e32 v24, v18
	v_mov_b32_e32 v84, v86
	;; [unrolled: 1-line block ×3, first 2 shown]
	s_xor_b64 exec, exec, s[18:19]
	s_cbranch_execz .LBB137_1
; %bb.113:                              ;   in Loop: Header=BB137_2 Depth=1
	s_waitcnt lgkmcnt(0)
	v_lshlrev_b32_e32 v22, 3, v83
	ds_read_b64 v[23:24], v22 offset:8
	v_add_u32_e32 v21, 1, v83
	v_mov_b32_e32 v84, v83
	v_mov_b32_e32 v83, v21
	;; [unrolled: 1-line block ×5, first 2 shown]
	s_branch .LBB137_1
.LBB137_114:
	s_waitcnt lgkmcnt(3)
	v_add_co_u32_e32 v7, vcc, v11, v7
	v_addc_co_u32_e32 v8, vcc, v12, v8, vcc
	s_waitcnt lgkmcnt(2)
	v_add_co_u32_e32 v5, vcc, v13, v5
	v_addc_co_u32_e32 v6, vcc, v14, v6, vcc
	;; [unrolled: 3-line block ×3, first 2 shown]
	s_add_u32 s0, s38, s40
	s_waitcnt lgkmcnt(0)
	v_add_co_u32_e32 v1, vcc, v15, v1
	s_addc_u32 s1, s39, s41
	v_lshlrev_b32_e32 v0, 3, v0
	v_addc_co_u32_e32 v2, vcc, v16, v2, vcc
	global_store_dwordx2 v0, v[7:8], s[0:1]
	global_store_dwordx2 v0, v[5:6], s[0:1] offset:1024
	global_store_dwordx2 v0, v[3:4], s[0:1] offset:2048
	global_store_dwordx2 v0, v[1:2], s[0:1] offset:3072
	s_endpgm
	.section	.rodata,"a",@progbits
	.p2align	6, 0x0
	.amdhsa_kernel _Z17sort_pairs_kernelIxLj128ELj4EN10test_utils4lessELj10EEvPKT_PS2_T2_
		.amdhsa_group_segment_fixed_size 4104
		.amdhsa_private_segment_fixed_size 0
		.amdhsa_kernarg_size 20
		.amdhsa_user_sgpr_count 6
		.amdhsa_user_sgpr_private_segment_buffer 1
		.amdhsa_user_sgpr_dispatch_ptr 0
		.amdhsa_user_sgpr_queue_ptr 0
		.amdhsa_user_sgpr_kernarg_segment_ptr 1
		.amdhsa_user_sgpr_dispatch_id 0
		.amdhsa_user_sgpr_flat_scratch_init 0
		.amdhsa_user_sgpr_private_segment_size 0
		.amdhsa_uses_dynamic_stack 0
		.amdhsa_system_sgpr_private_segment_wavefront_offset 0
		.amdhsa_system_sgpr_workgroup_id_x 1
		.amdhsa_system_sgpr_workgroup_id_y 0
		.amdhsa_system_sgpr_workgroup_id_z 0
		.amdhsa_system_sgpr_workgroup_info 0
		.amdhsa_system_vgpr_workitem_id 0
		.amdhsa_next_free_vgpr 87
		.amdhsa_next_free_sgpr 61
		.amdhsa_reserve_vcc 1
		.amdhsa_reserve_flat_scratch 0
		.amdhsa_float_round_mode_32 0
		.amdhsa_float_round_mode_16_64 0
		.amdhsa_float_denorm_mode_32 3
		.amdhsa_float_denorm_mode_16_64 3
		.amdhsa_dx10_clamp 1
		.amdhsa_ieee_mode 1
		.amdhsa_fp16_overflow 0
		.amdhsa_exception_fp_ieee_invalid_op 0
		.amdhsa_exception_fp_denorm_src 0
		.amdhsa_exception_fp_ieee_div_zero 0
		.amdhsa_exception_fp_ieee_overflow 0
		.amdhsa_exception_fp_ieee_underflow 0
		.amdhsa_exception_fp_ieee_inexact 0
		.amdhsa_exception_int_div_zero 0
	.end_amdhsa_kernel
	.section	.text._Z17sort_pairs_kernelIxLj128ELj4EN10test_utils4lessELj10EEvPKT_PS2_T2_,"axG",@progbits,_Z17sort_pairs_kernelIxLj128ELj4EN10test_utils4lessELj10EEvPKT_PS2_T2_,comdat
.Lfunc_end137:
	.size	_Z17sort_pairs_kernelIxLj128ELj4EN10test_utils4lessELj10EEvPKT_PS2_T2_, .Lfunc_end137-_Z17sort_pairs_kernelIxLj128ELj4EN10test_utils4lessELj10EEvPKT_PS2_T2_
                                        ; -- End function
	.set _Z17sort_pairs_kernelIxLj128ELj4EN10test_utils4lessELj10EEvPKT_PS2_T2_.num_vgpr, 87
	.set _Z17sort_pairs_kernelIxLj128ELj4EN10test_utils4lessELj10EEvPKT_PS2_T2_.num_agpr, 0
	.set _Z17sort_pairs_kernelIxLj128ELj4EN10test_utils4lessELj10EEvPKT_PS2_T2_.numbered_sgpr, 44
	.set _Z17sort_pairs_kernelIxLj128ELj4EN10test_utils4lessELj10EEvPKT_PS2_T2_.num_named_barrier, 0
	.set _Z17sort_pairs_kernelIxLj128ELj4EN10test_utils4lessELj10EEvPKT_PS2_T2_.private_seg_size, 0
	.set _Z17sort_pairs_kernelIxLj128ELj4EN10test_utils4lessELj10EEvPKT_PS2_T2_.uses_vcc, 1
	.set _Z17sort_pairs_kernelIxLj128ELj4EN10test_utils4lessELj10EEvPKT_PS2_T2_.uses_flat_scratch, 0
	.set _Z17sort_pairs_kernelIxLj128ELj4EN10test_utils4lessELj10EEvPKT_PS2_T2_.has_dyn_sized_stack, 0
	.set _Z17sort_pairs_kernelIxLj128ELj4EN10test_utils4lessELj10EEvPKT_PS2_T2_.has_recursion, 0
	.set _Z17sort_pairs_kernelIxLj128ELj4EN10test_utils4lessELj10EEvPKT_PS2_T2_.has_indirect_call, 0
	.section	.AMDGPU.csdata,"",@progbits
; Kernel info:
; codeLenInByte = 6764
; TotalNumSgprs: 48
; NumVgprs: 87
; ScratchSize: 0
; MemoryBound: 0
; FloatMode: 240
; IeeeMode: 1
; LDSByteSize: 4104 bytes/workgroup (compile time only)
; SGPRBlocks: 8
; VGPRBlocks: 21
; NumSGPRsForWavesPerEU: 65
; NumVGPRsForWavesPerEU: 87
; Occupancy: 2
; WaveLimiterHint : 1
; COMPUTE_PGM_RSRC2:SCRATCH_EN: 0
; COMPUTE_PGM_RSRC2:USER_SGPR: 6
; COMPUTE_PGM_RSRC2:TRAP_HANDLER: 0
; COMPUTE_PGM_RSRC2:TGID_X_EN: 1
; COMPUTE_PGM_RSRC2:TGID_Y_EN: 0
; COMPUTE_PGM_RSRC2:TGID_Z_EN: 0
; COMPUTE_PGM_RSRC2:TIDIG_COMP_CNT: 0
	.section	.text._Z16sort_keys_kernelIxLj128ELj8EN10test_utils4lessELj10EEvPKT_PS2_T2_,"axG",@progbits,_Z16sort_keys_kernelIxLj128ELj8EN10test_utils4lessELj10EEvPKT_PS2_T2_,comdat
	.protected	_Z16sort_keys_kernelIxLj128ELj8EN10test_utils4lessELj10EEvPKT_PS2_T2_ ; -- Begin function _Z16sort_keys_kernelIxLj128ELj8EN10test_utils4lessELj10EEvPKT_PS2_T2_
	.globl	_Z16sort_keys_kernelIxLj128ELj8EN10test_utils4lessELj10EEvPKT_PS2_T2_
	.p2align	8
	.type	_Z16sort_keys_kernelIxLj128ELj8EN10test_utils4lessELj10EEvPKT_PS2_T2_,@function
_Z16sort_keys_kernelIxLj128ELj8EN10test_utils4lessELj10EEvPKT_PS2_T2_: ; @_Z16sort_keys_kernelIxLj128ELj8EN10test_utils4lessELj10EEvPKT_PS2_T2_
; %bb.0:
	s_load_dwordx4 s[28:31], s[4:5], 0x0
	s_lshl_b32 s34, s6, 10
	s_mov_b32 s35, 0
	s_lshl_b64 s[36:37], s[34:35], 3
	v_lshlrev_b32_e32 v13, 3, v0
	s_waitcnt lgkmcnt(0)
	s_add_u32 s0, s28, s36
	s_addc_u32 s1, s29, s37
	v_mov_b32_e32 v1, s1
	v_add_co_u32_e32 v2, vcc, s0, v13
	v_addc_co_u32_e32 v1, vcc, 0, v1, vcc
	s_movk_i32 s2, 0x1000
	v_add_co_u32_e32 v9, vcc, s2, v2
	v_and_b32_e32 v37, 0x3f0, v13
	v_addc_co_u32_e32 v10, vcc, 0, v1, vcc
	v_or_b32_e32 v38, 8, v37
	v_add_u32_e32 v39, 16, v37
	global_load_dwordx2 v[3:4], v[9:10], off
	global_load_dwordx2 v[5:6], v[9:10], off offset:1024
	global_load_dwordx2 v[1:2], v[9:10], off offset:2048
	;; [unrolled: 1-line block ×3, first 2 shown]
	v_and_b32_e32 v14, 8, v13
	v_sub_u32_e32 v10, v39, v38
	v_sub_u32_e32 v9, v38, v37
	;; [unrolled: 1-line block ×3, first 2 shown]
	v_cmp_ge_i32_e32 vcc, v14, v10
	v_cndmask_b32_e32 v40, 0, v11, vcc
	v_min_i32_e32 v41, v14, v9
	global_load_dwordx2 v[17:18], v13, s[0:1]
	global_load_dwordx2 v[21:22], v13, s[0:1] offset:1024
	global_load_dwordx2 v[9:10], v13, s[0:1] offset:2048
	;; [unrolled: 1-line block ×3, first 2 shown]
	v_and_b32_e32 v43, 0x3e0, v13
	v_or_b32_e32 v44, 16, v43
	v_add_u32_e32 v45, 32, v43
	v_and_b32_e32 v15, 24, v13
	v_sub_u32_e32 v19, v45, v44
	v_and_b32_e32 v49, 0x3c0, v13
	v_sub_u32_e32 v16, v44, v43
	v_sub_u32_e32 v20, v15, v19
	v_cmp_ge_i32_e64 s[0:1], v15, v19
	v_or_b32_e32 v50, 32, v49
	v_add_u32_e32 v51, 64, v49
	v_cndmask_b32_e64 v46, 0, v20, s[0:1]
	v_min_i32_e32 v47, v15, v16
	v_and_b32_e32 v16, 56, v13
	v_sub_u32_e32 v20, v51, v50
	v_and_b32_e32 v55, 0x380, v13
	v_sub_u32_e32 v19, v50, v49
	v_sub_u32_e32 v23, v16, v20
	v_cmp_ge_i32_e64 s[2:3], v16, v20
	v_or_b32_e32 v56, 64, v55
	v_add_u32_e32 v57, 0x80, v55
	v_and_b32_e32 v61, 0x300, v13
	v_cndmask_b32_e64 v52, 0, v23, s[2:3]
	v_min_i32_e32 v53, v16, v19
	v_and_b32_e32 v19, 0x78, v13
	v_sub_u32_e32 v20, v56, v55
	v_sub_u32_e32 v23, v57, v56
	v_or_b32_e32 v62, 0x80, v61
	v_sub_u32_e32 v24, v19, v23
	v_cmp_ge_i32_e64 s[4:5], v19, v23
	v_min_i32_e32 v59, v19, v20
	v_and_b32_e32 v20, 0xf8, v13
	v_sub_u32_e32 v23, v62, v61
	v_mov_b32_e32 v67, 0x200
	v_add_u32_e32 v63, 0x100, v61
	v_min_i32_e32 v65, v20, v23
	v_and_b32_e32 v68, 0x200, v13
	v_and_b32_e32 v23, 0x1f8, v13
	v_sub_u32_e64 v74, v13, v67 clamp
	v_min_i32_e32 v75, 0x200, v13
	v_add_u32_e32 v76, 0x200, v13
	v_lshlrev_b32_e32 v13, 3, v14
	v_cndmask_b32_e64 v58, 0, v24, s[4:5]
	v_sub_u32_e32 v24, v63, v62
	v_lshl_add_u32 v77, v38, 3, v13
	v_lshlrev_b32_e32 v13, 3, v15
	v_sub_u32_e32 v25, v20, v24
	v_cmp_ge_i32_e64 s[6:7], v20, v24
	v_or_b32_e32 v69, 0x100, v68
	v_add_u32_e32 v70, 0x200, v68
	v_lshl_add_u32 v78, v44, 3, v13
	v_lshlrev_b32_e32 v13, 3, v16
	v_cndmask_b32_e64 v64, 0, v25, s[6:7]
	v_sub_u32_e32 v25, v70, v69
	v_lshl_add_u32 v79, v50, 3, v13
	v_lshlrev_b32_e32 v13, 3, v19
	v_sub_u32_e32 v24, v69, v68
	v_sub_u32_e32 v26, v23, v25
	v_cmp_ge_i32_e64 s[8:9], v23, v25
	v_lshl_add_u32 v80, v56, 3, v13
	v_lshlrev_b32_e32 v13, 3, v20
	v_cndmask_b32_e64 v71, 0, v26, s[8:9]
	v_min_i32_e32 v72, v23, v24
	v_lshl_add_u32 v81, v62, 3, v13
	v_lshlrev_b32_e32 v13, 3, v23
	v_lshlrev_b32_e32 v83, 6, v0
	v_cmp_lt_i32_e32 vcc, v40, v41
	v_add_u32_e32 v42, v38, v14
	v_cmp_lt_i32_e64 s[0:1], v46, v47
	v_add_u32_e32 v48, v44, v15
	v_cmp_lt_i32_e64 s[2:3], v52, v53
	;; [unrolled: 2-line block ×6, first 2 shown]
	v_lshl_add_u32 v82, v69, 3, v13
	s_movk_i32 s33, 0x400
	v_lshlrev_b32_e32 v84, 3, v37
	v_lshlrev_b32_e32 v85, 3, v43
	v_lshlrev_b32_e32 v86, 3, v49
	v_lshlrev_b32_e32 v87, 3, v55
	v_lshlrev_b32_e32 v88, 3, v61
	v_lshlrev_b32_e32 v89, 3, v68
	v_add_u32_e32 v90, 0x1000, v83
	s_branch .LBB138_2
.LBB138_1:                              ;   in Loop: Header=BB138_2 Depth=1
	s_or_b64 exec, exec, s[26:27]
	v_cndmask_b32_e64 v22, v6, v8, s[14:15]
	v_cndmask_b32_e64 v21, v5, v7, s[14:15]
	s_waitcnt lgkmcnt(0)
	v_cmp_lt_i64_e64 s[14:15], v[35:36], v[33:34]
	v_cndmask_b32_e64 v10, v10, v12, s[16:17]
	v_cndmask_b32_e64 v9, v9, v11, s[16:17]
	v_cmp_ge_i32_e64 s[16:17], v92, v67
	v_cndmask_b32_e64 v18, v2, v4, s[12:13]
	v_cndmask_b32_e64 v17, v1, v3, s[12:13]
	v_cmp_gt_i32_e64 s[12:13], s33, v91
	s_or_b64 s[14:15], s[16:17], s[14:15]
	s_and_b64 s[12:13], s[12:13], s[14:15]
	s_add_i32 s35, s35, 1
	v_cndmask_b32_e64 v12, v14, v16, s[18:19]
	v_cndmask_b32_e64 v11, v13, v15, s[18:19]
	;; [unrolled: 1-line block ×9, first 2 shown]
	s_cmp_eq_u32 s35, 10
	v_cndmask_b32_e64 v7, v33, v35, s[12:13]
	s_cbranch_scc1 .LBB138_226
.LBB138_2:                              ; =>This Loop Header: Depth=1
                                        ;     Child Loop BB138_4 Depth 2
                                        ;     Child Loop BB138_36 Depth 2
                                        ;     Child Loop BB138_68 Depth 2
                                        ;     Child Loop BB138_100 Depth 2
                                        ;     Child Loop BB138_132 Depth 2
                                        ;     Child Loop BB138_164 Depth 2
                                        ;     Child Loop BB138_196 Depth 2
	s_waitcnt vmcnt(2)
	v_cmp_lt_i64_e64 s[12:13], v[21:22], v[17:18]
	v_cmp_gt_i64_e64 s[14:15], v[21:22], v[17:18]
	v_cndmask_b32_e64 v14, v18, v22, s[12:13]
	v_cndmask_b32_e64 v13, v17, v21, s[12:13]
	;; [unrolled: 1-line block ×5, first 2 shown]
	s_waitcnt vmcnt(0)
	v_cmp_lt_i64_e64 s[12:13], v[11:12], v[9:10]
	v_cndmask_b32_e64 v15, v17, v21, s[14:15]
	v_cmp_gt_i64_e64 s[14:15], v[11:12], v[9:10]
	v_cndmask_b32_e64 v18, v10, v12, s[12:13]
	v_cndmask_b32_e64 v17, v9, v11, s[12:13]
	v_cndmask_b32_e64 v21, v11, v9, s[12:13]
	v_cndmask_b32_e64 v22, v12, v10, s[12:13]
	v_cndmask_b32_e64 v10, v10, v12, s[14:15]
	v_cmp_lt_i64_e64 s[12:13], v[5:6], v[3:4]
	v_cndmask_b32_e64 v9, v9, v11, s[14:15]
	v_cmp_gt_i64_e64 s[14:15], v[5:6], v[3:4]
	v_cndmask_b32_e64 v12, v4, v6, s[12:13]
	v_cndmask_b32_e64 v11, v3, v5, s[12:13]
	v_cndmask_b32_e64 v23, v5, v3, s[12:13]
	v_cndmask_b32_e64 v24, v6, v4, s[12:13]
	v_cndmask_b32_e64 v4, v4, v6, s[14:15]
	;; [unrolled: 8-line block ×4, first 2 shown]
	v_cndmask_b32_e64 v7, v15, v17, s[14:15]
	v_cndmask_b32_e64 v29, v15, v17, s[12:13]
	v_cmp_lt_i64_e64 s[14:15], v[11:12], v[9:10]
	v_cndmask_b32_e64 v30, v16, v18, s[12:13]
	v_cmp_gt_i64_e64 s[12:13], v[11:12], v[9:10]
	v_cndmask_b32_e64 v31, v12, v10, s[14:15]
	v_cndmask_b32_e64 v32, v11, v9, s[14:15]
	;; [unrolled: 1-line block ×8, first 2 shown]
	v_cmp_gt_i64_e64 s[14:15], v[5:6], v[3:4]
	v_cmp_lt_i64_e64 s[12:13], v[5:6], v[3:4]
	v_cndmask_b32_e64 v35, v3, v5, s[14:15]
	v_cndmask_b32_e64 v36, v4, v6, s[14:15]
	v_cmp_lt_i64_e64 s[14:15], v[17:18], v[13:14]
	v_cndmask_b32_e64 v33, v6, v4, s[12:13]
	v_cndmask_b32_e64 v34, v5, v3, s[12:13]
	;; [unrolled: 1-line block ×11, first 2 shown]
	v_cmp_lt_i64_e64 s[12:13], v[9:10], v[7:8]
	v_cndmask_b32_e64 v13, v29, v13, s[14:15]
	v_cmp_gt_i64_e64 s[14:15], v[9:10], v[7:8]
	v_cndmask_b32_e64 v21, v21, v7, s[12:13]
	v_cndmask_b32_e64 v22, v22, v8, s[12:13]
	;; [unrolled: 1-line block ×8, first 2 shown]
	v_cmp_gt_i64_e64 s[12:13], v[5:6], v[15:16]
	v_cmp_lt_i64_e64 s[14:15], v[5:6], v[15:16]
	v_cndmask_b32_e64 v10, v16, v6, s[12:13]
	v_cndmask_b32_e64 v9, v15, v5, s[12:13]
	v_cmp_gt_i64_e64 s[12:13], v[3:4], v[1:2]
	v_cndmask_b32_e64 v23, v23, v15, s[14:15]
	v_cndmask_b32_e64 v24, v24, v16, s[14:15]
	;; [unrolled: 1-line block ×13, first 2 shown]
	v_cmp_lt_i64_e64 s[14:15], v[7:8], v[13:14]
	v_cndmask_b32_e64 v1, v35, v1, s[12:13]
	v_cmp_gt_i64_e64 s[12:13], v[7:8], v[13:14]
	v_cndmask_b32_e64 v27, v27, v14, s[14:15]
	v_cndmask_b32_e64 v28, v28, v13, s[14:15]
	v_cndmask_b32_e64 v20, v20, v8, s[14:15]
	v_cndmask_b32_e64 v19, v19, v7, s[14:15]
	v_cndmask_b32_e64 v16, v14, v8, s[12:13]
	v_cndmask_b32_e64 v15, v13, v7, s[12:13]
	v_cndmask_b32_e64 v8, v14, v8, s[14:15]
	v_cmp_lt_i64_e64 s[12:13], v[5:6], v[17:18]
	v_cndmask_b32_e64 v7, v13, v7, s[14:15]
	v_cmp_gt_i64_e64 s[14:15], v[5:6], v[17:18]
	v_cndmask_b32_e64 v30, v30, v18, s[12:13]
	v_cndmask_b32_e64 v29, v29, v17, s[12:13]
	v_cndmask_b32_e64 v22, v22, v6, s[12:13]
	v_cndmask_b32_e64 v21, v21, v5, s[12:13]
	v_cndmask_b32_e64 v14, v18, v6, s[14:15]
	v_cndmask_b32_e64 v13, v17, v5, s[14:15]
	v_cndmask_b32_e64 v6, v18, v6, s[12:13]
	;; [unrolled: 10-line block ×3, first 2 shown]
	v_cmp_lt_i64_e64 s[12:13], v[7:8], v[11:12]
	v_cndmask_b32_e64 v1, v9, v1, s[14:15]
	v_cmp_gt_i64_e64 s[14:15], v[7:8], v[11:12]
	v_cndmask_b32_e64 v19, v19, v11, s[12:13]
	v_cndmask_b32_e64 v20, v20, v12, s[12:13]
	v_cndmask_b32_e64 v10, v12, v8, s[12:13]
	v_cndmask_b32_e64 v9, v11, v7, s[12:13]
	v_cndmask_b32_e64 v8, v12, v8, s[14:15]
	v_cmp_lt_i64_e64 s[12:13], v[5:6], v[15:16]
	v_cndmask_b32_e64 v7, v11, v7, s[14:15]
	v_cmp_gt_i64_e64 s[14:15], v[5:6], v[15:16]
	v_cndmask_b32_e64 v21, v21, v15, s[12:13]
	v_cndmask_b32_e64 v22, v22, v16, s[12:13]
	v_cndmask_b32_e64 v28, v28, v5, s[12:13]
	v_cndmask_b32_e64 v27, v27, v6, s[12:13]
	v_cndmask_b32_e64 v12, v16, v6, s[14:15]
	v_cndmask_b32_e64 v11, v15, v5, s[14:15]
	v_cndmask_b32_e64 v6, v16, v6, s[12:13]
	v_cmp_lt_i64_e64 s[14:15], v[1:2], v[13:14]
	v_cndmask_b32_e64 v5, v15, v5, s[12:13]
	v_cmp_gt_i64_e64 s[12:13], v[1:2], v[13:14]
	v_cndmask_b32_e64 v23, v23, v13, s[14:15]
	v_cndmask_b32_e64 v24, v24, v14, s[14:15]
	;; [unrolled: 10-line block ×5, first 2 shown]
	v_cndmask_b32_e64 v22, v22, v2, s[12:13]
	v_cndmask_b32_e64 v21, v21, v1, s[12:13]
	;; [unrolled: 1-line block ×6, first 2 shown]
	v_cmp_gt_i64_e64 s[12:13], v[3:4], v[15:16]
	v_cmp_lt_i64_e64 s[14:15], v[3:4], v[15:16]
	v_cndmask_b32_e64 v35, v15, v3, s[12:13]
	v_cndmask_b32_e64 v36, v16, v4, s[12:13]
	v_cmp_lt_i64_e64 s[12:13], v[5:6], v[9:10]
	v_cndmask_b32_e64 v32, v32, v16, s[14:15]
	v_cndmask_b32_e64 v31, v31, v15, s[14:15]
	;; [unrolled: 1-line block ×11, first 2 shown]
	v_cmp_lt_i64_e64 s[14:15], v[1:2], v[17:18]
	v_cndmask_b32_e64 v9, v33, v9, s[12:13]
	v_cmp_gt_i64_e64 s[12:13], v[1:2], v[17:18]
	v_cndmask_b32_e64 v21, v21, v17, s[14:15]
	v_cndmask_b32_e64 v22, v22, v18, s[14:15]
	v_cndmask_b32_e64 v28, v28, v1, s[14:15]
	v_cndmask_b32_e64 v27, v27, v2, s[14:15]
	v_cndmask_b32_e64 v12, v18, v2, s[12:13]
	v_cndmask_b32_e64 v11, v17, v1, s[12:13]
	v_cndmask_b32_e64 v2, v18, v2, s[14:15]
	v_cndmask_b32_e64 v1, v17, v1, s[14:15]
	v_cmp_gt_i64_e64 s[14:15], v[3:4], v[7:8]
	v_cmp_lt_i64_e64 s[12:13], v[3:4], v[7:8]
	v_cndmask_b32_e64 v18, v8, v4, s[14:15]
	v_cndmask_b32_e64 v17, v7, v3, s[14:15]
	v_cmp_gt_i64_e64 s[14:15], v[15:16], v[13:14]
	v_cndmask_b32_e64 v23, v23, v7, s[12:13]
	v_cndmask_b32_e64 v24, v24, v8, s[12:13]
	;; [unrolled: 1-line block ×6, first 2 shown]
	v_cmp_lt_i64_e64 s[12:13], v[1:2], v[9:10]
	v_cndmask_b32_e64 v15, v31, v13, s[14:15]
	v_cndmask_b32_e64 v16, v32, v14, s[14:15]
	;; [unrolled: 1-line block ×9, first 2 shown]
	v_cmp_lt_i64_e64 s[14:15], v[3:4], v[11:12]
	v_cndmask_b32_e64 v1, v19, v1, s[12:13]
	v_cmp_lt_i64_e64 s[12:13], v[13:14], v[17:18]
	v_cndmask_b32_e64 v12, v30, v12, s[14:15]
	v_cndmask_b32_e64 v11, v29, v11, s[14:15]
	;; [unrolled: 1-line block ×8, first 2 shown]
	s_barrier
	ds_write2_b64 v83, v[5:6], v[1:2] offset1:1
	ds_write2_b64 v83, v[9:10], v[3:4] offset0:2 offset1:3
	ds_write2_b64 v83, v[11:12], v[13:14] offset0:4 offset1:5
	ds_write2_b64 v83, v[15:16], v[7:8] offset0:6 offset1:7
	v_mov_b32_e32 v5, v40
	s_waitcnt lgkmcnt(0)
	s_barrier
	s_and_saveexec_b64 s[14:15], vcc
	s_cbranch_execz .LBB138_6
; %bb.3:                                ;   in Loop: Header=BB138_2 Depth=1
	s_mov_b64 s[16:17], 0
	v_mov_b32_e32 v5, v40
	v_mov_b32_e32 v1, v41
.LBB138_4:                              ;   Parent Loop BB138_2 Depth=1
                                        ; =>  This Inner Loop Header: Depth=2
	v_sub_u32_e32 v2, v1, v5
	v_lshrrev_b32_e32 v2, 1, v2
	v_add_u32_e32 v4, v2, v5
	v_not_b32_e32 v3, v4
	v_lshl_add_u32 v2, v4, 3, v84
	v_lshl_add_u32 v6, v3, 3, v77
	ds_read_b64 v[2:3], v2
	ds_read_b64 v[6:7], v6
	v_add_u32_e32 v8, 1, v4
	s_waitcnt lgkmcnt(0)
	v_cmp_lt_i64_e64 s[12:13], v[6:7], v[2:3]
	v_cndmask_b32_e64 v1, v1, v4, s[12:13]
	v_cndmask_b32_e64 v5, v8, v5, s[12:13]
	v_cmp_ge_i32_e64 s[12:13], v5, v1
	s_or_b64 s[16:17], s[12:13], s[16:17]
	s_andn2_b64 exec, exec, s[16:17]
	s_cbranch_execnz .LBB138_4
; %bb.5:                                ;   in Loop: Header=BB138_2 Depth=1
	s_or_b64 exec, exec, s[16:17]
.LBB138_6:                              ;   in Loop: Header=BB138_2 Depth=1
	s_or_b64 exec, exec, s[14:15]
	v_sub_u32_e32 v9, v42, v5
	v_lshl_add_u32 v7, v5, 3, v84
	v_lshlrev_b32_e32 v11, 3, v9
	ds_read_b64 v[1:2], v7
	ds_read_b64 v[3:4], v11
	v_add_u32_e32 v10, v5, v37
	v_cmp_le_i32_e64 s[16:17], v38, v10
	v_cmp_gt_i32_e64 s[12:13], v39, v9
                                        ; implicit-def: $vgpr5_vgpr6
	s_waitcnt lgkmcnt(0)
	v_cmp_lt_i64_e64 s[14:15], v[3:4], v[1:2]
	s_or_b64 s[14:15], s[16:17], s[14:15]
	s_and_b64 s[12:13], s[12:13], s[14:15]
	s_xor_b64 s[14:15], s[12:13], -1
	s_and_saveexec_b64 s[16:17], s[14:15]
	s_xor_b64 s[14:15], exec, s[16:17]
; %bb.7:                                ;   in Loop: Header=BB138_2 Depth=1
	ds_read_b64 v[5:6], v7 offset:8
                                        ; implicit-def: $vgpr11
; %bb.8:                                ;   in Loop: Header=BB138_2 Depth=1
	s_or_saveexec_b64 s[14:15], s[14:15]
	v_mov_b32_e32 v8, v4
	v_mov_b32_e32 v7, v3
	s_xor_b64 exec, exec, s[14:15]
	s_cbranch_execz .LBB138_10
; %bb.9:                                ;   in Loop: Header=BB138_2 Depth=1
	ds_read_b64 v[7:8], v11 offset:8
	s_waitcnt lgkmcnt(1)
	v_mov_b32_e32 v6, v2
	v_mov_b32_e32 v5, v1
.LBB138_10:                             ;   in Loop: Header=BB138_2 Depth=1
	s_or_b64 exec, exec, s[14:15]
	v_add_u32_e32 v12, 1, v10
	v_add_u32_e32 v11, 1, v9
	v_cndmask_b32_e64 v14, v12, v10, s[12:13]
	s_waitcnt lgkmcnt(0)
	v_cmp_lt_i64_e64 s[16:17], v[7:8], v[5:6]
	v_cndmask_b32_e64 v13, v9, v11, s[12:13]
	v_cmp_ge_i32_e64 s[18:19], v14, v38
	v_cmp_lt_i32_e64 s[14:15], v13, v39
	s_or_b64 s[16:17], s[18:19], s[16:17]
	s_and_b64 s[14:15], s[14:15], s[16:17]
	s_xor_b64 s[16:17], s[14:15], -1
                                        ; implicit-def: $vgpr9_vgpr10
	s_and_saveexec_b64 s[18:19], s[16:17]
	s_xor_b64 s[16:17], exec, s[18:19]
; %bb.11:                               ;   in Loop: Header=BB138_2 Depth=1
	v_lshlrev_b32_e32 v9, 3, v14
	ds_read_b64 v[9:10], v9 offset:8
; %bb.12:                               ;   in Loop: Header=BB138_2 Depth=1
	s_or_saveexec_b64 s[16:17], s[16:17]
	v_mov_b32_e32 v12, v8
	v_mov_b32_e32 v11, v7
	s_xor_b64 exec, exec, s[16:17]
	s_cbranch_execz .LBB138_14
; %bb.13:                               ;   in Loop: Header=BB138_2 Depth=1
	s_waitcnt lgkmcnt(0)
	v_lshlrev_b32_e32 v9, 3, v13
	ds_read_b64 v[11:12], v9 offset:8
	v_mov_b32_e32 v10, v6
	v_mov_b32_e32 v9, v5
.LBB138_14:                             ;   in Loop: Header=BB138_2 Depth=1
	s_or_b64 exec, exec, s[16:17]
	v_add_u32_e32 v16, 1, v14
	v_add_u32_e32 v15, 1, v13
	v_cndmask_b32_e64 v18, v16, v14, s[14:15]
	s_waitcnt lgkmcnt(0)
	v_cmp_lt_i64_e64 s[18:19], v[11:12], v[9:10]
	v_cndmask_b32_e64 v17, v13, v15, s[14:15]
	v_cmp_ge_i32_e64 s[20:21], v18, v38
	v_cmp_lt_i32_e64 s[16:17], v17, v39
	s_or_b64 s[18:19], s[20:21], s[18:19]
	s_and_b64 s[16:17], s[16:17], s[18:19]
	s_xor_b64 s[18:19], s[16:17], -1
                                        ; implicit-def: $vgpr13_vgpr14
	s_and_saveexec_b64 s[20:21], s[18:19]
	s_xor_b64 s[18:19], exec, s[20:21]
; %bb.15:                               ;   in Loop: Header=BB138_2 Depth=1
	v_lshlrev_b32_e32 v13, 3, v18
	ds_read_b64 v[13:14], v13 offset:8
; %bb.16:                               ;   in Loop: Header=BB138_2 Depth=1
	s_or_saveexec_b64 s[18:19], s[18:19]
	v_mov_b32_e32 v16, v12
	v_mov_b32_e32 v15, v11
	s_xor_b64 exec, exec, s[18:19]
	s_cbranch_execz .LBB138_18
; %bb.17:                               ;   in Loop: Header=BB138_2 Depth=1
	s_waitcnt lgkmcnt(0)
	v_lshlrev_b32_e32 v13, 3, v17
	ds_read_b64 v[15:16], v13 offset:8
	v_mov_b32_e32 v14, v10
	v_mov_b32_e32 v13, v9
.LBB138_18:                             ;   in Loop: Header=BB138_2 Depth=1
	s_or_b64 exec, exec, s[18:19]
	v_add_u32_e32 v20, 1, v18
	v_add_u32_e32 v19, 1, v17
	v_cndmask_b32_e64 v22, v20, v18, s[16:17]
	s_waitcnt lgkmcnt(0)
	v_cmp_lt_i64_e64 s[20:21], v[15:16], v[13:14]
	v_cndmask_b32_e64 v21, v17, v19, s[16:17]
	v_cmp_ge_i32_e64 s[22:23], v22, v38
	v_cmp_lt_i32_e64 s[18:19], v21, v39
	s_or_b64 s[20:21], s[22:23], s[20:21]
	s_and_b64 s[18:19], s[18:19], s[20:21]
	s_xor_b64 s[20:21], s[18:19], -1
                                        ; implicit-def: $vgpr17_vgpr18
	s_and_saveexec_b64 s[22:23], s[20:21]
	s_xor_b64 s[20:21], exec, s[22:23]
; %bb.19:                               ;   in Loop: Header=BB138_2 Depth=1
	v_lshlrev_b32_e32 v17, 3, v22
	ds_read_b64 v[17:18], v17 offset:8
; %bb.20:                               ;   in Loop: Header=BB138_2 Depth=1
	s_or_saveexec_b64 s[20:21], s[20:21]
	v_mov_b32_e32 v20, v16
	v_mov_b32_e32 v19, v15
	s_xor_b64 exec, exec, s[20:21]
	s_cbranch_execz .LBB138_22
; %bb.21:                               ;   in Loop: Header=BB138_2 Depth=1
	s_waitcnt lgkmcnt(0)
	v_lshlrev_b32_e32 v17, 3, v21
	ds_read_b64 v[19:20], v17 offset:8
	v_mov_b32_e32 v18, v14
	v_mov_b32_e32 v17, v13
.LBB138_22:                             ;   in Loop: Header=BB138_2 Depth=1
	s_or_b64 exec, exec, s[20:21]
	v_add_u32_e32 v24, 1, v22
	v_add_u32_e32 v23, 1, v21
	v_cndmask_b32_e64 v26, v24, v22, s[18:19]
	s_waitcnt lgkmcnt(0)
	v_cmp_lt_i64_e64 s[22:23], v[19:20], v[17:18]
	v_cndmask_b32_e64 v25, v21, v23, s[18:19]
	v_cmp_ge_i32_e64 s[24:25], v26, v38
	v_cmp_lt_i32_e64 s[20:21], v25, v39
	s_or_b64 s[22:23], s[24:25], s[22:23]
	s_and_b64 s[20:21], s[20:21], s[22:23]
	s_xor_b64 s[22:23], s[20:21], -1
                                        ; implicit-def: $vgpr21_vgpr22
	s_and_saveexec_b64 s[24:25], s[22:23]
	s_xor_b64 s[22:23], exec, s[24:25]
; %bb.23:                               ;   in Loop: Header=BB138_2 Depth=1
	v_lshlrev_b32_e32 v21, 3, v26
	ds_read_b64 v[21:22], v21 offset:8
; %bb.24:                               ;   in Loop: Header=BB138_2 Depth=1
	s_or_saveexec_b64 s[22:23], s[22:23]
	v_mov_b32_e32 v24, v20
	v_mov_b32_e32 v23, v19
	s_xor_b64 exec, exec, s[22:23]
	s_cbranch_execz .LBB138_26
; %bb.25:                               ;   in Loop: Header=BB138_2 Depth=1
	s_waitcnt lgkmcnt(0)
	v_lshlrev_b32_e32 v21, 3, v25
	ds_read_b64 v[23:24], v21 offset:8
	v_mov_b32_e32 v22, v18
	v_mov_b32_e32 v21, v17
.LBB138_26:                             ;   in Loop: Header=BB138_2 Depth=1
	s_or_b64 exec, exec, s[22:23]
	v_add_u32_e32 v28, 1, v26
	v_add_u32_e32 v27, 1, v25
	v_cndmask_b32_e64 v30, v28, v26, s[20:21]
	s_waitcnt lgkmcnt(0)
	v_cmp_lt_i64_e64 s[24:25], v[23:24], v[21:22]
	v_cndmask_b32_e64 v29, v25, v27, s[20:21]
	v_cmp_ge_i32_e64 s[26:27], v30, v38
	v_cmp_lt_i32_e64 s[22:23], v29, v39
	s_or_b64 s[24:25], s[26:27], s[24:25]
	s_and_b64 s[22:23], s[22:23], s[24:25]
	s_xor_b64 s[24:25], s[22:23], -1
                                        ; implicit-def: $vgpr25_vgpr26
	s_and_saveexec_b64 s[26:27], s[24:25]
	s_xor_b64 s[24:25], exec, s[26:27]
; %bb.27:                               ;   in Loop: Header=BB138_2 Depth=1
	v_lshlrev_b32_e32 v25, 3, v30
	ds_read_b64 v[25:26], v25 offset:8
; %bb.28:                               ;   in Loop: Header=BB138_2 Depth=1
	s_or_saveexec_b64 s[24:25], s[24:25]
	v_mov_b32_e32 v28, v24
	v_mov_b32_e32 v27, v23
	s_xor_b64 exec, exec, s[24:25]
	s_cbranch_execz .LBB138_30
; %bb.29:                               ;   in Loop: Header=BB138_2 Depth=1
	s_waitcnt lgkmcnt(0)
	v_lshlrev_b32_e32 v25, 3, v29
	ds_read_b64 v[27:28], v25 offset:8
	v_mov_b32_e32 v26, v22
	v_mov_b32_e32 v25, v21
.LBB138_30:                             ;   in Loop: Header=BB138_2 Depth=1
	s_or_b64 exec, exec, s[24:25]
	v_add_u32_e32 v32, 1, v30
	v_add_u32_e32 v31, 1, v29
	v_cndmask_b32_e64 v34, v32, v30, s[22:23]
	s_waitcnt lgkmcnt(0)
	v_cmp_lt_i64_e64 s[26:27], v[27:28], v[25:26]
	v_cndmask_b32_e64 v33, v29, v31, s[22:23]
	v_cmp_ge_i32_e64 s[28:29], v34, v38
	v_cmp_lt_i32_e64 s[24:25], v33, v39
	s_or_b64 s[26:27], s[28:29], s[26:27]
	s_and_b64 s[24:25], s[24:25], s[26:27]
	s_xor_b64 s[26:27], s[24:25], -1
                                        ; implicit-def: $vgpr29_vgpr30
	s_and_saveexec_b64 s[28:29], s[26:27]
	s_xor_b64 s[26:27], exec, s[28:29]
; %bb.31:                               ;   in Loop: Header=BB138_2 Depth=1
	v_lshlrev_b32_e32 v29, 3, v34
	ds_read_b64 v[29:30], v29 offset:8
; %bb.32:                               ;   in Loop: Header=BB138_2 Depth=1
	s_or_saveexec_b64 s[26:27], s[26:27]
	v_mov_b32_e32 v32, v28
	v_mov_b32_e32 v31, v27
	s_xor_b64 exec, exec, s[26:27]
	s_cbranch_execz .LBB138_34
; %bb.33:                               ;   in Loop: Header=BB138_2 Depth=1
	s_waitcnt lgkmcnt(0)
	v_lshlrev_b32_e32 v29, 3, v33
	ds_read_b64 v[31:32], v29 offset:8
	v_mov_b32_e32 v30, v26
	v_mov_b32_e32 v29, v25
.LBB138_34:                             ;   in Loop: Header=BB138_2 Depth=1
	s_or_b64 exec, exec, s[26:27]
	v_cndmask_b32_e64 v26, v26, v28, s[24:25]
	v_add_u32_e32 v28, 1, v34
	v_cndmask_b32_e64 v25, v25, v27, s[24:25]
	v_add_u32_e32 v27, 1, v33
	v_cndmask_b32_e64 v28, v28, v34, s[24:25]
	v_cndmask_b32_e64 v6, v6, v8, s[14:15]
	;; [unrolled: 1-line block ×3, first 2 shown]
	s_waitcnt lgkmcnt(0)
	v_cmp_lt_i64_e64 s[14:15], v[31:32], v[29:30]
	v_cndmask_b32_e64 v27, v33, v27, s[24:25]
	v_cndmask_b32_e64 v10, v10, v12, s[16:17]
	;; [unrolled: 1-line block ×3, first 2 shown]
	v_cmp_ge_i32_e64 s[16:17], v28, v38
	v_cndmask_b32_e64 v2, v2, v4, s[12:13]
	v_cndmask_b32_e64 v1, v1, v3, s[12:13]
	v_cmp_lt_i32_e64 s[12:13], v27, v39
	s_or_b64 s[14:15], s[16:17], s[14:15]
	s_and_b64 s[12:13], s[12:13], s[14:15]
	v_cndmask_b32_e64 v22, v22, v24, s[22:23]
	v_cndmask_b32_e64 v21, v21, v23, s[22:23]
	;; [unrolled: 1-line block ×8, first 2 shown]
	s_barrier
	ds_write2_b64 v83, v[1:2], v[5:6] offset1:1
	ds_write2_b64 v83, v[9:10], v[13:14] offset0:2 offset1:3
	ds_write2_b64 v83, v[17:18], v[21:22] offset0:4 offset1:5
	;; [unrolled: 1-line block ×3, first 2 shown]
	v_mov_b32_e32 v5, v46
	s_waitcnt lgkmcnt(0)
	s_barrier
	s_and_saveexec_b64 s[14:15], s[0:1]
	s_cbranch_execz .LBB138_38
; %bb.35:                               ;   in Loop: Header=BB138_2 Depth=1
	s_mov_b64 s[16:17], 0
	v_mov_b32_e32 v5, v46
	v_mov_b32_e32 v1, v47
.LBB138_36:                             ;   Parent Loop BB138_2 Depth=1
                                        ; =>  This Inner Loop Header: Depth=2
	v_sub_u32_e32 v2, v1, v5
	v_lshrrev_b32_e32 v2, 1, v2
	v_add_u32_e32 v4, v2, v5
	v_not_b32_e32 v3, v4
	v_lshl_add_u32 v2, v4, 3, v85
	v_lshl_add_u32 v6, v3, 3, v78
	ds_read_b64 v[2:3], v2
	ds_read_b64 v[6:7], v6
	v_add_u32_e32 v8, 1, v4
	s_waitcnt lgkmcnt(0)
	v_cmp_lt_i64_e64 s[12:13], v[6:7], v[2:3]
	v_cndmask_b32_e64 v1, v1, v4, s[12:13]
	v_cndmask_b32_e64 v5, v8, v5, s[12:13]
	v_cmp_ge_i32_e64 s[12:13], v5, v1
	s_or_b64 s[16:17], s[12:13], s[16:17]
	s_andn2_b64 exec, exec, s[16:17]
	s_cbranch_execnz .LBB138_36
; %bb.37:                               ;   in Loop: Header=BB138_2 Depth=1
	s_or_b64 exec, exec, s[16:17]
.LBB138_38:                             ;   in Loop: Header=BB138_2 Depth=1
	s_or_b64 exec, exec, s[14:15]
	v_sub_u32_e32 v9, v48, v5
	v_lshl_add_u32 v7, v5, 3, v85
	v_lshlrev_b32_e32 v11, 3, v9
	ds_read_b64 v[1:2], v7
	ds_read_b64 v[3:4], v11
	v_add_u32_e32 v10, v5, v43
	v_cmp_le_i32_e64 s[16:17], v44, v10
	v_cmp_gt_i32_e64 s[12:13], v45, v9
                                        ; implicit-def: $vgpr5_vgpr6
	s_waitcnt lgkmcnt(0)
	v_cmp_lt_i64_e64 s[14:15], v[3:4], v[1:2]
	s_or_b64 s[14:15], s[16:17], s[14:15]
	s_and_b64 s[12:13], s[12:13], s[14:15]
	s_xor_b64 s[14:15], s[12:13], -1
	s_and_saveexec_b64 s[16:17], s[14:15]
	s_xor_b64 s[14:15], exec, s[16:17]
; %bb.39:                               ;   in Loop: Header=BB138_2 Depth=1
	ds_read_b64 v[5:6], v7 offset:8
                                        ; implicit-def: $vgpr11
; %bb.40:                               ;   in Loop: Header=BB138_2 Depth=1
	s_or_saveexec_b64 s[14:15], s[14:15]
	v_mov_b32_e32 v8, v4
	v_mov_b32_e32 v7, v3
	s_xor_b64 exec, exec, s[14:15]
	s_cbranch_execz .LBB138_42
; %bb.41:                               ;   in Loop: Header=BB138_2 Depth=1
	ds_read_b64 v[7:8], v11 offset:8
	s_waitcnt lgkmcnt(1)
	v_mov_b32_e32 v6, v2
	v_mov_b32_e32 v5, v1
.LBB138_42:                             ;   in Loop: Header=BB138_2 Depth=1
	s_or_b64 exec, exec, s[14:15]
	v_add_u32_e32 v12, 1, v10
	v_add_u32_e32 v11, 1, v9
	v_cndmask_b32_e64 v14, v12, v10, s[12:13]
	s_waitcnt lgkmcnt(0)
	v_cmp_lt_i64_e64 s[16:17], v[7:8], v[5:6]
	v_cndmask_b32_e64 v13, v9, v11, s[12:13]
	v_cmp_ge_i32_e64 s[18:19], v14, v44
	v_cmp_lt_i32_e64 s[14:15], v13, v45
	s_or_b64 s[16:17], s[18:19], s[16:17]
	s_and_b64 s[14:15], s[14:15], s[16:17]
	s_xor_b64 s[16:17], s[14:15], -1
                                        ; implicit-def: $vgpr9_vgpr10
	s_and_saveexec_b64 s[18:19], s[16:17]
	s_xor_b64 s[16:17], exec, s[18:19]
; %bb.43:                               ;   in Loop: Header=BB138_2 Depth=1
	v_lshlrev_b32_e32 v9, 3, v14
	ds_read_b64 v[9:10], v9 offset:8
; %bb.44:                               ;   in Loop: Header=BB138_2 Depth=1
	s_or_saveexec_b64 s[16:17], s[16:17]
	v_mov_b32_e32 v12, v8
	v_mov_b32_e32 v11, v7
	s_xor_b64 exec, exec, s[16:17]
	s_cbranch_execz .LBB138_46
; %bb.45:                               ;   in Loop: Header=BB138_2 Depth=1
	s_waitcnt lgkmcnt(0)
	v_lshlrev_b32_e32 v9, 3, v13
	ds_read_b64 v[11:12], v9 offset:8
	v_mov_b32_e32 v10, v6
	v_mov_b32_e32 v9, v5
.LBB138_46:                             ;   in Loop: Header=BB138_2 Depth=1
	s_or_b64 exec, exec, s[16:17]
	v_add_u32_e32 v16, 1, v14
	v_add_u32_e32 v15, 1, v13
	v_cndmask_b32_e64 v18, v16, v14, s[14:15]
	s_waitcnt lgkmcnt(0)
	v_cmp_lt_i64_e64 s[18:19], v[11:12], v[9:10]
	v_cndmask_b32_e64 v17, v13, v15, s[14:15]
	v_cmp_ge_i32_e64 s[20:21], v18, v44
	v_cmp_lt_i32_e64 s[16:17], v17, v45
	s_or_b64 s[18:19], s[20:21], s[18:19]
	s_and_b64 s[16:17], s[16:17], s[18:19]
	s_xor_b64 s[18:19], s[16:17], -1
                                        ; implicit-def: $vgpr13_vgpr14
	s_and_saveexec_b64 s[20:21], s[18:19]
	s_xor_b64 s[18:19], exec, s[20:21]
; %bb.47:                               ;   in Loop: Header=BB138_2 Depth=1
	v_lshlrev_b32_e32 v13, 3, v18
	ds_read_b64 v[13:14], v13 offset:8
; %bb.48:                               ;   in Loop: Header=BB138_2 Depth=1
	s_or_saveexec_b64 s[18:19], s[18:19]
	v_mov_b32_e32 v16, v12
	v_mov_b32_e32 v15, v11
	s_xor_b64 exec, exec, s[18:19]
	s_cbranch_execz .LBB138_50
; %bb.49:                               ;   in Loop: Header=BB138_2 Depth=1
	s_waitcnt lgkmcnt(0)
	v_lshlrev_b32_e32 v13, 3, v17
	ds_read_b64 v[15:16], v13 offset:8
	v_mov_b32_e32 v14, v10
	v_mov_b32_e32 v13, v9
.LBB138_50:                             ;   in Loop: Header=BB138_2 Depth=1
	s_or_b64 exec, exec, s[18:19]
	v_add_u32_e32 v20, 1, v18
	v_add_u32_e32 v19, 1, v17
	v_cndmask_b32_e64 v22, v20, v18, s[16:17]
	s_waitcnt lgkmcnt(0)
	v_cmp_lt_i64_e64 s[20:21], v[15:16], v[13:14]
	v_cndmask_b32_e64 v21, v17, v19, s[16:17]
	v_cmp_ge_i32_e64 s[22:23], v22, v44
	v_cmp_lt_i32_e64 s[18:19], v21, v45
	s_or_b64 s[20:21], s[22:23], s[20:21]
	s_and_b64 s[18:19], s[18:19], s[20:21]
	s_xor_b64 s[20:21], s[18:19], -1
                                        ; implicit-def: $vgpr17_vgpr18
	s_and_saveexec_b64 s[22:23], s[20:21]
	s_xor_b64 s[20:21], exec, s[22:23]
; %bb.51:                               ;   in Loop: Header=BB138_2 Depth=1
	v_lshlrev_b32_e32 v17, 3, v22
	ds_read_b64 v[17:18], v17 offset:8
; %bb.52:                               ;   in Loop: Header=BB138_2 Depth=1
	s_or_saveexec_b64 s[20:21], s[20:21]
	v_mov_b32_e32 v20, v16
	v_mov_b32_e32 v19, v15
	s_xor_b64 exec, exec, s[20:21]
	s_cbranch_execz .LBB138_54
; %bb.53:                               ;   in Loop: Header=BB138_2 Depth=1
	s_waitcnt lgkmcnt(0)
	v_lshlrev_b32_e32 v17, 3, v21
	ds_read_b64 v[19:20], v17 offset:8
	v_mov_b32_e32 v18, v14
	v_mov_b32_e32 v17, v13
.LBB138_54:                             ;   in Loop: Header=BB138_2 Depth=1
	s_or_b64 exec, exec, s[20:21]
	v_add_u32_e32 v24, 1, v22
	v_add_u32_e32 v23, 1, v21
	v_cndmask_b32_e64 v26, v24, v22, s[18:19]
	s_waitcnt lgkmcnt(0)
	v_cmp_lt_i64_e64 s[22:23], v[19:20], v[17:18]
	v_cndmask_b32_e64 v25, v21, v23, s[18:19]
	v_cmp_ge_i32_e64 s[24:25], v26, v44
	v_cmp_lt_i32_e64 s[20:21], v25, v45
	s_or_b64 s[22:23], s[24:25], s[22:23]
	s_and_b64 s[20:21], s[20:21], s[22:23]
	s_xor_b64 s[22:23], s[20:21], -1
                                        ; implicit-def: $vgpr21_vgpr22
	s_and_saveexec_b64 s[24:25], s[22:23]
	s_xor_b64 s[22:23], exec, s[24:25]
; %bb.55:                               ;   in Loop: Header=BB138_2 Depth=1
	v_lshlrev_b32_e32 v21, 3, v26
	ds_read_b64 v[21:22], v21 offset:8
; %bb.56:                               ;   in Loop: Header=BB138_2 Depth=1
	s_or_saveexec_b64 s[22:23], s[22:23]
	v_mov_b32_e32 v24, v20
	v_mov_b32_e32 v23, v19
	s_xor_b64 exec, exec, s[22:23]
	s_cbranch_execz .LBB138_58
; %bb.57:                               ;   in Loop: Header=BB138_2 Depth=1
	s_waitcnt lgkmcnt(0)
	v_lshlrev_b32_e32 v21, 3, v25
	ds_read_b64 v[23:24], v21 offset:8
	v_mov_b32_e32 v22, v18
	v_mov_b32_e32 v21, v17
.LBB138_58:                             ;   in Loop: Header=BB138_2 Depth=1
	s_or_b64 exec, exec, s[22:23]
	v_add_u32_e32 v28, 1, v26
	v_add_u32_e32 v27, 1, v25
	v_cndmask_b32_e64 v30, v28, v26, s[20:21]
	s_waitcnt lgkmcnt(0)
	v_cmp_lt_i64_e64 s[24:25], v[23:24], v[21:22]
	v_cndmask_b32_e64 v29, v25, v27, s[20:21]
	v_cmp_ge_i32_e64 s[26:27], v30, v44
	v_cmp_lt_i32_e64 s[22:23], v29, v45
	s_or_b64 s[24:25], s[26:27], s[24:25]
	s_and_b64 s[22:23], s[22:23], s[24:25]
	s_xor_b64 s[24:25], s[22:23], -1
                                        ; implicit-def: $vgpr25_vgpr26
	s_and_saveexec_b64 s[26:27], s[24:25]
	s_xor_b64 s[24:25], exec, s[26:27]
; %bb.59:                               ;   in Loop: Header=BB138_2 Depth=1
	v_lshlrev_b32_e32 v25, 3, v30
	ds_read_b64 v[25:26], v25 offset:8
; %bb.60:                               ;   in Loop: Header=BB138_2 Depth=1
	s_or_saveexec_b64 s[24:25], s[24:25]
	v_mov_b32_e32 v28, v24
	v_mov_b32_e32 v27, v23
	s_xor_b64 exec, exec, s[24:25]
	s_cbranch_execz .LBB138_62
; %bb.61:                               ;   in Loop: Header=BB138_2 Depth=1
	s_waitcnt lgkmcnt(0)
	v_lshlrev_b32_e32 v25, 3, v29
	ds_read_b64 v[27:28], v25 offset:8
	v_mov_b32_e32 v26, v22
	v_mov_b32_e32 v25, v21
.LBB138_62:                             ;   in Loop: Header=BB138_2 Depth=1
	s_or_b64 exec, exec, s[24:25]
	v_add_u32_e32 v32, 1, v30
	v_add_u32_e32 v31, 1, v29
	v_cndmask_b32_e64 v34, v32, v30, s[22:23]
	s_waitcnt lgkmcnt(0)
	v_cmp_lt_i64_e64 s[26:27], v[27:28], v[25:26]
	v_cndmask_b32_e64 v33, v29, v31, s[22:23]
	v_cmp_ge_i32_e64 s[28:29], v34, v44
	v_cmp_lt_i32_e64 s[24:25], v33, v45
	s_or_b64 s[26:27], s[28:29], s[26:27]
	s_and_b64 s[24:25], s[24:25], s[26:27]
	s_xor_b64 s[26:27], s[24:25], -1
                                        ; implicit-def: $vgpr29_vgpr30
	s_and_saveexec_b64 s[28:29], s[26:27]
	s_xor_b64 s[26:27], exec, s[28:29]
; %bb.63:                               ;   in Loop: Header=BB138_2 Depth=1
	v_lshlrev_b32_e32 v29, 3, v34
	ds_read_b64 v[29:30], v29 offset:8
; %bb.64:                               ;   in Loop: Header=BB138_2 Depth=1
	s_or_saveexec_b64 s[26:27], s[26:27]
	v_mov_b32_e32 v32, v28
	v_mov_b32_e32 v31, v27
	s_xor_b64 exec, exec, s[26:27]
	s_cbranch_execz .LBB138_66
; %bb.65:                               ;   in Loop: Header=BB138_2 Depth=1
	s_waitcnt lgkmcnt(0)
	v_lshlrev_b32_e32 v29, 3, v33
	ds_read_b64 v[31:32], v29 offset:8
	v_mov_b32_e32 v30, v26
	v_mov_b32_e32 v29, v25
.LBB138_66:                             ;   in Loop: Header=BB138_2 Depth=1
	s_or_b64 exec, exec, s[26:27]
	v_cndmask_b32_e64 v26, v26, v28, s[24:25]
	v_add_u32_e32 v28, 1, v34
	v_cndmask_b32_e64 v25, v25, v27, s[24:25]
	v_add_u32_e32 v27, 1, v33
	v_cndmask_b32_e64 v28, v28, v34, s[24:25]
	v_cndmask_b32_e64 v6, v6, v8, s[14:15]
	v_cndmask_b32_e64 v5, v5, v7, s[14:15]
	s_waitcnt lgkmcnt(0)
	v_cmp_lt_i64_e64 s[14:15], v[31:32], v[29:30]
	v_cndmask_b32_e64 v27, v33, v27, s[24:25]
	v_cndmask_b32_e64 v10, v10, v12, s[16:17]
	;; [unrolled: 1-line block ×3, first 2 shown]
	v_cmp_ge_i32_e64 s[16:17], v28, v44
	v_cndmask_b32_e64 v2, v2, v4, s[12:13]
	v_cndmask_b32_e64 v1, v1, v3, s[12:13]
	v_cmp_lt_i32_e64 s[12:13], v27, v45
	s_or_b64 s[14:15], s[16:17], s[14:15]
	s_and_b64 s[12:13], s[12:13], s[14:15]
	v_cndmask_b32_e64 v22, v22, v24, s[22:23]
	v_cndmask_b32_e64 v21, v21, v23, s[22:23]
	;; [unrolled: 1-line block ×8, first 2 shown]
	s_barrier
	ds_write2_b64 v83, v[1:2], v[5:6] offset1:1
	ds_write2_b64 v83, v[9:10], v[13:14] offset0:2 offset1:3
	ds_write2_b64 v83, v[17:18], v[21:22] offset0:4 offset1:5
	;; [unrolled: 1-line block ×3, first 2 shown]
	v_mov_b32_e32 v5, v52
	s_waitcnt lgkmcnt(0)
	s_barrier
	s_and_saveexec_b64 s[14:15], s[2:3]
	s_cbranch_execz .LBB138_70
; %bb.67:                               ;   in Loop: Header=BB138_2 Depth=1
	s_mov_b64 s[16:17], 0
	v_mov_b32_e32 v5, v52
	v_mov_b32_e32 v1, v53
.LBB138_68:                             ;   Parent Loop BB138_2 Depth=1
                                        ; =>  This Inner Loop Header: Depth=2
	v_sub_u32_e32 v2, v1, v5
	v_lshrrev_b32_e32 v2, 1, v2
	v_add_u32_e32 v4, v2, v5
	v_not_b32_e32 v3, v4
	v_lshl_add_u32 v2, v4, 3, v86
	v_lshl_add_u32 v6, v3, 3, v79
	ds_read_b64 v[2:3], v2
	ds_read_b64 v[6:7], v6
	v_add_u32_e32 v8, 1, v4
	s_waitcnt lgkmcnt(0)
	v_cmp_lt_i64_e64 s[12:13], v[6:7], v[2:3]
	v_cndmask_b32_e64 v1, v1, v4, s[12:13]
	v_cndmask_b32_e64 v5, v8, v5, s[12:13]
	v_cmp_ge_i32_e64 s[12:13], v5, v1
	s_or_b64 s[16:17], s[12:13], s[16:17]
	s_andn2_b64 exec, exec, s[16:17]
	s_cbranch_execnz .LBB138_68
; %bb.69:                               ;   in Loop: Header=BB138_2 Depth=1
	s_or_b64 exec, exec, s[16:17]
.LBB138_70:                             ;   in Loop: Header=BB138_2 Depth=1
	s_or_b64 exec, exec, s[14:15]
	v_sub_u32_e32 v9, v54, v5
	v_lshl_add_u32 v7, v5, 3, v86
	v_lshlrev_b32_e32 v11, 3, v9
	ds_read_b64 v[1:2], v7
	ds_read_b64 v[3:4], v11
	v_add_u32_e32 v10, v5, v49
	v_cmp_le_i32_e64 s[16:17], v50, v10
	v_cmp_gt_i32_e64 s[12:13], v51, v9
                                        ; implicit-def: $vgpr5_vgpr6
	s_waitcnt lgkmcnt(0)
	v_cmp_lt_i64_e64 s[14:15], v[3:4], v[1:2]
	s_or_b64 s[14:15], s[16:17], s[14:15]
	s_and_b64 s[12:13], s[12:13], s[14:15]
	s_xor_b64 s[14:15], s[12:13], -1
	s_and_saveexec_b64 s[16:17], s[14:15]
	s_xor_b64 s[14:15], exec, s[16:17]
; %bb.71:                               ;   in Loop: Header=BB138_2 Depth=1
	ds_read_b64 v[5:6], v7 offset:8
                                        ; implicit-def: $vgpr11
; %bb.72:                               ;   in Loop: Header=BB138_2 Depth=1
	s_or_saveexec_b64 s[14:15], s[14:15]
	v_mov_b32_e32 v8, v4
	v_mov_b32_e32 v7, v3
	s_xor_b64 exec, exec, s[14:15]
	s_cbranch_execz .LBB138_74
; %bb.73:                               ;   in Loop: Header=BB138_2 Depth=1
	ds_read_b64 v[7:8], v11 offset:8
	s_waitcnt lgkmcnt(1)
	v_mov_b32_e32 v6, v2
	v_mov_b32_e32 v5, v1
.LBB138_74:                             ;   in Loop: Header=BB138_2 Depth=1
	s_or_b64 exec, exec, s[14:15]
	v_add_u32_e32 v12, 1, v10
	v_add_u32_e32 v11, 1, v9
	v_cndmask_b32_e64 v14, v12, v10, s[12:13]
	s_waitcnt lgkmcnt(0)
	v_cmp_lt_i64_e64 s[16:17], v[7:8], v[5:6]
	v_cndmask_b32_e64 v13, v9, v11, s[12:13]
	v_cmp_ge_i32_e64 s[18:19], v14, v50
	v_cmp_lt_i32_e64 s[14:15], v13, v51
	s_or_b64 s[16:17], s[18:19], s[16:17]
	s_and_b64 s[14:15], s[14:15], s[16:17]
	s_xor_b64 s[16:17], s[14:15], -1
                                        ; implicit-def: $vgpr9_vgpr10
	s_and_saveexec_b64 s[18:19], s[16:17]
	s_xor_b64 s[16:17], exec, s[18:19]
; %bb.75:                               ;   in Loop: Header=BB138_2 Depth=1
	v_lshlrev_b32_e32 v9, 3, v14
	ds_read_b64 v[9:10], v9 offset:8
; %bb.76:                               ;   in Loop: Header=BB138_2 Depth=1
	s_or_saveexec_b64 s[16:17], s[16:17]
	v_mov_b32_e32 v12, v8
	v_mov_b32_e32 v11, v7
	s_xor_b64 exec, exec, s[16:17]
	s_cbranch_execz .LBB138_78
; %bb.77:                               ;   in Loop: Header=BB138_2 Depth=1
	s_waitcnt lgkmcnt(0)
	v_lshlrev_b32_e32 v9, 3, v13
	ds_read_b64 v[11:12], v9 offset:8
	v_mov_b32_e32 v10, v6
	v_mov_b32_e32 v9, v5
.LBB138_78:                             ;   in Loop: Header=BB138_2 Depth=1
	s_or_b64 exec, exec, s[16:17]
	v_add_u32_e32 v16, 1, v14
	v_add_u32_e32 v15, 1, v13
	v_cndmask_b32_e64 v18, v16, v14, s[14:15]
	s_waitcnt lgkmcnt(0)
	v_cmp_lt_i64_e64 s[18:19], v[11:12], v[9:10]
	v_cndmask_b32_e64 v17, v13, v15, s[14:15]
	v_cmp_ge_i32_e64 s[20:21], v18, v50
	v_cmp_lt_i32_e64 s[16:17], v17, v51
	s_or_b64 s[18:19], s[20:21], s[18:19]
	s_and_b64 s[16:17], s[16:17], s[18:19]
	s_xor_b64 s[18:19], s[16:17], -1
                                        ; implicit-def: $vgpr13_vgpr14
	s_and_saveexec_b64 s[20:21], s[18:19]
	s_xor_b64 s[18:19], exec, s[20:21]
; %bb.79:                               ;   in Loop: Header=BB138_2 Depth=1
	v_lshlrev_b32_e32 v13, 3, v18
	ds_read_b64 v[13:14], v13 offset:8
; %bb.80:                               ;   in Loop: Header=BB138_2 Depth=1
	s_or_saveexec_b64 s[18:19], s[18:19]
	v_mov_b32_e32 v16, v12
	v_mov_b32_e32 v15, v11
	s_xor_b64 exec, exec, s[18:19]
	s_cbranch_execz .LBB138_82
; %bb.81:                               ;   in Loop: Header=BB138_2 Depth=1
	s_waitcnt lgkmcnt(0)
	v_lshlrev_b32_e32 v13, 3, v17
	ds_read_b64 v[15:16], v13 offset:8
	v_mov_b32_e32 v14, v10
	v_mov_b32_e32 v13, v9
.LBB138_82:                             ;   in Loop: Header=BB138_2 Depth=1
	s_or_b64 exec, exec, s[18:19]
	v_add_u32_e32 v20, 1, v18
	v_add_u32_e32 v19, 1, v17
	v_cndmask_b32_e64 v22, v20, v18, s[16:17]
	s_waitcnt lgkmcnt(0)
	v_cmp_lt_i64_e64 s[20:21], v[15:16], v[13:14]
	v_cndmask_b32_e64 v21, v17, v19, s[16:17]
	v_cmp_ge_i32_e64 s[22:23], v22, v50
	v_cmp_lt_i32_e64 s[18:19], v21, v51
	s_or_b64 s[20:21], s[22:23], s[20:21]
	s_and_b64 s[18:19], s[18:19], s[20:21]
	s_xor_b64 s[20:21], s[18:19], -1
                                        ; implicit-def: $vgpr17_vgpr18
	s_and_saveexec_b64 s[22:23], s[20:21]
	s_xor_b64 s[20:21], exec, s[22:23]
; %bb.83:                               ;   in Loop: Header=BB138_2 Depth=1
	v_lshlrev_b32_e32 v17, 3, v22
	ds_read_b64 v[17:18], v17 offset:8
; %bb.84:                               ;   in Loop: Header=BB138_2 Depth=1
	s_or_saveexec_b64 s[20:21], s[20:21]
	v_mov_b32_e32 v20, v16
	v_mov_b32_e32 v19, v15
	s_xor_b64 exec, exec, s[20:21]
	s_cbranch_execz .LBB138_86
; %bb.85:                               ;   in Loop: Header=BB138_2 Depth=1
	s_waitcnt lgkmcnt(0)
	v_lshlrev_b32_e32 v17, 3, v21
	ds_read_b64 v[19:20], v17 offset:8
	v_mov_b32_e32 v18, v14
	v_mov_b32_e32 v17, v13
.LBB138_86:                             ;   in Loop: Header=BB138_2 Depth=1
	s_or_b64 exec, exec, s[20:21]
	v_add_u32_e32 v24, 1, v22
	v_add_u32_e32 v23, 1, v21
	v_cndmask_b32_e64 v26, v24, v22, s[18:19]
	s_waitcnt lgkmcnt(0)
	v_cmp_lt_i64_e64 s[22:23], v[19:20], v[17:18]
	v_cndmask_b32_e64 v25, v21, v23, s[18:19]
	v_cmp_ge_i32_e64 s[24:25], v26, v50
	v_cmp_lt_i32_e64 s[20:21], v25, v51
	s_or_b64 s[22:23], s[24:25], s[22:23]
	s_and_b64 s[20:21], s[20:21], s[22:23]
	s_xor_b64 s[22:23], s[20:21], -1
                                        ; implicit-def: $vgpr21_vgpr22
	s_and_saveexec_b64 s[24:25], s[22:23]
	s_xor_b64 s[22:23], exec, s[24:25]
; %bb.87:                               ;   in Loop: Header=BB138_2 Depth=1
	v_lshlrev_b32_e32 v21, 3, v26
	ds_read_b64 v[21:22], v21 offset:8
; %bb.88:                               ;   in Loop: Header=BB138_2 Depth=1
	s_or_saveexec_b64 s[22:23], s[22:23]
	v_mov_b32_e32 v24, v20
	v_mov_b32_e32 v23, v19
	s_xor_b64 exec, exec, s[22:23]
	s_cbranch_execz .LBB138_90
; %bb.89:                               ;   in Loop: Header=BB138_2 Depth=1
	s_waitcnt lgkmcnt(0)
	v_lshlrev_b32_e32 v21, 3, v25
	ds_read_b64 v[23:24], v21 offset:8
	v_mov_b32_e32 v22, v18
	v_mov_b32_e32 v21, v17
.LBB138_90:                             ;   in Loop: Header=BB138_2 Depth=1
	s_or_b64 exec, exec, s[22:23]
	v_add_u32_e32 v28, 1, v26
	v_add_u32_e32 v27, 1, v25
	v_cndmask_b32_e64 v30, v28, v26, s[20:21]
	s_waitcnt lgkmcnt(0)
	v_cmp_lt_i64_e64 s[24:25], v[23:24], v[21:22]
	v_cndmask_b32_e64 v29, v25, v27, s[20:21]
	v_cmp_ge_i32_e64 s[26:27], v30, v50
	v_cmp_lt_i32_e64 s[22:23], v29, v51
	s_or_b64 s[24:25], s[26:27], s[24:25]
	s_and_b64 s[22:23], s[22:23], s[24:25]
	s_xor_b64 s[24:25], s[22:23], -1
                                        ; implicit-def: $vgpr25_vgpr26
	s_and_saveexec_b64 s[26:27], s[24:25]
	s_xor_b64 s[24:25], exec, s[26:27]
; %bb.91:                               ;   in Loop: Header=BB138_2 Depth=1
	v_lshlrev_b32_e32 v25, 3, v30
	ds_read_b64 v[25:26], v25 offset:8
; %bb.92:                               ;   in Loop: Header=BB138_2 Depth=1
	s_or_saveexec_b64 s[24:25], s[24:25]
	v_mov_b32_e32 v28, v24
	v_mov_b32_e32 v27, v23
	s_xor_b64 exec, exec, s[24:25]
	s_cbranch_execz .LBB138_94
; %bb.93:                               ;   in Loop: Header=BB138_2 Depth=1
	s_waitcnt lgkmcnt(0)
	v_lshlrev_b32_e32 v25, 3, v29
	ds_read_b64 v[27:28], v25 offset:8
	v_mov_b32_e32 v26, v22
	v_mov_b32_e32 v25, v21
.LBB138_94:                             ;   in Loop: Header=BB138_2 Depth=1
	s_or_b64 exec, exec, s[24:25]
	v_add_u32_e32 v32, 1, v30
	v_add_u32_e32 v31, 1, v29
	v_cndmask_b32_e64 v34, v32, v30, s[22:23]
	s_waitcnt lgkmcnt(0)
	v_cmp_lt_i64_e64 s[26:27], v[27:28], v[25:26]
	v_cndmask_b32_e64 v33, v29, v31, s[22:23]
	v_cmp_ge_i32_e64 s[28:29], v34, v50
	v_cmp_lt_i32_e64 s[24:25], v33, v51
	s_or_b64 s[26:27], s[28:29], s[26:27]
	s_and_b64 s[24:25], s[24:25], s[26:27]
	s_xor_b64 s[26:27], s[24:25], -1
                                        ; implicit-def: $vgpr29_vgpr30
	s_and_saveexec_b64 s[28:29], s[26:27]
	s_xor_b64 s[26:27], exec, s[28:29]
; %bb.95:                               ;   in Loop: Header=BB138_2 Depth=1
	v_lshlrev_b32_e32 v29, 3, v34
	ds_read_b64 v[29:30], v29 offset:8
; %bb.96:                               ;   in Loop: Header=BB138_2 Depth=1
	s_or_saveexec_b64 s[26:27], s[26:27]
	v_mov_b32_e32 v32, v28
	v_mov_b32_e32 v31, v27
	s_xor_b64 exec, exec, s[26:27]
	s_cbranch_execz .LBB138_98
; %bb.97:                               ;   in Loop: Header=BB138_2 Depth=1
	s_waitcnt lgkmcnt(0)
	v_lshlrev_b32_e32 v29, 3, v33
	ds_read_b64 v[31:32], v29 offset:8
	v_mov_b32_e32 v30, v26
	v_mov_b32_e32 v29, v25
.LBB138_98:                             ;   in Loop: Header=BB138_2 Depth=1
	s_or_b64 exec, exec, s[26:27]
	v_cndmask_b32_e64 v26, v26, v28, s[24:25]
	v_add_u32_e32 v28, 1, v34
	v_cndmask_b32_e64 v25, v25, v27, s[24:25]
	v_add_u32_e32 v27, 1, v33
	v_cndmask_b32_e64 v28, v28, v34, s[24:25]
	v_cndmask_b32_e64 v6, v6, v8, s[14:15]
	;; [unrolled: 1-line block ×3, first 2 shown]
	s_waitcnt lgkmcnt(0)
	v_cmp_lt_i64_e64 s[14:15], v[31:32], v[29:30]
	v_cndmask_b32_e64 v27, v33, v27, s[24:25]
	v_cndmask_b32_e64 v10, v10, v12, s[16:17]
	;; [unrolled: 1-line block ×3, first 2 shown]
	v_cmp_ge_i32_e64 s[16:17], v28, v50
	v_cndmask_b32_e64 v2, v2, v4, s[12:13]
	v_cndmask_b32_e64 v1, v1, v3, s[12:13]
	v_cmp_lt_i32_e64 s[12:13], v27, v51
	s_or_b64 s[14:15], s[16:17], s[14:15]
	s_and_b64 s[12:13], s[12:13], s[14:15]
	v_cndmask_b32_e64 v22, v22, v24, s[22:23]
	v_cndmask_b32_e64 v21, v21, v23, s[22:23]
	;; [unrolled: 1-line block ×8, first 2 shown]
	s_barrier
	ds_write2_b64 v83, v[1:2], v[5:6] offset1:1
	ds_write2_b64 v83, v[9:10], v[13:14] offset0:2 offset1:3
	ds_write2_b64 v83, v[17:18], v[21:22] offset0:4 offset1:5
	;; [unrolled: 1-line block ×3, first 2 shown]
	v_mov_b32_e32 v5, v58
	s_waitcnt lgkmcnt(0)
	s_barrier
	s_and_saveexec_b64 s[14:15], s[4:5]
	s_cbranch_execz .LBB138_102
; %bb.99:                               ;   in Loop: Header=BB138_2 Depth=1
	s_mov_b64 s[16:17], 0
	v_mov_b32_e32 v5, v58
	v_mov_b32_e32 v1, v59
.LBB138_100:                            ;   Parent Loop BB138_2 Depth=1
                                        ; =>  This Inner Loop Header: Depth=2
	v_sub_u32_e32 v2, v1, v5
	v_lshrrev_b32_e32 v2, 1, v2
	v_add_u32_e32 v4, v2, v5
	v_not_b32_e32 v3, v4
	v_lshl_add_u32 v2, v4, 3, v87
	v_lshl_add_u32 v6, v3, 3, v80
	ds_read_b64 v[2:3], v2
	ds_read_b64 v[6:7], v6
	v_add_u32_e32 v8, 1, v4
	s_waitcnt lgkmcnt(0)
	v_cmp_lt_i64_e64 s[12:13], v[6:7], v[2:3]
	v_cndmask_b32_e64 v1, v1, v4, s[12:13]
	v_cndmask_b32_e64 v5, v8, v5, s[12:13]
	v_cmp_ge_i32_e64 s[12:13], v5, v1
	s_or_b64 s[16:17], s[12:13], s[16:17]
	s_andn2_b64 exec, exec, s[16:17]
	s_cbranch_execnz .LBB138_100
; %bb.101:                              ;   in Loop: Header=BB138_2 Depth=1
	s_or_b64 exec, exec, s[16:17]
.LBB138_102:                            ;   in Loop: Header=BB138_2 Depth=1
	s_or_b64 exec, exec, s[14:15]
	v_sub_u32_e32 v9, v60, v5
	v_lshl_add_u32 v7, v5, 3, v87
	v_lshlrev_b32_e32 v11, 3, v9
	ds_read_b64 v[1:2], v7
	ds_read_b64 v[3:4], v11
	v_add_u32_e32 v10, v5, v55
	v_cmp_le_i32_e64 s[16:17], v56, v10
	v_cmp_gt_i32_e64 s[12:13], v57, v9
                                        ; implicit-def: $vgpr5_vgpr6
	s_waitcnt lgkmcnt(0)
	v_cmp_lt_i64_e64 s[14:15], v[3:4], v[1:2]
	s_or_b64 s[14:15], s[16:17], s[14:15]
	s_and_b64 s[12:13], s[12:13], s[14:15]
	s_xor_b64 s[14:15], s[12:13], -1
	s_and_saveexec_b64 s[16:17], s[14:15]
	s_xor_b64 s[14:15], exec, s[16:17]
; %bb.103:                              ;   in Loop: Header=BB138_2 Depth=1
	ds_read_b64 v[5:6], v7 offset:8
                                        ; implicit-def: $vgpr11
; %bb.104:                              ;   in Loop: Header=BB138_2 Depth=1
	s_or_saveexec_b64 s[14:15], s[14:15]
	v_mov_b32_e32 v8, v4
	v_mov_b32_e32 v7, v3
	s_xor_b64 exec, exec, s[14:15]
	s_cbranch_execz .LBB138_106
; %bb.105:                              ;   in Loop: Header=BB138_2 Depth=1
	ds_read_b64 v[7:8], v11 offset:8
	s_waitcnt lgkmcnt(1)
	v_mov_b32_e32 v6, v2
	v_mov_b32_e32 v5, v1
.LBB138_106:                            ;   in Loop: Header=BB138_2 Depth=1
	s_or_b64 exec, exec, s[14:15]
	v_add_u32_e32 v12, 1, v10
	v_add_u32_e32 v11, 1, v9
	v_cndmask_b32_e64 v14, v12, v10, s[12:13]
	s_waitcnt lgkmcnt(0)
	v_cmp_lt_i64_e64 s[16:17], v[7:8], v[5:6]
	v_cndmask_b32_e64 v13, v9, v11, s[12:13]
	v_cmp_ge_i32_e64 s[18:19], v14, v56
	v_cmp_lt_i32_e64 s[14:15], v13, v57
	s_or_b64 s[16:17], s[18:19], s[16:17]
	s_and_b64 s[14:15], s[14:15], s[16:17]
	s_xor_b64 s[16:17], s[14:15], -1
                                        ; implicit-def: $vgpr9_vgpr10
	s_and_saveexec_b64 s[18:19], s[16:17]
	s_xor_b64 s[16:17], exec, s[18:19]
; %bb.107:                              ;   in Loop: Header=BB138_2 Depth=1
	v_lshlrev_b32_e32 v9, 3, v14
	ds_read_b64 v[9:10], v9 offset:8
; %bb.108:                              ;   in Loop: Header=BB138_2 Depth=1
	s_or_saveexec_b64 s[16:17], s[16:17]
	v_mov_b32_e32 v12, v8
	v_mov_b32_e32 v11, v7
	s_xor_b64 exec, exec, s[16:17]
	s_cbranch_execz .LBB138_110
; %bb.109:                              ;   in Loop: Header=BB138_2 Depth=1
	s_waitcnt lgkmcnt(0)
	v_lshlrev_b32_e32 v9, 3, v13
	ds_read_b64 v[11:12], v9 offset:8
	v_mov_b32_e32 v10, v6
	v_mov_b32_e32 v9, v5
.LBB138_110:                            ;   in Loop: Header=BB138_2 Depth=1
	s_or_b64 exec, exec, s[16:17]
	v_add_u32_e32 v16, 1, v14
	v_add_u32_e32 v15, 1, v13
	v_cndmask_b32_e64 v18, v16, v14, s[14:15]
	s_waitcnt lgkmcnt(0)
	v_cmp_lt_i64_e64 s[18:19], v[11:12], v[9:10]
	v_cndmask_b32_e64 v17, v13, v15, s[14:15]
	v_cmp_ge_i32_e64 s[20:21], v18, v56
	v_cmp_lt_i32_e64 s[16:17], v17, v57
	s_or_b64 s[18:19], s[20:21], s[18:19]
	s_and_b64 s[16:17], s[16:17], s[18:19]
	s_xor_b64 s[18:19], s[16:17], -1
                                        ; implicit-def: $vgpr13_vgpr14
	s_and_saveexec_b64 s[20:21], s[18:19]
	s_xor_b64 s[18:19], exec, s[20:21]
; %bb.111:                              ;   in Loop: Header=BB138_2 Depth=1
	v_lshlrev_b32_e32 v13, 3, v18
	ds_read_b64 v[13:14], v13 offset:8
; %bb.112:                              ;   in Loop: Header=BB138_2 Depth=1
	s_or_saveexec_b64 s[18:19], s[18:19]
	v_mov_b32_e32 v16, v12
	v_mov_b32_e32 v15, v11
	s_xor_b64 exec, exec, s[18:19]
	s_cbranch_execz .LBB138_114
; %bb.113:                              ;   in Loop: Header=BB138_2 Depth=1
	s_waitcnt lgkmcnt(0)
	v_lshlrev_b32_e32 v13, 3, v17
	ds_read_b64 v[15:16], v13 offset:8
	v_mov_b32_e32 v14, v10
	v_mov_b32_e32 v13, v9
.LBB138_114:                            ;   in Loop: Header=BB138_2 Depth=1
	s_or_b64 exec, exec, s[18:19]
	v_add_u32_e32 v20, 1, v18
	v_add_u32_e32 v19, 1, v17
	v_cndmask_b32_e64 v22, v20, v18, s[16:17]
	s_waitcnt lgkmcnt(0)
	v_cmp_lt_i64_e64 s[20:21], v[15:16], v[13:14]
	v_cndmask_b32_e64 v21, v17, v19, s[16:17]
	v_cmp_ge_i32_e64 s[22:23], v22, v56
	v_cmp_lt_i32_e64 s[18:19], v21, v57
	s_or_b64 s[20:21], s[22:23], s[20:21]
	s_and_b64 s[18:19], s[18:19], s[20:21]
	s_xor_b64 s[20:21], s[18:19], -1
                                        ; implicit-def: $vgpr17_vgpr18
	s_and_saveexec_b64 s[22:23], s[20:21]
	s_xor_b64 s[20:21], exec, s[22:23]
; %bb.115:                              ;   in Loop: Header=BB138_2 Depth=1
	v_lshlrev_b32_e32 v17, 3, v22
	ds_read_b64 v[17:18], v17 offset:8
; %bb.116:                              ;   in Loop: Header=BB138_2 Depth=1
	s_or_saveexec_b64 s[20:21], s[20:21]
	v_mov_b32_e32 v20, v16
	v_mov_b32_e32 v19, v15
	s_xor_b64 exec, exec, s[20:21]
	s_cbranch_execz .LBB138_118
; %bb.117:                              ;   in Loop: Header=BB138_2 Depth=1
	s_waitcnt lgkmcnt(0)
	v_lshlrev_b32_e32 v17, 3, v21
	ds_read_b64 v[19:20], v17 offset:8
	v_mov_b32_e32 v18, v14
	v_mov_b32_e32 v17, v13
.LBB138_118:                            ;   in Loop: Header=BB138_2 Depth=1
	s_or_b64 exec, exec, s[20:21]
	v_add_u32_e32 v24, 1, v22
	v_add_u32_e32 v23, 1, v21
	v_cndmask_b32_e64 v26, v24, v22, s[18:19]
	s_waitcnt lgkmcnt(0)
	v_cmp_lt_i64_e64 s[22:23], v[19:20], v[17:18]
	v_cndmask_b32_e64 v25, v21, v23, s[18:19]
	v_cmp_ge_i32_e64 s[24:25], v26, v56
	v_cmp_lt_i32_e64 s[20:21], v25, v57
	s_or_b64 s[22:23], s[24:25], s[22:23]
	s_and_b64 s[20:21], s[20:21], s[22:23]
	s_xor_b64 s[22:23], s[20:21], -1
                                        ; implicit-def: $vgpr21_vgpr22
	s_and_saveexec_b64 s[24:25], s[22:23]
	s_xor_b64 s[22:23], exec, s[24:25]
; %bb.119:                              ;   in Loop: Header=BB138_2 Depth=1
	v_lshlrev_b32_e32 v21, 3, v26
	ds_read_b64 v[21:22], v21 offset:8
; %bb.120:                              ;   in Loop: Header=BB138_2 Depth=1
	s_or_saveexec_b64 s[22:23], s[22:23]
	v_mov_b32_e32 v24, v20
	v_mov_b32_e32 v23, v19
	s_xor_b64 exec, exec, s[22:23]
	s_cbranch_execz .LBB138_122
; %bb.121:                              ;   in Loop: Header=BB138_2 Depth=1
	s_waitcnt lgkmcnt(0)
	v_lshlrev_b32_e32 v21, 3, v25
	ds_read_b64 v[23:24], v21 offset:8
	v_mov_b32_e32 v22, v18
	v_mov_b32_e32 v21, v17
.LBB138_122:                            ;   in Loop: Header=BB138_2 Depth=1
	s_or_b64 exec, exec, s[22:23]
	v_add_u32_e32 v28, 1, v26
	v_add_u32_e32 v27, 1, v25
	v_cndmask_b32_e64 v30, v28, v26, s[20:21]
	s_waitcnt lgkmcnt(0)
	v_cmp_lt_i64_e64 s[24:25], v[23:24], v[21:22]
	v_cndmask_b32_e64 v29, v25, v27, s[20:21]
	v_cmp_ge_i32_e64 s[26:27], v30, v56
	v_cmp_lt_i32_e64 s[22:23], v29, v57
	s_or_b64 s[24:25], s[26:27], s[24:25]
	s_and_b64 s[22:23], s[22:23], s[24:25]
	s_xor_b64 s[24:25], s[22:23], -1
                                        ; implicit-def: $vgpr25_vgpr26
	s_and_saveexec_b64 s[26:27], s[24:25]
	s_xor_b64 s[24:25], exec, s[26:27]
; %bb.123:                              ;   in Loop: Header=BB138_2 Depth=1
	v_lshlrev_b32_e32 v25, 3, v30
	ds_read_b64 v[25:26], v25 offset:8
; %bb.124:                              ;   in Loop: Header=BB138_2 Depth=1
	s_or_saveexec_b64 s[24:25], s[24:25]
	v_mov_b32_e32 v28, v24
	v_mov_b32_e32 v27, v23
	s_xor_b64 exec, exec, s[24:25]
	s_cbranch_execz .LBB138_126
; %bb.125:                              ;   in Loop: Header=BB138_2 Depth=1
	s_waitcnt lgkmcnt(0)
	v_lshlrev_b32_e32 v25, 3, v29
	ds_read_b64 v[27:28], v25 offset:8
	v_mov_b32_e32 v26, v22
	v_mov_b32_e32 v25, v21
.LBB138_126:                            ;   in Loop: Header=BB138_2 Depth=1
	s_or_b64 exec, exec, s[24:25]
	v_add_u32_e32 v32, 1, v30
	v_add_u32_e32 v31, 1, v29
	v_cndmask_b32_e64 v34, v32, v30, s[22:23]
	s_waitcnt lgkmcnt(0)
	v_cmp_lt_i64_e64 s[26:27], v[27:28], v[25:26]
	v_cndmask_b32_e64 v33, v29, v31, s[22:23]
	v_cmp_ge_i32_e64 s[28:29], v34, v56
	v_cmp_lt_i32_e64 s[24:25], v33, v57
	s_or_b64 s[26:27], s[28:29], s[26:27]
	s_and_b64 s[24:25], s[24:25], s[26:27]
	s_xor_b64 s[26:27], s[24:25], -1
                                        ; implicit-def: $vgpr29_vgpr30
	s_and_saveexec_b64 s[28:29], s[26:27]
	s_xor_b64 s[26:27], exec, s[28:29]
; %bb.127:                              ;   in Loop: Header=BB138_2 Depth=1
	v_lshlrev_b32_e32 v29, 3, v34
	ds_read_b64 v[29:30], v29 offset:8
; %bb.128:                              ;   in Loop: Header=BB138_2 Depth=1
	s_or_saveexec_b64 s[26:27], s[26:27]
	v_mov_b32_e32 v32, v28
	v_mov_b32_e32 v31, v27
	s_xor_b64 exec, exec, s[26:27]
	s_cbranch_execz .LBB138_130
; %bb.129:                              ;   in Loop: Header=BB138_2 Depth=1
	s_waitcnt lgkmcnt(0)
	v_lshlrev_b32_e32 v29, 3, v33
	ds_read_b64 v[31:32], v29 offset:8
	v_mov_b32_e32 v30, v26
	v_mov_b32_e32 v29, v25
.LBB138_130:                            ;   in Loop: Header=BB138_2 Depth=1
	s_or_b64 exec, exec, s[26:27]
	v_cndmask_b32_e64 v26, v26, v28, s[24:25]
	v_add_u32_e32 v28, 1, v34
	v_cndmask_b32_e64 v25, v25, v27, s[24:25]
	v_add_u32_e32 v27, 1, v33
	v_cndmask_b32_e64 v28, v28, v34, s[24:25]
	v_cndmask_b32_e64 v6, v6, v8, s[14:15]
	;; [unrolled: 1-line block ×3, first 2 shown]
	s_waitcnt lgkmcnt(0)
	v_cmp_lt_i64_e64 s[14:15], v[31:32], v[29:30]
	v_cndmask_b32_e64 v27, v33, v27, s[24:25]
	v_cndmask_b32_e64 v10, v10, v12, s[16:17]
	;; [unrolled: 1-line block ×3, first 2 shown]
	v_cmp_ge_i32_e64 s[16:17], v28, v56
	v_cndmask_b32_e64 v2, v2, v4, s[12:13]
	v_cndmask_b32_e64 v1, v1, v3, s[12:13]
	v_cmp_lt_i32_e64 s[12:13], v27, v57
	s_or_b64 s[14:15], s[16:17], s[14:15]
	s_and_b64 s[12:13], s[12:13], s[14:15]
	v_cndmask_b32_e64 v22, v22, v24, s[22:23]
	v_cndmask_b32_e64 v21, v21, v23, s[22:23]
	;; [unrolled: 1-line block ×8, first 2 shown]
	s_barrier
	ds_write2_b64 v83, v[1:2], v[5:6] offset1:1
	ds_write2_b64 v83, v[9:10], v[13:14] offset0:2 offset1:3
	ds_write2_b64 v83, v[17:18], v[21:22] offset0:4 offset1:5
	;; [unrolled: 1-line block ×3, first 2 shown]
	v_mov_b32_e32 v5, v64
	s_waitcnt lgkmcnt(0)
	s_barrier
	s_and_saveexec_b64 s[14:15], s[6:7]
	s_cbranch_execz .LBB138_134
; %bb.131:                              ;   in Loop: Header=BB138_2 Depth=1
	s_mov_b64 s[16:17], 0
	v_mov_b32_e32 v5, v64
	v_mov_b32_e32 v1, v65
.LBB138_132:                            ;   Parent Loop BB138_2 Depth=1
                                        ; =>  This Inner Loop Header: Depth=2
	v_sub_u32_e32 v2, v1, v5
	v_lshrrev_b32_e32 v2, 1, v2
	v_add_u32_e32 v4, v2, v5
	v_not_b32_e32 v3, v4
	v_lshl_add_u32 v2, v4, 3, v88
	v_lshl_add_u32 v6, v3, 3, v81
	ds_read_b64 v[2:3], v2
	ds_read_b64 v[6:7], v6
	v_add_u32_e32 v8, 1, v4
	s_waitcnt lgkmcnt(0)
	v_cmp_lt_i64_e64 s[12:13], v[6:7], v[2:3]
	v_cndmask_b32_e64 v1, v1, v4, s[12:13]
	v_cndmask_b32_e64 v5, v8, v5, s[12:13]
	v_cmp_ge_i32_e64 s[12:13], v5, v1
	s_or_b64 s[16:17], s[12:13], s[16:17]
	s_andn2_b64 exec, exec, s[16:17]
	s_cbranch_execnz .LBB138_132
; %bb.133:                              ;   in Loop: Header=BB138_2 Depth=1
	s_or_b64 exec, exec, s[16:17]
.LBB138_134:                            ;   in Loop: Header=BB138_2 Depth=1
	s_or_b64 exec, exec, s[14:15]
	v_sub_u32_e32 v9, v66, v5
	v_lshl_add_u32 v7, v5, 3, v88
	v_lshlrev_b32_e32 v11, 3, v9
	ds_read_b64 v[1:2], v7
	ds_read_b64 v[3:4], v11
	v_add_u32_e32 v10, v5, v61
	v_cmp_le_i32_e64 s[16:17], v62, v10
	v_cmp_gt_i32_e64 s[12:13], v63, v9
                                        ; implicit-def: $vgpr5_vgpr6
	s_waitcnt lgkmcnt(0)
	v_cmp_lt_i64_e64 s[14:15], v[3:4], v[1:2]
	s_or_b64 s[14:15], s[16:17], s[14:15]
	s_and_b64 s[12:13], s[12:13], s[14:15]
	s_xor_b64 s[14:15], s[12:13], -1
	s_and_saveexec_b64 s[16:17], s[14:15]
	s_xor_b64 s[14:15], exec, s[16:17]
; %bb.135:                              ;   in Loop: Header=BB138_2 Depth=1
	ds_read_b64 v[5:6], v7 offset:8
                                        ; implicit-def: $vgpr11
; %bb.136:                              ;   in Loop: Header=BB138_2 Depth=1
	s_or_saveexec_b64 s[14:15], s[14:15]
	v_mov_b32_e32 v8, v4
	v_mov_b32_e32 v7, v3
	s_xor_b64 exec, exec, s[14:15]
	s_cbranch_execz .LBB138_138
; %bb.137:                              ;   in Loop: Header=BB138_2 Depth=1
	ds_read_b64 v[7:8], v11 offset:8
	s_waitcnt lgkmcnt(1)
	v_mov_b32_e32 v6, v2
	v_mov_b32_e32 v5, v1
.LBB138_138:                            ;   in Loop: Header=BB138_2 Depth=1
	s_or_b64 exec, exec, s[14:15]
	v_add_u32_e32 v12, 1, v10
	v_add_u32_e32 v11, 1, v9
	v_cndmask_b32_e64 v14, v12, v10, s[12:13]
	s_waitcnt lgkmcnt(0)
	v_cmp_lt_i64_e64 s[16:17], v[7:8], v[5:6]
	v_cndmask_b32_e64 v13, v9, v11, s[12:13]
	v_cmp_ge_i32_e64 s[18:19], v14, v62
	v_cmp_lt_i32_e64 s[14:15], v13, v63
	s_or_b64 s[16:17], s[18:19], s[16:17]
	s_and_b64 s[14:15], s[14:15], s[16:17]
	s_xor_b64 s[16:17], s[14:15], -1
                                        ; implicit-def: $vgpr9_vgpr10
	s_and_saveexec_b64 s[18:19], s[16:17]
	s_xor_b64 s[16:17], exec, s[18:19]
; %bb.139:                              ;   in Loop: Header=BB138_2 Depth=1
	v_lshlrev_b32_e32 v9, 3, v14
	ds_read_b64 v[9:10], v9 offset:8
; %bb.140:                              ;   in Loop: Header=BB138_2 Depth=1
	s_or_saveexec_b64 s[16:17], s[16:17]
	v_mov_b32_e32 v12, v8
	v_mov_b32_e32 v11, v7
	s_xor_b64 exec, exec, s[16:17]
	s_cbranch_execz .LBB138_142
; %bb.141:                              ;   in Loop: Header=BB138_2 Depth=1
	s_waitcnt lgkmcnt(0)
	v_lshlrev_b32_e32 v9, 3, v13
	ds_read_b64 v[11:12], v9 offset:8
	v_mov_b32_e32 v10, v6
	v_mov_b32_e32 v9, v5
.LBB138_142:                            ;   in Loop: Header=BB138_2 Depth=1
	s_or_b64 exec, exec, s[16:17]
	v_add_u32_e32 v16, 1, v14
	v_add_u32_e32 v15, 1, v13
	v_cndmask_b32_e64 v18, v16, v14, s[14:15]
	s_waitcnt lgkmcnt(0)
	v_cmp_lt_i64_e64 s[18:19], v[11:12], v[9:10]
	v_cndmask_b32_e64 v17, v13, v15, s[14:15]
	v_cmp_ge_i32_e64 s[20:21], v18, v62
	v_cmp_lt_i32_e64 s[16:17], v17, v63
	s_or_b64 s[18:19], s[20:21], s[18:19]
	s_and_b64 s[16:17], s[16:17], s[18:19]
	s_xor_b64 s[18:19], s[16:17], -1
                                        ; implicit-def: $vgpr13_vgpr14
	s_and_saveexec_b64 s[20:21], s[18:19]
	s_xor_b64 s[18:19], exec, s[20:21]
; %bb.143:                              ;   in Loop: Header=BB138_2 Depth=1
	v_lshlrev_b32_e32 v13, 3, v18
	ds_read_b64 v[13:14], v13 offset:8
; %bb.144:                              ;   in Loop: Header=BB138_2 Depth=1
	s_or_saveexec_b64 s[18:19], s[18:19]
	v_mov_b32_e32 v16, v12
	v_mov_b32_e32 v15, v11
	s_xor_b64 exec, exec, s[18:19]
	s_cbranch_execz .LBB138_146
; %bb.145:                              ;   in Loop: Header=BB138_2 Depth=1
	s_waitcnt lgkmcnt(0)
	v_lshlrev_b32_e32 v13, 3, v17
	ds_read_b64 v[15:16], v13 offset:8
	v_mov_b32_e32 v14, v10
	v_mov_b32_e32 v13, v9
.LBB138_146:                            ;   in Loop: Header=BB138_2 Depth=1
	s_or_b64 exec, exec, s[18:19]
	v_add_u32_e32 v20, 1, v18
	v_add_u32_e32 v19, 1, v17
	v_cndmask_b32_e64 v22, v20, v18, s[16:17]
	s_waitcnt lgkmcnt(0)
	v_cmp_lt_i64_e64 s[20:21], v[15:16], v[13:14]
	v_cndmask_b32_e64 v21, v17, v19, s[16:17]
	v_cmp_ge_i32_e64 s[22:23], v22, v62
	v_cmp_lt_i32_e64 s[18:19], v21, v63
	s_or_b64 s[20:21], s[22:23], s[20:21]
	s_and_b64 s[18:19], s[18:19], s[20:21]
	s_xor_b64 s[20:21], s[18:19], -1
                                        ; implicit-def: $vgpr17_vgpr18
	s_and_saveexec_b64 s[22:23], s[20:21]
	s_xor_b64 s[20:21], exec, s[22:23]
; %bb.147:                              ;   in Loop: Header=BB138_2 Depth=1
	v_lshlrev_b32_e32 v17, 3, v22
	ds_read_b64 v[17:18], v17 offset:8
; %bb.148:                              ;   in Loop: Header=BB138_2 Depth=1
	s_or_saveexec_b64 s[20:21], s[20:21]
	v_mov_b32_e32 v20, v16
	v_mov_b32_e32 v19, v15
	s_xor_b64 exec, exec, s[20:21]
	s_cbranch_execz .LBB138_150
; %bb.149:                              ;   in Loop: Header=BB138_2 Depth=1
	s_waitcnt lgkmcnt(0)
	v_lshlrev_b32_e32 v17, 3, v21
	ds_read_b64 v[19:20], v17 offset:8
	v_mov_b32_e32 v18, v14
	v_mov_b32_e32 v17, v13
.LBB138_150:                            ;   in Loop: Header=BB138_2 Depth=1
	s_or_b64 exec, exec, s[20:21]
	v_add_u32_e32 v24, 1, v22
	v_add_u32_e32 v23, 1, v21
	v_cndmask_b32_e64 v26, v24, v22, s[18:19]
	s_waitcnt lgkmcnt(0)
	v_cmp_lt_i64_e64 s[22:23], v[19:20], v[17:18]
	v_cndmask_b32_e64 v25, v21, v23, s[18:19]
	v_cmp_ge_i32_e64 s[24:25], v26, v62
	v_cmp_lt_i32_e64 s[20:21], v25, v63
	s_or_b64 s[22:23], s[24:25], s[22:23]
	s_and_b64 s[20:21], s[20:21], s[22:23]
	s_xor_b64 s[22:23], s[20:21], -1
                                        ; implicit-def: $vgpr21_vgpr22
	s_and_saveexec_b64 s[24:25], s[22:23]
	s_xor_b64 s[22:23], exec, s[24:25]
; %bb.151:                              ;   in Loop: Header=BB138_2 Depth=1
	v_lshlrev_b32_e32 v21, 3, v26
	ds_read_b64 v[21:22], v21 offset:8
; %bb.152:                              ;   in Loop: Header=BB138_2 Depth=1
	s_or_saveexec_b64 s[22:23], s[22:23]
	v_mov_b32_e32 v24, v20
	v_mov_b32_e32 v23, v19
	s_xor_b64 exec, exec, s[22:23]
	s_cbranch_execz .LBB138_154
; %bb.153:                              ;   in Loop: Header=BB138_2 Depth=1
	s_waitcnt lgkmcnt(0)
	v_lshlrev_b32_e32 v21, 3, v25
	ds_read_b64 v[23:24], v21 offset:8
	v_mov_b32_e32 v22, v18
	v_mov_b32_e32 v21, v17
.LBB138_154:                            ;   in Loop: Header=BB138_2 Depth=1
	s_or_b64 exec, exec, s[22:23]
	v_add_u32_e32 v28, 1, v26
	v_add_u32_e32 v27, 1, v25
	v_cndmask_b32_e64 v30, v28, v26, s[20:21]
	s_waitcnt lgkmcnt(0)
	v_cmp_lt_i64_e64 s[24:25], v[23:24], v[21:22]
	v_cndmask_b32_e64 v29, v25, v27, s[20:21]
	v_cmp_ge_i32_e64 s[26:27], v30, v62
	v_cmp_lt_i32_e64 s[22:23], v29, v63
	s_or_b64 s[24:25], s[26:27], s[24:25]
	s_and_b64 s[22:23], s[22:23], s[24:25]
	s_xor_b64 s[24:25], s[22:23], -1
                                        ; implicit-def: $vgpr25_vgpr26
	s_and_saveexec_b64 s[26:27], s[24:25]
	s_xor_b64 s[24:25], exec, s[26:27]
; %bb.155:                              ;   in Loop: Header=BB138_2 Depth=1
	v_lshlrev_b32_e32 v25, 3, v30
	ds_read_b64 v[25:26], v25 offset:8
; %bb.156:                              ;   in Loop: Header=BB138_2 Depth=1
	s_or_saveexec_b64 s[24:25], s[24:25]
	v_mov_b32_e32 v28, v24
	v_mov_b32_e32 v27, v23
	s_xor_b64 exec, exec, s[24:25]
	s_cbranch_execz .LBB138_158
; %bb.157:                              ;   in Loop: Header=BB138_2 Depth=1
	s_waitcnt lgkmcnt(0)
	v_lshlrev_b32_e32 v25, 3, v29
	ds_read_b64 v[27:28], v25 offset:8
	v_mov_b32_e32 v26, v22
	v_mov_b32_e32 v25, v21
.LBB138_158:                            ;   in Loop: Header=BB138_2 Depth=1
	s_or_b64 exec, exec, s[24:25]
	v_add_u32_e32 v32, 1, v30
	v_add_u32_e32 v31, 1, v29
	v_cndmask_b32_e64 v34, v32, v30, s[22:23]
	s_waitcnt lgkmcnt(0)
	v_cmp_lt_i64_e64 s[26:27], v[27:28], v[25:26]
	v_cndmask_b32_e64 v33, v29, v31, s[22:23]
	v_cmp_ge_i32_e64 s[28:29], v34, v62
	v_cmp_lt_i32_e64 s[24:25], v33, v63
	s_or_b64 s[26:27], s[28:29], s[26:27]
	s_and_b64 s[24:25], s[24:25], s[26:27]
	s_xor_b64 s[26:27], s[24:25], -1
                                        ; implicit-def: $vgpr29_vgpr30
	s_and_saveexec_b64 s[28:29], s[26:27]
	s_xor_b64 s[26:27], exec, s[28:29]
; %bb.159:                              ;   in Loop: Header=BB138_2 Depth=1
	v_lshlrev_b32_e32 v29, 3, v34
	ds_read_b64 v[29:30], v29 offset:8
; %bb.160:                              ;   in Loop: Header=BB138_2 Depth=1
	s_or_saveexec_b64 s[26:27], s[26:27]
	v_mov_b32_e32 v32, v28
	v_mov_b32_e32 v31, v27
	s_xor_b64 exec, exec, s[26:27]
	s_cbranch_execz .LBB138_162
; %bb.161:                              ;   in Loop: Header=BB138_2 Depth=1
	s_waitcnt lgkmcnt(0)
	v_lshlrev_b32_e32 v29, 3, v33
	ds_read_b64 v[31:32], v29 offset:8
	v_mov_b32_e32 v30, v26
	v_mov_b32_e32 v29, v25
.LBB138_162:                            ;   in Loop: Header=BB138_2 Depth=1
	s_or_b64 exec, exec, s[26:27]
	v_cndmask_b32_e64 v26, v26, v28, s[24:25]
	v_add_u32_e32 v28, 1, v34
	v_cndmask_b32_e64 v25, v25, v27, s[24:25]
	v_add_u32_e32 v27, 1, v33
	v_cndmask_b32_e64 v28, v28, v34, s[24:25]
	v_cndmask_b32_e64 v6, v6, v8, s[14:15]
	v_cndmask_b32_e64 v5, v5, v7, s[14:15]
	s_waitcnt lgkmcnt(0)
	v_cmp_lt_i64_e64 s[14:15], v[31:32], v[29:30]
	v_cndmask_b32_e64 v27, v33, v27, s[24:25]
	v_cndmask_b32_e64 v10, v10, v12, s[16:17]
	;; [unrolled: 1-line block ×3, first 2 shown]
	v_cmp_ge_i32_e64 s[16:17], v28, v62
	v_cndmask_b32_e64 v2, v2, v4, s[12:13]
	v_cndmask_b32_e64 v1, v1, v3, s[12:13]
	v_cmp_lt_i32_e64 s[12:13], v27, v63
	s_or_b64 s[14:15], s[16:17], s[14:15]
	s_and_b64 s[12:13], s[12:13], s[14:15]
	v_cndmask_b32_e64 v22, v22, v24, s[22:23]
	v_cndmask_b32_e64 v21, v21, v23, s[22:23]
	;; [unrolled: 1-line block ×8, first 2 shown]
	s_barrier
	ds_write2_b64 v83, v[1:2], v[5:6] offset1:1
	ds_write2_b64 v83, v[9:10], v[13:14] offset0:2 offset1:3
	ds_write2_b64 v83, v[17:18], v[21:22] offset0:4 offset1:5
	;; [unrolled: 1-line block ×3, first 2 shown]
	v_mov_b32_e32 v5, v71
	s_waitcnt lgkmcnt(0)
	s_barrier
	s_and_saveexec_b64 s[14:15], s[8:9]
	s_cbranch_execz .LBB138_166
; %bb.163:                              ;   in Loop: Header=BB138_2 Depth=1
	s_mov_b64 s[16:17], 0
	v_mov_b32_e32 v5, v71
	v_mov_b32_e32 v1, v72
.LBB138_164:                            ;   Parent Loop BB138_2 Depth=1
                                        ; =>  This Inner Loop Header: Depth=2
	v_sub_u32_e32 v2, v1, v5
	v_lshrrev_b32_e32 v2, 1, v2
	v_add_u32_e32 v4, v2, v5
	v_not_b32_e32 v3, v4
	v_lshl_add_u32 v2, v4, 3, v89
	v_lshl_add_u32 v6, v3, 3, v82
	ds_read_b64 v[2:3], v2
	ds_read_b64 v[6:7], v6
	v_add_u32_e32 v8, 1, v4
	s_waitcnt lgkmcnt(0)
	v_cmp_lt_i64_e64 s[12:13], v[6:7], v[2:3]
	v_cndmask_b32_e64 v1, v1, v4, s[12:13]
	v_cndmask_b32_e64 v5, v8, v5, s[12:13]
	v_cmp_ge_i32_e64 s[12:13], v5, v1
	s_or_b64 s[16:17], s[12:13], s[16:17]
	s_andn2_b64 exec, exec, s[16:17]
	s_cbranch_execnz .LBB138_164
; %bb.165:                              ;   in Loop: Header=BB138_2 Depth=1
	s_or_b64 exec, exec, s[16:17]
.LBB138_166:                            ;   in Loop: Header=BB138_2 Depth=1
	s_or_b64 exec, exec, s[14:15]
	v_sub_u32_e32 v9, v73, v5
	v_lshl_add_u32 v7, v5, 3, v89
	v_lshlrev_b32_e32 v11, 3, v9
	ds_read_b64 v[1:2], v7
	ds_read_b64 v[3:4], v11
	v_add_u32_e32 v10, v5, v68
	v_cmp_le_i32_e64 s[16:17], v69, v10
	v_cmp_gt_i32_e64 s[12:13], v70, v9
                                        ; implicit-def: $vgpr5_vgpr6
	s_waitcnt lgkmcnt(0)
	v_cmp_lt_i64_e64 s[14:15], v[3:4], v[1:2]
	s_or_b64 s[14:15], s[16:17], s[14:15]
	s_and_b64 s[12:13], s[12:13], s[14:15]
	s_xor_b64 s[14:15], s[12:13], -1
	s_and_saveexec_b64 s[16:17], s[14:15]
	s_xor_b64 s[14:15], exec, s[16:17]
; %bb.167:                              ;   in Loop: Header=BB138_2 Depth=1
	ds_read_b64 v[5:6], v7 offset:8
                                        ; implicit-def: $vgpr11
; %bb.168:                              ;   in Loop: Header=BB138_2 Depth=1
	s_or_saveexec_b64 s[14:15], s[14:15]
	v_mov_b32_e32 v8, v4
	v_mov_b32_e32 v7, v3
	s_xor_b64 exec, exec, s[14:15]
	s_cbranch_execz .LBB138_170
; %bb.169:                              ;   in Loop: Header=BB138_2 Depth=1
	ds_read_b64 v[7:8], v11 offset:8
	s_waitcnt lgkmcnt(1)
	v_mov_b32_e32 v6, v2
	v_mov_b32_e32 v5, v1
.LBB138_170:                            ;   in Loop: Header=BB138_2 Depth=1
	s_or_b64 exec, exec, s[14:15]
	v_add_u32_e32 v12, 1, v10
	v_add_u32_e32 v11, 1, v9
	v_cndmask_b32_e64 v14, v12, v10, s[12:13]
	s_waitcnt lgkmcnt(0)
	v_cmp_lt_i64_e64 s[16:17], v[7:8], v[5:6]
	v_cndmask_b32_e64 v13, v9, v11, s[12:13]
	v_cmp_ge_i32_e64 s[18:19], v14, v69
	v_cmp_lt_i32_e64 s[14:15], v13, v70
	s_or_b64 s[16:17], s[18:19], s[16:17]
	s_and_b64 s[14:15], s[14:15], s[16:17]
	s_xor_b64 s[16:17], s[14:15], -1
                                        ; implicit-def: $vgpr9_vgpr10
	s_and_saveexec_b64 s[18:19], s[16:17]
	s_xor_b64 s[16:17], exec, s[18:19]
; %bb.171:                              ;   in Loop: Header=BB138_2 Depth=1
	v_lshlrev_b32_e32 v9, 3, v14
	ds_read_b64 v[9:10], v9 offset:8
; %bb.172:                              ;   in Loop: Header=BB138_2 Depth=1
	s_or_saveexec_b64 s[16:17], s[16:17]
	v_mov_b32_e32 v12, v8
	v_mov_b32_e32 v11, v7
	s_xor_b64 exec, exec, s[16:17]
	s_cbranch_execz .LBB138_174
; %bb.173:                              ;   in Loop: Header=BB138_2 Depth=1
	s_waitcnt lgkmcnt(0)
	v_lshlrev_b32_e32 v9, 3, v13
	ds_read_b64 v[11:12], v9 offset:8
	v_mov_b32_e32 v10, v6
	v_mov_b32_e32 v9, v5
.LBB138_174:                            ;   in Loop: Header=BB138_2 Depth=1
	s_or_b64 exec, exec, s[16:17]
	v_add_u32_e32 v16, 1, v14
	v_add_u32_e32 v15, 1, v13
	v_cndmask_b32_e64 v18, v16, v14, s[14:15]
	s_waitcnt lgkmcnt(0)
	v_cmp_lt_i64_e64 s[18:19], v[11:12], v[9:10]
	v_cndmask_b32_e64 v17, v13, v15, s[14:15]
	v_cmp_ge_i32_e64 s[20:21], v18, v69
	v_cmp_lt_i32_e64 s[16:17], v17, v70
	s_or_b64 s[18:19], s[20:21], s[18:19]
	s_and_b64 s[16:17], s[16:17], s[18:19]
	s_xor_b64 s[18:19], s[16:17], -1
                                        ; implicit-def: $vgpr13_vgpr14
	s_and_saveexec_b64 s[20:21], s[18:19]
	s_xor_b64 s[18:19], exec, s[20:21]
; %bb.175:                              ;   in Loop: Header=BB138_2 Depth=1
	v_lshlrev_b32_e32 v13, 3, v18
	ds_read_b64 v[13:14], v13 offset:8
; %bb.176:                              ;   in Loop: Header=BB138_2 Depth=1
	s_or_saveexec_b64 s[18:19], s[18:19]
	v_mov_b32_e32 v16, v12
	v_mov_b32_e32 v15, v11
	s_xor_b64 exec, exec, s[18:19]
	s_cbranch_execz .LBB138_178
; %bb.177:                              ;   in Loop: Header=BB138_2 Depth=1
	s_waitcnt lgkmcnt(0)
	v_lshlrev_b32_e32 v13, 3, v17
	ds_read_b64 v[15:16], v13 offset:8
	v_mov_b32_e32 v14, v10
	v_mov_b32_e32 v13, v9
.LBB138_178:                            ;   in Loop: Header=BB138_2 Depth=1
	s_or_b64 exec, exec, s[18:19]
	v_add_u32_e32 v20, 1, v18
	v_add_u32_e32 v19, 1, v17
	v_cndmask_b32_e64 v22, v20, v18, s[16:17]
	s_waitcnt lgkmcnt(0)
	v_cmp_lt_i64_e64 s[20:21], v[15:16], v[13:14]
	v_cndmask_b32_e64 v21, v17, v19, s[16:17]
	v_cmp_ge_i32_e64 s[22:23], v22, v69
	v_cmp_lt_i32_e64 s[18:19], v21, v70
	s_or_b64 s[20:21], s[22:23], s[20:21]
	s_and_b64 s[18:19], s[18:19], s[20:21]
	s_xor_b64 s[20:21], s[18:19], -1
                                        ; implicit-def: $vgpr17_vgpr18
	s_and_saveexec_b64 s[22:23], s[20:21]
	s_xor_b64 s[20:21], exec, s[22:23]
; %bb.179:                              ;   in Loop: Header=BB138_2 Depth=1
	v_lshlrev_b32_e32 v17, 3, v22
	ds_read_b64 v[17:18], v17 offset:8
; %bb.180:                              ;   in Loop: Header=BB138_2 Depth=1
	s_or_saveexec_b64 s[20:21], s[20:21]
	v_mov_b32_e32 v20, v16
	v_mov_b32_e32 v19, v15
	s_xor_b64 exec, exec, s[20:21]
	s_cbranch_execz .LBB138_182
; %bb.181:                              ;   in Loop: Header=BB138_2 Depth=1
	s_waitcnt lgkmcnt(0)
	v_lshlrev_b32_e32 v17, 3, v21
	ds_read_b64 v[19:20], v17 offset:8
	v_mov_b32_e32 v18, v14
	v_mov_b32_e32 v17, v13
.LBB138_182:                            ;   in Loop: Header=BB138_2 Depth=1
	s_or_b64 exec, exec, s[20:21]
	v_add_u32_e32 v24, 1, v22
	v_add_u32_e32 v23, 1, v21
	v_cndmask_b32_e64 v26, v24, v22, s[18:19]
	s_waitcnt lgkmcnt(0)
	v_cmp_lt_i64_e64 s[22:23], v[19:20], v[17:18]
	v_cndmask_b32_e64 v25, v21, v23, s[18:19]
	v_cmp_ge_i32_e64 s[24:25], v26, v69
	v_cmp_lt_i32_e64 s[20:21], v25, v70
	s_or_b64 s[22:23], s[24:25], s[22:23]
	s_and_b64 s[20:21], s[20:21], s[22:23]
	s_xor_b64 s[22:23], s[20:21], -1
                                        ; implicit-def: $vgpr21_vgpr22
	s_and_saveexec_b64 s[24:25], s[22:23]
	s_xor_b64 s[22:23], exec, s[24:25]
; %bb.183:                              ;   in Loop: Header=BB138_2 Depth=1
	v_lshlrev_b32_e32 v21, 3, v26
	ds_read_b64 v[21:22], v21 offset:8
; %bb.184:                              ;   in Loop: Header=BB138_2 Depth=1
	s_or_saveexec_b64 s[22:23], s[22:23]
	v_mov_b32_e32 v24, v20
	v_mov_b32_e32 v23, v19
	s_xor_b64 exec, exec, s[22:23]
	s_cbranch_execz .LBB138_186
; %bb.185:                              ;   in Loop: Header=BB138_2 Depth=1
	s_waitcnt lgkmcnt(0)
	v_lshlrev_b32_e32 v21, 3, v25
	ds_read_b64 v[23:24], v21 offset:8
	v_mov_b32_e32 v22, v18
	v_mov_b32_e32 v21, v17
.LBB138_186:                            ;   in Loop: Header=BB138_2 Depth=1
	s_or_b64 exec, exec, s[22:23]
	v_add_u32_e32 v28, 1, v26
	v_add_u32_e32 v27, 1, v25
	v_cndmask_b32_e64 v30, v28, v26, s[20:21]
	s_waitcnt lgkmcnt(0)
	v_cmp_lt_i64_e64 s[24:25], v[23:24], v[21:22]
	v_cndmask_b32_e64 v29, v25, v27, s[20:21]
	v_cmp_ge_i32_e64 s[26:27], v30, v69
	v_cmp_lt_i32_e64 s[22:23], v29, v70
	s_or_b64 s[24:25], s[26:27], s[24:25]
	s_and_b64 s[22:23], s[22:23], s[24:25]
	s_xor_b64 s[24:25], s[22:23], -1
                                        ; implicit-def: $vgpr25_vgpr26
	s_and_saveexec_b64 s[26:27], s[24:25]
	s_xor_b64 s[24:25], exec, s[26:27]
; %bb.187:                              ;   in Loop: Header=BB138_2 Depth=1
	v_lshlrev_b32_e32 v25, 3, v30
	ds_read_b64 v[25:26], v25 offset:8
; %bb.188:                              ;   in Loop: Header=BB138_2 Depth=1
	s_or_saveexec_b64 s[24:25], s[24:25]
	v_mov_b32_e32 v28, v24
	v_mov_b32_e32 v27, v23
	s_xor_b64 exec, exec, s[24:25]
	s_cbranch_execz .LBB138_190
; %bb.189:                              ;   in Loop: Header=BB138_2 Depth=1
	s_waitcnt lgkmcnt(0)
	v_lshlrev_b32_e32 v25, 3, v29
	ds_read_b64 v[27:28], v25 offset:8
	v_mov_b32_e32 v26, v22
	v_mov_b32_e32 v25, v21
.LBB138_190:                            ;   in Loop: Header=BB138_2 Depth=1
	s_or_b64 exec, exec, s[24:25]
	v_add_u32_e32 v32, 1, v30
	v_add_u32_e32 v31, 1, v29
	v_cndmask_b32_e64 v34, v32, v30, s[22:23]
	s_waitcnt lgkmcnt(0)
	v_cmp_lt_i64_e64 s[26:27], v[27:28], v[25:26]
	v_cndmask_b32_e64 v33, v29, v31, s[22:23]
	v_cmp_ge_i32_e64 s[28:29], v34, v69
	v_cmp_lt_i32_e64 s[24:25], v33, v70
	s_or_b64 s[26:27], s[28:29], s[26:27]
	s_and_b64 s[24:25], s[24:25], s[26:27]
	s_xor_b64 s[26:27], s[24:25], -1
                                        ; implicit-def: $vgpr29_vgpr30
	s_and_saveexec_b64 s[28:29], s[26:27]
	s_xor_b64 s[26:27], exec, s[28:29]
; %bb.191:                              ;   in Loop: Header=BB138_2 Depth=1
	v_lshlrev_b32_e32 v29, 3, v34
	ds_read_b64 v[29:30], v29 offset:8
; %bb.192:                              ;   in Loop: Header=BB138_2 Depth=1
	s_or_saveexec_b64 s[26:27], s[26:27]
	v_mov_b32_e32 v32, v28
	v_mov_b32_e32 v31, v27
	s_xor_b64 exec, exec, s[26:27]
	s_cbranch_execz .LBB138_194
; %bb.193:                              ;   in Loop: Header=BB138_2 Depth=1
	s_waitcnt lgkmcnt(0)
	v_lshlrev_b32_e32 v29, 3, v33
	ds_read_b64 v[31:32], v29 offset:8
	v_mov_b32_e32 v30, v26
	v_mov_b32_e32 v29, v25
.LBB138_194:                            ;   in Loop: Header=BB138_2 Depth=1
	s_or_b64 exec, exec, s[26:27]
	v_cndmask_b32_e64 v26, v26, v28, s[24:25]
	v_add_u32_e32 v28, 1, v34
	v_cndmask_b32_e64 v25, v25, v27, s[24:25]
	v_add_u32_e32 v27, 1, v33
	v_cndmask_b32_e64 v28, v28, v34, s[24:25]
	v_cndmask_b32_e64 v6, v6, v8, s[14:15]
	;; [unrolled: 1-line block ×3, first 2 shown]
	s_waitcnt lgkmcnt(0)
	v_cmp_lt_i64_e64 s[14:15], v[31:32], v[29:30]
	v_cndmask_b32_e64 v27, v33, v27, s[24:25]
	v_cndmask_b32_e64 v10, v10, v12, s[16:17]
	;; [unrolled: 1-line block ×3, first 2 shown]
	v_cmp_ge_i32_e64 s[16:17], v28, v69
	v_cndmask_b32_e64 v2, v2, v4, s[12:13]
	v_cndmask_b32_e64 v1, v1, v3, s[12:13]
	v_cmp_lt_i32_e64 s[12:13], v27, v70
	s_or_b64 s[14:15], s[16:17], s[14:15]
	s_and_b64 s[12:13], s[12:13], s[14:15]
	v_cndmask_b32_e64 v22, v22, v24, s[22:23]
	v_cndmask_b32_e64 v21, v21, v23, s[22:23]
	;; [unrolled: 1-line block ×8, first 2 shown]
	s_barrier
	ds_write2_b64 v83, v[1:2], v[5:6] offset1:1
	ds_write2_b64 v83, v[9:10], v[13:14] offset0:2 offset1:3
	ds_write2_b64 v83, v[17:18], v[21:22] offset0:4 offset1:5
	;; [unrolled: 1-line block ×3, first 2 shown]
	v_mov_b32_e32 v9, v74
	s_waitcnt lgkmcnt(0)
	s_barrier
	s_and_saveexec_b64 s[14:15], s[10:11]
	s_cbranch_execz .LBB138_198
; %bb.195:                              ;   in Loop: Header=BB138_2 Depth=1
	s_mov_b64 s[16:17], 0
	v_mov_b32_e32 v9, v74
	v_mov_b32_e32 v1, v75
.LBB138_196:                            ;   Parent Loop BB138_2 Depth=1
                                        ; =>  This Inner Loop Header: Depth=2
	v_sub_u32_e32 v2, v1, v9
	v_lshrrev_b32_e32 v2, 1, v2
	v_add_u32_e32 v6, v2, v9
	v_not_b32_e32 v3, v6
	v_lshlrev_b32_e32 v2, 3, v6
	v_lshl_add_u32 v4, v3, 3, v90
	ds_read_b64 v[2:3], v2
	ds_read_b64 v[4:5], v4
	v_add_u32_e32 v7, 1, v6
	s_waitcnt lgkmcnt(0)
	v_cmp_lt_i64_e64 s[12:13], v[4:5], v[2:3]
	v_cndmask_b32_e64 v1, v1, v6, s[12:13]
	v_cndmask_b32_e64 v9, v7, v9, s[12:13]
	v_cmp_ge_i32_e64 s[12:13], v9, v1
	s_or_b64 s[16:17], s[12:13], s[16:17]
	s_andn2_b64 exec, exec, s[16:17]
	s_cbranch_execnz .LBB138_196
; %bb.197:                              ;   in Loop: Header=BB138_2 Depth=1
	s_or_b64 exec, exec, s[16:17]
.LBB138_198:                            ;   in Loop: Header=BB138_2 Depth=1
	s_or_b64 exec, exec, s[14:15]
	v_sub_u32_e32 v10, v76, v9
	v_lshlrev_b32_e32 v7, 3, v9
	v_lshlrev_b32_e32 v11, 3, v10
	ds_read_b64 v[1:2], v7
	ds_read_b64 v[3:4], v11
	v_cmp_le_i32_e64 s[16:17], v67, v9
	v_cmp_gt_i32_e64 s[12:13], s33, v10
                                        ; implicit-def: $vgpr5_vgpr6
	s_waitcnt lgkmcnt(0)
	v_cmp_lt_i64_e64 s[14:15], v[3:4], v[1:2]
	s_or_b64 s[14:15], s[16:17], s[14:15]
	s_and_b64 s[12:13], s[12:13], s[14:15]
	s_xor_b64 s[14:15], s[12:13], -1
	s_and_saveexec_b64 s[16:17], s[14:15]
	s_xor_b64 s[14:15], exec, s[16:17]
; %bb.199:                              ;   in Loop: Header=BB138_2 Depth=1
	ds_read_b64 v[5:6], v7 offset:8
                                        ; implicit-def: $vgpr11
; %bb.200:                              ;   in Loop: Header=BB138_2 Depth=1
	s_or_saveexec_b64 s[14:15], s[14:15]
	v_mov_b32_e32 v8, v4
	v_mov_b32_e32 v7, v3
	s_xor_b64 exec, exec, s[14:15]
	s_cbranch_execz .LBB138_202
; %bb.201:                              ;   in Loop: Header=BB138_2 Depth=1
	ds_read_b64 v[7:8], v11 offset:8
	s_waitcnt lgkmcnt(1)
	v_mov_b32_e32 v6, v2
	v_mov_b32_e32 v5, v1
.LBB138_202:                            ;   in Loop: Header=BB138_2 Depth=1
	s_or_b64 exec, exec, s[14:15]
	v_add_u32_e32 v12, 1, v9
	v_add_u32_e32 v11, 1, v10
	v_cndmask_b32_e64 v14, v12, v9, s[12:13]
	s_waitcnt lgkmcnt(0)
	v_cmp_lt_i64_e64 s[16:17], v[7:8], v[5:6]
	v_cndmask_b32_e64 v13, v10, v11, s[12:13]
	v_cmp_ge_i32_e64 s[18:19], v14, v67
	v_cmp_gt_i32_e64 s[14:15], s33, v13
	s_or_b64 s[16:17], s[18:19], s[16:17]
	s_and_b64 s[14:15], s[14:15], s[16:17]
	s_xor_b64 s[16:17], s[14:15], -1
                                        ; implicit-def: $vgpr9_vgpr10
	s_and_saveexec_b64 s[18:19], s[16:17]
	s_xor_b64 s[16:17], exec, s[18:19]
; %bb.203:                              ;   in Loop: Header=BB138_2 Depth=1
	v_lshlrev_b32_e32 v9, 3, v14
	ds_read_b64 v[9:10], v9 offset:8
; %bb.204:                              ;   in Loop: Header=BB138_2 Depth=1
	s_or_saveexec_b64 s[16:17], s[16:17]
	v_mov_b32_e32 v12, v8
	v_mov_b32_e32 v11, v7
	s_xor_b64 exec, exec, s[16:17]
	s_cbranch_execz .LBB138_206
; %bb.205:                              ;   in Loop: Header=BB138_2 Depth=1
	s_waitcnt lgkmcnt(0)
	v_lshlrev_b32_e32 v9, 3, v13
	ds_read_b64 v[11:12], v9 offset:8
	v_mov_b32_e32 v10, v6
	v_mov_b32_e32 v9, v5
.LBB138_206:                            ;   in Loop: Header=BB138_2 Depth=1
	s_or_b64 exec, exec, s[16:17]
	v_add_u32_e32 v16, 1, v14
	v_add_u32_e32 v15, 1, v13
	v_cndmask_b32_e64 v18, v16, v14, s[14:15]
	s_waitcnt lgkmcnt(0)
	v_cmp_lt_i64_e64 s[18:19], v[11:12], v[9:10]
	v_cndmask_b32_e64 v17, v13, v15, s[14:15]
	v_cmp_ge_i32_e64 s[20:21], v18, v67
	v_cmp_gt_i32_e64 s[16:17], s33, v17
	s_or_b64 s[18:19], s[20:21], s[18:19]
	s_and_b64 s[16:17], s[16:17], s[18:19]
	s_xor_b64 s[18:19], s[16:17], -1
                                        ; implicit-def: $vgpr13_vgpr14
	s_and_saveexec_b64 s[20:21], s[18:19]
	s_xor_b64 s[18:19], exec, s[20:21]
; %bb.207:                              ;   in Loop: Header=BB138_2 Depth=1
	v_lshlrev_b32_e32 v13, 3, v18
	ds_read_b64 v[13:14], v13 offset:8
; %bb.208:                              ;   in Loop: Header=BB138_2 Depth=1
	s_or_saveexec_b64 s[18:19], s[18:19]
	v_mov_b32_e32 v16, v12
	v_mov_b32_e32 v15, v11
	s_xor_b64 exec, exec, s[18:19]
	s_cbranch_execz .LBB138_210
; %bb.209:                              ;   in Loop: Header=BB138_2 Depth=1
	s_waitcnt lgkmcnt(0)
	v_lshlrev_b32_e32 v13, 3, v17
	ds_read_b64 v[15:16], v13 offset:8
	v_mov_b32_e32 v14, v10
	v_mov_b32_e32 v13, v9
.LBB138_210:                            ;   in Loop: Header=BB138_2 Depth=1
	s_or_b64 exec, exec, s[18:19]
	v_add_u32_e32 v20, 1, v18
	v_add_u32_e32 v19, 1, v17
	v_cndmask_b32_e64 v18, v20, v18, s[16:17]
	s_waitcnt lgkmcnt(0)
	v_cmp_lt_i64_e64 s[20:21], v[15:16], v[13:14]
	v_cndmask_b32_e64 v17, v17, v19, s[16:17]
	v_cmp_ge_i32_e64 s[22:23], v18, v67
	v_cmp_gt_i32_e64 s[18:19], s33, v17
	s_or_b64 s[20:21], s[22:23], s[20:21]
	s_and_b64 s[18:19], s[18:19], s[20:21]
	s_xor_b64 s[20:21], s[18:19], -1
                                        ; implicit-def: $vgpr19_vgpr20
	s_and_saveexec_b64 s[22:23], s[20:21]
	s_xor_b64 s[20:21], exec, s[22:23]
; %bb.211:                              ;   in Loop: Header=BB138_2 Depth=1
	v_lshlrev_b32_e32 v19, 3, v18
	ds_read_b64 v[19:20], v19 offset:8
; %bb.212:                              ;   in Loop: Header=BB138_2 Depth=1
	s_or_saveexec_b64 s[20:21], s[20:21]
	v_mov_b32_e32 v24, v16
	v_mov_b32_e32 v23, v15
	s_xor_b64 exec, exec, s[20:21]
	s_cbranch_execz .LBB138_214
; %bb.213:                              ;   in Loop: Header=BB138_2 Depth=1
	s_waitcnt lgkmcnt(0)
	v_lshlrev_b32_e32 v19, 3, v17
	ds_read_b64 v[23:24], v19 offset:8
	v_mov_b32_e32 v20, v14
	v_mov_b32_e32 v19, v13
.LBB138_214:                            ;   in Loop: Header=BB138_2 Depth=1
	s_or_b64 exec, exec, s[20:21]
	v_add_u32_e32 v22, 1, v18
	v_add_u32_e32 v21, 1, v17
	v_cndmask_b32_e64 v18, v22, v18, s[18:19]
	s_waitcnt lgkmcnt(0)
	v_cmp_lt_i64_e64 s[22:23], v[23:24], v[19:20]
	v_cndmask_b32_e64 v17, v17, v21, s[18:19]
	v_cmp_ge_i32_e64 s[24:25], v18, v67
	v_cmp_gt_i32_e64 s[20:21], s33, v17
	s_or_b64 s[22:23], s[24:25], s[22:23]
	s_and_b64 s[20:21], s[20:21], s[22:23]
	s_xor_b64 s[22:23], s[20:21], -1
                                        ; implicit-def: $vgpr25_vgpr26
	s_and_saveexec_b64 s[24:25], s[22:23]
	s_xor_b64 s[22:23], exec, s[24:25]
; %bb.215:                              ;   in Loop: Header=BB138_2 Depth=1
	v_lshlrev_b32_e32 v21, 3, v18
	ds_read_b64 v[25:26], v21 offset:8
; %bb.216:                              ;   in Loop: Header=BB138_2 Depth=1
	s_or_saveexec_b64 s[22:23], s[22:23]
	v_mov_b32_e32 v28, v24
	v_mov_b32_e32 v27, v23
	s_xor_b64 exec, exec, s[22:23]
	s_cbranch_execz .LBB138_218
; %bb.217:                              ;   in Loop: Header=BB138_2 Depth=1
	v_lshlrev_b32_e32 v21, 3, v17
	ds_read_b64 v[27:28], v21 offset:8
	s_waitcnt lgkmcnt(1)
	v_mov_b32_e32 v26, v20
	v_mov_b32_e32 v25, v19
.LBB138_218:                            ;   in Loop: Header=BB138_2 Depth=1
	s_or_b64 exec, exec, s[22:23]
	v_add_u32_e32 v22, 1, v18
	v_add_u32_e32 v21, 1, v17
	v_cndmask_b32_e64 v18, v22, v18, s[20:21]
	s_waitcnt lgkmcnt(0)
	v_cmp_lt_i64_e64 s[24:25], v[27:28], v[25:26]
	v_cndmask_b32_e64 v17, v17, v21, s[20:21]
	v_cmp_ge_i32_e64 s[26:27], v18, v67
	v_cmp_gt_i32_e64 s[22:23], s33, v17
	s_or_b64 s[24:25], s[26:27], s[24:25]
	s_and_b64 s[22:23], s[22:23], s[24:25]
	s_xor_b64 s[24:25], s[22:23], -1
                                        ; implicit-def: $vgpr29_vgpr30
	s_and_saveexec_b64 s[26:27], s[24:25]
	s_xor_b64 s[24:25], exec, s[26:27]
; %bb.219:                              ;   in Loop: Header=BB138_2 Depth=1
	v_lshlrev_b32_e32 v21, 3, v18
	ds_read_b64 v[29:30], v21 offset:8
; %bb.220:                              ;   in Loop: Header=BB138_2 Depth=1
	s_or_saveexec_b64 s[24:25], s[24:25]
	v_mov_b32_e32 v32, v28
	v_mov_b32_e32 v31, v27
	s_xor_b64 exec, exec, s[24:25]
	s_cbranch_execz .LBB138_222
; %bb.221:                              ;   in Loop: Header=BB138_2 Depth=1
	v_lshlrev_b32_e32 v21, 3, v17
	ds_read_b64 v[31:32], v21 offset:8
	s_waitcnt lgkmcnt(1)
	v_mov_b32_e32 v30, v26
	v_mov_b32_e32 v29, v25
.LBB138_222:                            ;   in Loop: Header=BB138_2 Depth=1
	s_or_b64 exec, exec, s[24:25]
	v_add_u32_e32 v21, 1, v17
	v_add_u32_e32 v22, 1, v18
	v_cndmask_b32_e64 v91, v17, v21, s[22:23]
	v_cndmask_b32_e64 v17, v22, v18, s[22:23]
	s_waitcnt lgkmcnt(0)
	v_cmp_lt_i64_e64 s[26:27], v[31:32], v[29:30]
	v_cmp_ge_i32_e64 s[28:29], v17, v67
	v_cmp_gt_i32_e64 s[24:25], s33, v91
	s_or_b64 s[26:27], s[28:29], s[26:27]
	s_and_b64 s[24:25], s[24:25], s[26:27]
	s_xor_b64 s[26:27], s[24:25], -1
                                        ; implicit-def: $vgpr33_vgpr34
                                        ; implicit-def: $vgpr92
	s_and_saveexec_b64 s[28:29], s[26:27]
	s_xor_b64 s[26:27], exec, s[28:29]
; %bb.223:                              ;   in Loop: Header=BB138_2 Depth=1
	v_lshlrev_b32_e32 v18, 3, v17
	ds_read_b64 v[33:34], v18 offset:8
	v_add_u32_e32 v92, 1, v17
                                        ; implicit-def: $vgpr17
; %bb.224:                              ;   in Loop: Header=BB138_2 Depth=1
	s_or_saveexec_b64 s[26:27], s[26:27]
	v_mov_b32_e32 v36, v32
	v_mov_b32_e32 v35, v31
	s_xor_b64 exec, exec, s[26:27]
	s_cbranch_execz .LBB138_1
; %bb.225:                              ;   in Loop: Header=BB138_2 Depth=1
	v_lshlrev_b32_e32 v18, 3, v91
	ds_read_b64 v[35:36], v18 offset:8
	s_waitcnt lgkmcnt(1)
	v_mov_b32_e32 v34, v30
	v_add_u32_e32 v91, 1, v91
	v_mov_b32_e32 v92, v17
	v_mov_b32_e32 v33, v29
	s_branch .LBB138_1
.LBB138_226:
	s_add_u32 s0, s30, s36
	s_addc_u32 s1, s31, s37
	v_lshlrev_b32_e32 v0, 3, v0
	v_mov_b32_e32 v13, s1
	v_add_co_u32_e32 v14, vcc, s0, v0
	v_addc_co_u32_e32 v13, vcc, 0, v13, vcc
	global_store_dwordx2 v0, v[17:18], s[0:1]
	global_store_dwordx2 v0, v[21:22], s[0:1] offset:1024
	global_store_dwordx2 v0, v[9:10], s[0:1] offset:2048
	;; [unrolled: 1-line block ×3, first 2 shown]
	v_add_co_u32_e32 v9, vcc, 0x1000, v14
	v_addc_co_u32_e32 v10, vcc, 0, v13, vcc
	global_store_dwordx2 v[9:10], v[3:4], off
	global_store_dwordx2 v[9:10], v[5:6], off offset:1024
	global_store_dwordx2 v[9:10], v[1:2], off offset:2048
	;; [unrolled: 1-line block ×3, first 2 shown]
	s_endpgm
	.section	.rodata,"a",@progbits
	.p2align	6, 0x0
	.amdhsa_kernel _Z16sort_keys_kernelIxLj128ELj8EN10test_utils4lessELj10EEvPKT_PS2_T2_
		.amdhsa_group_segment_fixed_size 8200
		.amdhsa_private_segment_fixed_size 0
		.amdhsa_kernarg_size 20
		.amdhsa_user_sgpr_count 6
		.amdhsa_user_sgpr_private_segment_buffer 1
		.amdhsa_user_sgpr_dispatch_ptr 0
		.amdhsa_user_sgpr_queue_ptr 0
		.amdhsa_user_sgpr_kernarg_segment_ptr 1
		.amdhsa_user_sgpr_dispatch_id 0
		.amdhsa_user_sgpr_flat_scratch_init 0
		.amdhsa_user_sgpr_private_segment_size 0
		.amdhsa_uses_dynamic_stack 0
		.amdhsa_system_sgpr_private_segment_wavefront_offset 0
		.amdhsa_system_sgpr_workgroup_id_x 1
		.amdhsa_system_sgpr_workgroup_id_y 0
		.amdhsa_system_sgpr_workgroup_id_z 0
		.amdhsa_system_sgpr_workgroup_info 0
		.amdhsa_system_vgpr_workitem_id 0
		.amdhsa_next_free_vgpr 93
		.amdhsa_next_free_sgpr 98
		.amdhsa_reserve_vcc 1
		.amdhsa_reserve_flat_scratch 0
		.amdhsa_float_round_mode_32 0
		.amdhsa_float_round_mode_16_64 0
		.amdhsa_float_denorm_mode_32 3
		.amdhsa_float_denorm_mode_16_64 3
		.amdhsa_dx10_clamp 1
		.amdhsa_ieee_mode 1
		.amdhsa_fp16_overflow 0
		.amdhsa_exception_fp_ieee_invalid_op 0
		.amdhsa_exception_fp_denorm_src 0
		.amdhsa_exception_fp_ieee_div_zero 0
		.amdhsa_exception_fp_ieee_overflow 0
		.amdhsa_exception_fp_ieee_underflow 0
		.amdhsa_exception_fp_ieee_inexact 0
		.amdhsa_exception_int_div_zero 0
	.end_amdhsa_kernel
	.section	.text._Z16sort_keys_kernelIxLj128ELj8EN10test_utils4lessELj10EEvPKT_PS2_T2_,"axG",@progbits,_Z16sort_keys_kernelIxLj128ELj8EN10test_utils4lessELj10EEvPKT_PS2_T2_,comdat
.Lfunc_end138:
	.size	_Z16sort_keys_kernelIxLj128ELj8EN10test_utils4lessELj10EEvPKT_PS2_T2_, .Lfunc_end138-_Z16sort_keys_kernelIxLj128ELj8EN10test_utils4lessELj10EEvPKT_PS2_T2_
                                        ; -- End function
	.set _Z16sort_keys_kernelIxLj128ELj8EN10test_utils4lessELj10EEvPKT_PS2_T2_.num_vgpr, 93
	.set _Z16sort_keys_kernelIxLj128ELj8EN10test_utils4lessELj10EEvPKT_PS2_T2_.num_agpr, 0
	.set _Z16sort_keys_kernelIxLj128ELj8EN10test_utils4lessELj10EEvPKT_PS2_T2_.numbered_sgpr, 38
	.set _Z16sort_keys_kernelIxLj128ELj8EN10test_utils4lessELj10EEvPKT_PS2_T2_.num_named_barrier, 0
	.set _Z16sort_keys_kernelIxLj128ELj8EN10test_utils4lessELj10EEvPKT_PS2_T2_.private_seg_size, 0
	.set _Z16sort_keys_kernelIxLj128ELj8EN10test_utils4lessELj10EEvPKT_PS2_T2_.uses_vcc, 1
	.set _Z16sort_keys_kernelIxLj128ELj8EN10test_utils4lessELj10EEvPKT_PS2_T2_.uses_flat_scratch, 0
	.set _Z16sort_keys_kernelIxLj128ELj8EN10test_utils4lessELj10EEvPKT_PS2_T2_.has_dyn_sized_stack, 0
	.set _Z16sort_keys_kernelIxLj128ELj8EN10test_utils4lessELj10EEvPKT_PS2_T2_.has_recursion, 0
	.set _Z16sort_keys_kernelIxLj128ELj8EN10test_utils4lessELj10EEvPKT_PS2_T2_.has_indirect_call, 0
	.section	.AMDGPU.csdata,"",@progbits
; Kernel info:
; codeLenInByte = 11792
; TotalNumSgprs: 42
; NumVgprs: 93
; ScratchSize: 0
; MemoryBound: 0
; FloatMode: 240
; IeeeMode: 1
; LDSByteSize: 8200 bytes/workgroup (compile time only)
; SGPRBlocks: 12
; VGPRBlocks: 23
; NumSGPRsForWavesPerEU: 102
; NumVGPRsForWavesPerEU: 93
; Occupancy: 2
; WaveLimiterHint : 1
; COMPUTE_PGM_RSRC2:SCRATCH_EN: 0
; COMPUTE_PGM_RSRC2:USER_SGPR: 6
; COMPUTE_PGM_RSRC2:TRAP_HANDLER: 0
; COMPUTE_PGM_RSRC2:TGID_X_EN: 1
; COMPUTE_PGM_RSRC2:TGID_Y_EN: 0
; COMPUTE_PGM_RSRC2:TGID_Z_EN: 0
; COMPUTE_PGM_RSRC2:TIDIG_COMP_CNT: 0
	.section	.text._Z17sort_pairs_kernelIxLj128ELj8EN10test_utils4lessELj10EEvPKT_PS2_T2_,"axG",@progbits,_Z17sort_pairs_kernelIxLj128ELj8EN10test_utils4lessELj10EEvPKT_PS2_T2_,comdat
	.protected	_Z17sort_pairs_kernelIxLj128ELj8EN10test_utils4lessELj10EEvPKT_PS2_T2_ ; -- Begin function _Z17sort_pairs_kernelIxLj128ELj8EN10test_utils4lessELj10EEvPKT_PS2_T2_
	.globl	_Z17sort_pairs_kernelIxLj128ELj8EN10test_utils4lessELj10EEvPKT_PS2_T2_
	.p2align	8
	.type	_Z17sort_pairs_kernelIxLj128ELj8EN10test_utils4lessELj10EEvPKT_PS2_T2_,@function
_Z17sort_pairs_kernelIxLj128ELj8EN10test_utils4lessELj10EEvPKT_PS2_T2_: ; @_Z17sort_pairs_kernelIxLj128ELj8EN10test_utils4lessELj10EEvPKT_PS2_T2_
; %bb.0:
	s_load_dwordx4 s[88:91], s[4:5], 0x0
	s_lshl_b32 s94, s6, 10
	s_mov_b32 s95, 0
	s_lshl_b64 s[92:93], s[94:95], 3
	v_lshlrev_b32_e32 v33, 3, v0
	s_waitcnt lgkmcnt(0)
	s_add_u32 s0, s88, s92
	s_addc_u32 s1, s89, s93
	global_load_dwordx2 v[17:18], v33, s[0:1]
	global_load_dwordx2 v[27:28], v33, s[0:1] offset:1024
	global_load_dwordx2 v[19:20], v33, s[0:1] offset:2048
	;; [unrolled: 1-line block ×3, first 2 shown]
	v_mov_b32_e32 v1, s1
	v_add_co_u32_e32 v2, vcc, s0, v33
	s_movk_i32 s2, 0x1000
	v_addc_co_u32_e32 v3, vcc, 0, v1, vcc
	v_add_co_u32_e32 v1, vcc, s2, v2
	v_addc_co_u32_e32 v2, vcc, 0, v3, vcc
	global_load_dwordx2 v[25:26], v[1:2], off
	global_load_dwordx2 v[29:30], v[1:2], off offset:1024
	global_load_dwordx2 v[21:22], v[1:2], off offset:2048
	;; [unrolled: 1-line block ×3, first 2 shown]
	v_and_b32_e32 v51, 0x3f0, v33
	v_or_b32_e32 v57, 8, v51
	v_add_u32_e32 v58, 16, v51
	v_and_b32_e32 v34, 8, v33
	v_and_b32_e32 v52, 0x3e0, v33
	v_sub_u32_e32 v40, v58, v57
	v_and_b32_e32 v53, 0x3c0, v33
	v_or_b32_e32 v59, 16, v52
	v_sub_u32_e32 v46, v34, v40
	v_mov_b32_e32 v81, 0x200
	v_and_b32_e32 v35, 24, v33
	v_and_b32_e32 v36, 56, v33
	v_and_b32_e32 v54, 0x380, v33
	v_and_b32_e32 v37, 0x78, v33
	v_and_b32_e32 v55, 0x300, v33
	v_and_b32_e32 v38, 0xf8, v33
	v_and_b32_e32 v56, 0x200, v33
	v_and_b32_e32 v39, 0x1f8, v33
	v_or_b32_e32 v61, 32, v53
	v_sub_u32_e64 v82, v33, v81 clamp
	v_min_i32_e32 v83, 0x200, v33
	v_add_u32_e32 v84, 0x200, v33
	v_lshlrev_b32_e32 v33, 3, v34
	v_or_b32_e32 v63, 64, v54
	v_lshl_add_u32 v86, v57, 3, v33
	v_lshlrev_b32_e32 v33, 3, v35
	v_add_u32_e32 v60, 32, v52
	v_add_u32_e32 v62, 64, v53
	;; [unrolled: 1-line block ×3, first 2 shown]
	v_or_b32_e32 v65, 0x80, v55
	v_add_u32_e32 v66, 0x100, v55
	v_or_b32_e32 v67, 0x100, v56
	v_add_u32_e32 v68, 0x200, v56
	v_lshl_add_u32 v88, v59, 3, v33
	v_lshlrev_b32_e32 v33, 3, v36
	v_sub_u32_e32 v41, v60, v59
	v_sub_u32_e32 v42, v62, v61
	;; [unrolled: 1-line block ×5, first 2 shown]
	v_lshl_add_u32 v90, v61, 3, v33
	v_lshlrev_b32_e32 v33, 3, v37
	v_sub_u32_e32 v47, v35, v41
	v_sub_u32_e32 v48, v36, v42
	;; [unrolled: 1-line block ×5, first 2 shown]
	v_cmp_ge_i32_e64 s[0:1], v35, v41
	v_cmp_ge_i32_e64 s[2:3], v36, v42
	;; [unrolled: 1-line block ×5, first 2 shown]
	v_lshl_add_u32 v92, v63, 3, v33
	v_lshlrev_b32_e32 v33, 3, v38
	v_cndmask_b32_e64 v71, 0, v47, s[0:1]
	v_cndmask_b32_e64 v73, 0, v48, s[2:3]
	;; [unrolled: 1-line block ×5, first 2 shown]
	v_lshl_add_u32 v94, v65, 3, v33
	v_lshlrev_b32_e32 v33, 3, v39
	v_lshlrev_b32_e32 v97, 6, v0
	v_cmp_lt_i32_e64 s[10:11], v82, v83
	v_add_u32_e32 v85, v57, v34
	v_add_u32_e32 v87, v59, v35
	;; [unrolled: 1-line block ×4, first 2 shown]
	s_waitcnt vmcnt(7)
	v_add_co_u32_e32 v7, vcc, 1, v17
	v_addc_co_u32_e32 v8, vcc, 0, v18, vcc
	s_waitcnt vmcnt(6)
	v_add_co_u32_e32 v15, vcc, 1, v27
	v_addc_co_u32_e32 v16, vcc, 0, v28, vcc
	;; [unrolled: 3-line block ×8, first 2 shown]
	v_cmp_ge_i32_e32 vcc, v34, v40
	v_sub_u32_e32 v40, v57, v51
	v_min_i32_e32 v70, v34, v40
	v_sub_u32_e32 v40, v59, v52
	v_min_i32_e32 v72, v35, v40
	;; [unrolled: 2-line block ×5, first 2 shown]
	v_sub_u32_e32 v40, v67, v56
	v_cndmask_b32_e32 v69, 0, v46, vcc
	v_min_i32_e32 v80, v39, v40
	v_cmp_lt_i32_e32 vcc, v69, v70
	v_cmp_lt_i32_e64 s[0:1], v71, v72
	v_cmp_lt_i32_e64 s[2:3], v73, v74
	;; [unrolled: 1-line block ×5, first 2 shown]
	v_add_u32_e32 v93, v65, v38
	v_add_u32_e32 v95, v67, v39
	v_lshl_add_u32 v96, v67, 3, v33
	s_movk_i32 s33, 0x400
	v_lshlrev_b32_e32 v98, 3, v51
	v_lshlrev_b32_e32 v99, 3, v52
	;; [unrolled: 1-line block ×6, first 2 shown]
	v_add_u32_e32 v104, 0x1000, v97
	s_branch .LBB139_2
.LBB139_1:                              ;   in Loop: Header=BB139_2 Depth=1
	s_or_b64 exec, exec, s[26:27]
	v_cndmask_b32_e64 v17, v17, v19, s[12:13]
	v_cndmask_b32_e64 v28, v22, v24, s[14:15]
	;; [unrolled: 1-line block ×6, first 2 shown]
	s_waitcnt lgkmcnt(0)
	v_cmp_lt_i64_e64 s[14:15], v[49:50], v[45:46]
	v_cndmask_b32_e64 v18, v18, v20, s[12:13]
	v_cndmask_b32_e64 v20, v26, v30, s[16:17]
	;; [unrolled: 1-line block ×4, first 2 shown]
	v_cmp_ge_i32_e64 s[16:17], v119, v81
	v_cndmask_b32_e64 v26, v36, v40, s[20:21]
	v_cndmask_b32_e64 v36, v105, v106, s[12:13]
	v_cmp_gt_i32_e64 s[12:13], s33, v118
	s_or_b64 s[14:15], s[16:17], s[14:15]
	v_cndmask_b32_e64 v23, v31, v33, s[18:19]
	v_cndmask_b32_e64 v21, v116, v115, s[24:25]
	v_cndmask_b32_e64 v31, v114, v113, s[20:21]
	v_cndmask_b32_e64 v33, v112, v111, s[18:19]
	s_and_b64 s[12:13], s[12:13], s[14:15]
	s_barrier
	ds_write2_b64 v97, v[9:10], v[13:14] offset1:1
	ds_write2_b64 v97, v[1:2], v[5:6] offset0:2 offset1:3
	ds_write2_b64 v97, v[11:12], v[15:16] offset0:4 offset1:5
	;; [unrolled: 1-line block ×3, first 2 shown]
	v_lshlrev_b32_e32 v1, 3, v36
	v_lshlrev_b32_e32 v2, 3, v35
	;; [unrolled: 1-line block ×3, first 2 shown]
	v_cndmask_b32_e64 v22, v38, v42, s[22:23]
	v_cndmask_b32_e64 v38, v119, v118, s[12:13]
	s_waitcnt lgkmcnt(0)
	s_barrier
	v_lshlrev_b32_e32 v4, 3, v33
	ds_read_b64 v[7:8], v1
	ds_read_b64 v[15:16], v2
	;; [unrolled: 1-line block ×4, first 2 shown]
	v_lshlrev_b32_e32 v1, 3, v31
	v_lshlrev_b32_e32 v2, 3, v21
	;; [unrolled: 1-line block ×4, first 2 shown]
	ds_read_b64 v[11:12], v1
	ds_read_b64 v[13:14], v2
	;; [unrolled: 1-line block ×4, first 2 shown]
	s_add_i32 s95, s95, 1
	v_cndmask_b32_e64 v30, v44, v48, s[24:25]
	v_cndmask_b32_e64 v29, v43, v47, s[24:25]
	;; [unrolled: 1-line block ×4, first 2 shown]
	s_cmp_eq_u32 s95, 10
	v_cndmask_b32_e64 v31, v45, v49, s[12:13]
	s_cbranch_scc1 .LBB139_226
.LBB139_2:                              ; =>This Loop Header: Depth=1
                                        ;     Child Loop BB139_4 Depth 2
                                        ;     Child Loop BB139_36 Depth 2
                                        ;     Child Loop BB139_68 Depth 2
                                        ;     Child Loop BB139_100 Depth 2
                                        ;     Child Loop BB139_132 Depth 2
                                        ;     Child Loop BB139_164 Depth 2
                                        ;     Child Loop BB139_196 Depth 2
	v_cmp_lt_i64_e64 s[12:13], v[27:28], v[17:18]
	v_cmp_lt_i64_e64 s[14:15], v[23:24], v[19:20]
	v_cmp_lt_i64_e64 s[16:17], v[29:30], v[25:26]
	v_cmp_lt_i64_e64 s[18:19], v[31:32], v[21:22]
	v_cndmask_b32_e64 v34, v18, v28, s[12:13]
	v_cndmask_b32_e64 v33, v17, v27, s[12:13]
	v_cndmask_b32_e64 v18, v28, v18, s[12:13]
	v_cndmask_b32_e64 v17, v27, v17, s[12:13]
	v_cndmask_b32_e64 v28, v24, v20, s[14:15]
	v_cndmask_b32_e64 v27, v23, v19, s[14:15]
	v_cndmask_b32_e64 v20, v20, v24, s[14:15]
	v_cndmask_b32_e64 v19, v19, v23, s[14:15]
	v_cndmask_b32_e64 v24, v30, v26, s[16:17]
	v_cndmask_b32_e64 v23, v29, v25, s[16:17]
	v_cndmask_b32_e64 v26, v26, v30, s[16:17]
	v_cndmask_b32_e64 v25, v25, v29, s[16:17]
	v_cndmask_b32_e64 v30, v32, v22, s[18:19]
	v_cndmask_b32_e64 v29, v31, v21, s[18:19]
	v_cndmask_b32_e64 v22, v22, v32, s[18:19]
	v_cndmask_b32_e64 v21, v21, v31, s[18:19]
	v_cmp_lt_i64_e64 s[20:21], v[19:20], v[17:18]
	v_cmp_lt_i64_e64 s[22:23], v[25:26], v[27:28]
	v_cmp_lt_i64_e64 s[24:25], v[21:22], v[23:24]
	v_cndmask_b32_e64 v32, v20, v18, s[20:21]
	v_cndmask_b32_e64 v31, v19, v17, s[20:21]
	v_cndmask_b32_e64 v18, v18, v20, s[20:21]
	v_cndmask_b32_e64 v17, v17, v19, s[20:21]
	v_cndmask_b32_e64 v20, v26, v28, s[22:23]
	v_cndmask_b32_e64 v19, v25, v27, s[22:23]
	v_cndmask_b32_e64 v26, v28, v26, s[22:23]
	v_cndmask_b32_e64 v25, v27, v25, s[22:23]
	v_cndmask_b32_e64 v28, v22, v24, s[24:25]
	v_cndmask_b32_e64 v27, v21, v23, s[24:25]
	v_cndmask_b32_e64 v22, v24, v22, s[24:25]
	v_cndmask_b32_e64 v21, v23, v21, s[24:25]
	v_cmp_lt_i64_e64 s[26:27], v[17:18], v[33:34]
	v_cmp_lt_i64_e64 s[28:29], v[25:26], v[31:32]
	v_cmp_lt_i64_e64 s[30:31], v[21:22], v[19:20]
	v_cmp_lt_i64_e64 s[34:35], v[29:30], v[27:28]
	v_cndmask_b32_e64 v24, v34, v18, s[26:27]
	v_cndmask_b32_e64 v23, v33, v17, s[26:27]
	v_cndmask_b32_e64 v18, v18, v34, s[26:27]
	v_cndmask_b32_e64 v17, v17, v33, s[26:27]
	v_cndmask_b32_e64 v34, v26, v32, s[28:29]
	v_cndmask_b32_e64 v33, v25, v31, s[28:29]
	v_cndmask_b32_e64 v26, v32, v26, s[28:29]
	v_cndmask_b32_e64 v25, v31, v25, s[28:29]
	v_cndmask_b32_e64 v32, v22, v20, s[30:31]
	v_cndmask_b32_e64 v31, v21, v19, s[30:31]
	v_cndmask_b32_e64 v20, v20, v22, s[30:31]
	v_cndmask_b32_e64 v19, v19, v21, s[30:31]
	v_cndmask_b32_e64 v22, v30, v28, s[34:35]
	v_cndmask_b32_e64 v21, v29, v27, s[34:35]
	v_cndmask_b32_e64 v28, v28, v30, s[34:35]
	v_cndmask_b32_e64 v27, v27, v29, s[34:35]
	v_cmp_lt_i64_e64 s[36:37], v[25:26], v[17:18]
	v_cmp_lt_i64_e64 s[38:39], v[19:20], v[33:34]
	v_cmp_lt_i64_e64 s[40:41], v[27:28], v[31:32]
	v_cndmask_b32_e64 v30, v26, v18, s[36:37]
	v_cndmask_b32_e64 v29, v25, v17, s[36:37]
	v_cndmask_b32_e64 v18, v18, v26, s[36:37]
	v_cndmask_b32_e64 v17, v17, v25, s[36:37]
	v_cndmask_b32_e64 v26, v20, v34, s[38:39]
	v_cndmask_b32_e64 v25, v19, v33, s[38:39]
	v_cndmask_b32_e64 v20, v34, v20, s[38:39]
	v_cndmask_b32_e64 v19, v33, v19, s[38:39]
	v_cndmask_b32_e64 v34, v28, v32, s[40:41]
	v_cndmask_b32_e64 v33, v27, v31, s[40:41]
	v_cndmask_b32_e64 v28, v32, v28, s[40:41]
	v_cndmask_b32_e64 v27, v31, v27, s[40:41]
	;; [unrolled: 35-line block ×3, first 2 shown]
	v_cmp_lt_i64_e64 s[56:57], v[17:18], v[31:32]
	v_cmp_lt_i64_e64 s[58:59], v[23:24], v[33:34]
	;; [unrolled: 1-line block ×4, first 2 shown]
	v_cndmask_b32_e64 v30, v18, v32, s[56:57]
	v_cndmask_b32_e64 v29, v17, v31, s[56:57]
	;; [unrolled: 1-line block ×14, first 2 shown]
	v_cmp_lt_i64_e64 s[64:65], v[23:24], v[29:30]
	v_cmp_lt_i64_e64 s[66:67], v[19:20], v[31:32]
	;; [unrolled: 1-line block ×3, first 2 shown]
	v_cndmask_b32_e64 v26, v28, v26, s[62:63]
	v_cndmask_b32_e64 v25, v27, v25, s[62:63]
	;; [unrolled: 1-line block ×14, first 2 shown]
	s_waitcnt lgkmcnt(0)
	s_barrier
	ds_write2_b64 v97, v[17:18], v[23:24] offset1:1
	ds_write2_b64 v97, v[27:28], v[19:20] offset0:2 offset1:3
	ds_write2_b64 v97, v[29:30], v[21:22] offset0:4 offset1:5
	;; [unrolled: 1-line block ×3, first 2 shown]
	v_mov_b32_e32 v21, v69
	s_waitcnt lgkmcnt(0)
	s_barrier
	s_and_saveexec_b64 s[72:73], vcc
	s_cbranch_execz .LBB139_6
; %bb.3:                                ;   in Loop: Header=BB139_2 Depth=1
	s_mov_b64 s[74:75], 0
	v_mov_b32_e32 v21, v69
	v_mov_b32_e32 v17, v70
.LBB139_4:                              ;   Parent Loop BB139_2 Depth=1
                                        ; =>  This Inner Loop Header: Depth=2
	v_sub_u32_e32 v18, v17, v21
	v_lshrrev_b32_e32 v18, 1, v18
	v_add_u32_e32 v20, v18, v21
	v_not_b32_e32 v19, v20
	v_lshl_add_u32 v18, v20, 3, v98
	v_lshl_add_u32 v22, v19, 3, v86
	ds_read_b64 v[18:19], v18
	ds_read_b64 v[22:23], v22
	v_add_u32_e32 v24, 1, v20
	s_waitcnt lgkmcnt(0)
	v_cmp_lt_i64_e64 s[70:71], v[22:23], v[18:19]
	v_cndmask_b32_e64 v17, v17, v20, s[70:71]
	v_cndmask_b32_e64 v21, v24, v21, s[70:71]
	v_cmp_ge_i32_e64 s[70:71], v21, v17
	s_or_b64 s[74:75], s[70:71], s[74:75]
	s_andn2_b64 exec, exec, s[74:75]
	s_cbranch_execnz .LBB139_4
; %bb.5:                                ;   in Loop: Header=BB139_2 Depth=1
	s_or_b64 exec, exec, s[74:75]
.LBB139_6:                              ;   in Loop: Header=BB139_2 Depth=1
	s_or_b64 exec, exec, s[72:73]
	v_sub_u32_e32 v49, v85, v21
	v_lshl_add_u32 v23, v21, 3, v98
	v_lshlrev_b32_e32 v25, 3, v49
	ds_read_b64 v[17:18], v23
	ds_read_b64 v[19:20], v25
	v_add_u32_e32 v50, v21, v51
	v_cmp_le_i32_e64 s[74:75], v57, v50
	v_cmp_gt_i32_e64 s[70:71], v58, v49
                                        ; implicit-def: $vgpr21_vgpr22
	s_waitcnt lgkmcnt(0)
	v_cmp_lt_i64_e64 s[72:73], v[19:20], v[17:18]
	s_or_b64 s[72:73], s[74:75], s[72:73]
	s_and_b64 s[70:71], s[70:71], s[72:73]
	s_xor_b64 s[72:73], s[70:71], -1
	s_and_saveexec_b64 s[74:75], s[72:73]
	s_xor_b64 s[72:73], exec, s[74:75]
; %bb.7:                                ;   in Loop: Header=BB139_2 Depth=1
	ds_read_b64 v[21:22], v23 offset:8
                                        ; implicit-def: $vgpr25
; %bb.8:                                ;   in Loop: Header=BB139_2 Depth=1
	s_or_saveexec_b64 s[72:73], s[72:73]
	v_mov_b32_e32 v24, v20
	v_mov_b32_e32 v23, v19
	s_xor_b64 exec, exec, s[72:73]
	s_cbranch_execz .LBB139_10
; %bb.9:                                ;   in Loop: Header=BB139_2 Depth=1
	ds_read_b64 v[23:24], v25 offset:8
	s_waitcnt lgkmcnt(1)
	v_mov_b32_e32 v22, v18
	v_mov_b32_e32 v21, v17
.LBB139_10:                             ;   in Loop: Header=BB139_2 Depth=1
	s_or_b64 exec, exec, s[72:73]
	v_add_u32_e32 v26, 1, v50
	v_add_u32_e32 v25, 1, v49
	v_cndmask_b32_e64 v106, v26, v50, s[70:71]
	s_waitcnt lgkmcnt(0)
	v_cmp_lt_i64_e64 s[74:75], v[23:24], v[21:22]
	v_cndmask_b32_e64 v105, v49, v25, s[70:71]
	v_cmp_ge_i32_e64 s[76:77], v106, v57
	v_cmp_lt_i32_e64 s[72:73], v105, v58
	s_or_b64 s[74:75], s[76:77], s[74:75]
	s_and_b64 s[72:73], s[72:73], s[74:75]
	s_xor_b64 s[74:75], s[72:73], -1
                                        ; implicit-def: $vgpr25_vgpr26
	s_and_saveexec_b64 s[76:77], s[74:75]
	s_xor_b64 s[74:75], exec, s[76:77]
; %bb.11:                               ;   in Loop: Header=BB139_2 Depth=1
	v_lshlrev_b32_e32 v25, 3, v106
	ds_read_b64 v[25:26], v25 offset:8
; %bb.12:                               ;   in Loop: Header=BB139_2 Depth=1
	s_or_saveexec_b64 s[74:75], s[74:75]
	v_mov_b32_e32 v28, v24
	v_mov_b32_e32 v27, v23
	s_xor_b64 exec, exec, s[74:75]
	s_cbranch_execz .LBB139_14
; %bb.13:                               ;   in Loop: Header=BB139_2 Depth=1
	s_waitcnt lgkmcnt(0)
	v_lshlrev_b32_e32 v25, 3, v105
	ds_read_b64 v[27:28], v25 offset:8
	v_mov_b32_e32 v26, v22
	v_mov_b32_e32 v25, v21
.LBB139_14:                             ;   in Loop: Header=BB139_2 Depth=1
	s_or_b64 exec, exec, s[74:75]
	v_add_u32_e32 v30, 1, v106
	v_add_u32_e32 v29, 1, v105
	v_cndmask_b32_e64 v108, v30, v106, s[72:73]
	s_waitcnt lgkmcnt(0)
	v_cmp_lt_i64_e64 s[76:77], v[27:28], v[25:26]
	v_cndmask_b32_e64 v107, v105, v29, s[72:73]
	v_cmp_ge_i32_e64 s[78:79], v108, v57
	v_cmp_lt_i32_e64 s[74:75], v107, v58
	s_or_b64 s[76:77], s[78:79], s[76:77]
	s_and_b64 s[74:75], s[74:75], s[76:77]
	s_xor_b64 s[76:77], s[74:75], -1
                                        ; implicit-def: $vgpr29_vgpr30
	s_and_saveexec_b64 s[78:79], s[76:77]
	s_xor_b64 s[76:77], exec, s[78:79]
; %bb.15:                               ;   in Loop: Header=BB139_2 Depth=1
	v_lshlrev_b32_e32 v29, 3, v108
	ds_read_b64 v[29:30], v29 offset:8
; %bb.16:                               ;   in Loop: Header=BB139_2 Depth=1
	s_or_saveexec_b64 s[76:77], s[76:77]
	v_mov_b32_e32 v32, v28
	v_mov_b32_e32 v31, v27
	s_xor_b64 exec, exec, s[76:77]
	s_cbranch_execz .LBB139_18
; %bb.17:                               ;   in Loop: Header=BB139_2 Depth=1
	s_waitcnt lgkmcnt(0)
	v_lshlrev_b32_e32 v29, 3, v107
	ds_read_b64 v[31:32], v29 offset:8
	v_mov_b32_e32 v30, v26
	v_mov_b32_e32 v29, v25
.LBB139_18:                             ;   in Loop: Header=BB139_2 Depth=1
	s_or_b64 exec, exec, s[76:77]
	v_add_u32_e32 v34, 1, v108
	v_add_u32_e32 v33, 1, v107
	v_cndmask_b32_e64 v110, v34, v108, s[74:75]
	s_waitcnt lgkmcnt(0)
	v_cmp_lt_i64_e64 s[78:79], v[31:32], v[29:30]
	v_cndmask_b32_e64 v109, v107, v33, s[74:75]
	v_cmp_ge_i32_e64 s[80:81], v110, v57
	v_cmp_lt_i32_e64 s[76:77], v109, v58
	s_or_b64 s[78:79], s[80:81], s[78:79]
	s_and_b64 s[76:77], s[76:77], s[78:79]
	s_xor_b64 s[78:79], s[76:77], -1
                                        ; implicit-def: $vgpr35_vgpr36
	s_and_saveexec_b64 s[80:81], s[78:79]
	s_xor_b64 s[78:79], exec, s[80:81]
; %bb.19:                               ;   in Loop: Header=BB139_2 Depth=1
	v_lshlrev_b32_e32 v33, 3, v110
	ds_read_b64 v[35:36], v33 offset:8
; %bb.20:                               ;   in Loop: Header=BB139_2 Depth=1
	s_or_saveexec_b64 s[78:79], s[78:79]
	v_mov_b32_e32 v40, v32
	v_mov_b32_e32 v39, v31
	s_xor_b64 exec, exec, s[78:79]
	s_cbranch_execz .LBB139_22
; %bb.21:                               ;   in Loop: Header=BB139_2 Depth=1
	v_lshlrev_b32_e32 v33, 3, v109
	ds_read_b64 v[39:40], v33 offset:8
	s_waitcnt lgkmcnt(1)
	v_mov_b32_e32 v36, v30
	v_mov_b32_e32 v35, v29
.LBB139_22:                             ;   in Loop: Header=BB139_2 Depth=1
	s_or_b64 exec, exec, s[78:79]
	v_add_u32_e32 v34, 1, v110
	v_add_u32_e32 v33, 1, v109
	v_cndmask_b32_e64 v112, v34, v110, s[76:77]
	s_waitcnt lgkmcnt(0)
	v_cmp_lt_i64_e64 s[80:81], v[39:40], v[35:36]
	v_cndmask_b32_e64 v111, v109, v33, s[76:77]
	v_cmp_ge_i32_e64 s[82:83], v112, v57
	v_cmp_lt_i32_e64 s[78:79], v111, v58
	s_or_b64 s[80:81], s[82:83], s[80:81]
	s_and_b64 s[78:79], s[78:79], s[80:81]
	s_xor_b64 s[80:81], s[78:79], -1
                                        ; implicit-def: $vgpr41_vgpr42
	s_and_saveexec_b64 s[82:83], s[80:81]
	s_xor_b64 s[80:81], exec, s[82:83]
; %bb.23:                               ;   in Loop: Header=BB139_2 Depth=1
	v_lshlrev_b32_e32 v33, 3, v112
	ds_read_b64 v[41:42], v33 offset:8
; %bb.24:                               ;   in Loop: Header=BB139_2 Depth=1
	s_or_saveexec_b64 s[80:81], s[80:81]
	v_mov_b32_e32 v44, v40
	v_mov_b32_e32 v43, v39
	s_xor_b64 exec, exec, s[80:81]
	s_cbranch_execz .LBB139_26
; %bb.25:                               ;   in Loop: Header=BB139_2 Depth=1
	v_lshlrev_b32_e32 v33, 3, v111
	ds_read_b64 v[43:44], v33 offset:8
	s_waitcnt lgkmcnt(1)
	v_mov_b32_e32 v42, v36
	v_mov_b32_e32 v41, v35
.LBB139_26:                             ;   in Loop: Header=BB139_2 Depth=1
	s_or_b64 exec, exec, s[80:81]
	v_add_u32_e32 v34, 1, v112
	v_add_u32_e32 v33, 1, v111
	v_cndmask_b32_e64 v114, v34, v112, s[78:79]
	s_waitcnt lgkmcnt(0)
	v_cmp_lt_i64_e64 s[82:83], v[43:44], v[41:42]
	v_cndmask_b32_e64 v113, v111, v33, s[78:79]
	v_cmp_ge_i32_e64 s[84:85], v114, v57
	v_cmp_lt_i32_e64 s[80:81], v113, v58
	s_or_b64 s[82:83], s[84:85], s[82:83]
	s_and_b64 s[80:81], s[80:81], s[82:83]
	s_xor_b64 s[82:83], s[80:81], -1
                                        ; implicit-def: $vgpr45_vgpr46
	s_and_saveexec_b64 s[84:85], s[82:83]
	s_xor_b64 s[82:83], exec, s[84:85]
; %bb.27:                               ;   in Loop: Header=BB139_2 Depth=1
	v_lshlrev_b32_e32 v33, 3, v114
	ds_read_b64 v[45:46], v33 offset:8
; %bb.28:                               ;   in Loop: Header=BB139_2 Depth=1
	s_or_saveexec_b64 s[82:83], s[82:83]
	v_mov_b32_e32 v48, v44
	v_mov_b32_e32 v47, v43
	s_xor_b64 exec, exec, s[82:83]
	s_cbranch_execz .LBB139_30
; %bb.29:                               ;   in Loop: Header=BB139_2 Depth=1
	v_lshlrev_b32_e32 v33, 3, v113
	ds_read_b64 v[47:48], v33 offset:8
	s_waitcnt lgkmcnt(1)
	v_mov_b32_e32 v46, v42
	v_mov_b32_e32 v45, v41
.LBB139_30:                             ;   in Loop: Header=BB139_2 Depth=1
	s_or_b64 exec, exec, s[82:83]
	v_add_u32_e32 v34, 1, v114
	v_add_u32_e32 v33, 1, v113
	v_cndmask_b32_e64 v116, v34, v114, s[80:81]
	s_waitcnt lgkmcnt(0)
	v_cmp_lt_i64_e64 s[84:85], v[47:48], v[45:46]
	v_cndmask_b32_e64 v115, v113, v33, s[80:81]
	v_cmp_ge_i32_e64 s[86:87], v116, v57
	v_cmp_lt_i32_e64 s[82:83], v115, v58
	s_or_b64 s[84:85], s[86:87], s[84:85]
	s_and_b64 s[82:83], s[82:83], s[84:85]
	s_xor_b64 s[84:85], s[82:83], -1
                                        ; implicit-def: $vgpr33_vgpr34
	s_and_saveexec_b64 s[86:87], s[84:85]
	s_xor_b64 s[84:85], exec, s[86:87]
; %bb.31:                               ;   in Loop: Header=BB139_2 Depth=1
	v_lshlrev_b32_e32 v33, 3, v116
	ds_read_b64 v[33:34], v33 offset:8
; %bb.32:                               ;   in Loop: Header=BB139_2 Depth=1
	s_or_saveexec_b64 s[84:85], s[84:85]
	v_mov_b32_e32 v37, v47
	v_mov_b32_e32 v38, v48
	s_xor_b64 exec, exec, s[84:85]
	s_cbranch_execz .LBB139_34
; %bb.33:                               ;   in Loop: Header=BB139_2 Depth=1
	s_waitcnt lgkmcnt(0)
	v_lshlrev_b32_e32 v33, 3, v115
	ds_read_b64 v[37:38], v33 offset:8
	v_mov_b32_e32 v33, v45
	v_mov_b32_e32 v34, v46
.LBB139_34:                             ;   in Loop: Header=BB139_2 Depth=1
	s_or_b64 exec, exec, s[84:85]
	v_cndmask_b32_e64 v18, v18, v20, s[70:71]
	v_cndmask_b32_e64 v17, v17, v19, s[70:71]
	;; [unrolled: 1-line block ×47, first 2 shown]
	v_add_u32_e32 v48, 1, v116
	v_cndmask_b32_e64 v15, v4, v6, s[36:37]
	v_cndmask_b32_e64 v16, v3, v5, s[36:37]
	;; [unrolled: 1-line block ×13, first 2 shown]
	v_add_u32_e32 v47, 1, v115
	v_cndmask_b32_e64 v48, v48, v116, s[82:83]
	v_cndmask_b32_e64 v13, v10, v3, s[42:43]
	;; [unrolled: 1-line block ×13, first 2 shown]
	s_waitcnt lgkmcnt(0)
	v_cmp_lt_i64_e64 s[14:15], v[37:38], v[33:34]
	v_cndmask_b32_e64 v47, v115, v47, s[82:83]
	v_cndmask_b32_e64 v30, v30, v32, s[76:77]
	;; [unrolled: 1-line block ×15, first 2 shown]
	v_cmp_ge_i32_e64 s[16:17], v48, v57
	v_cndmask_b32_e64 v9, v8, v16, s[54:55]
	v_cndmask_b32_e64 v10, v7, v15, s[54:55]
	;; [unrolled: 1-line block ×12, first 2 shown]
	v_cmp_lt_i32_e64 s[12:13], v47, v58
	s_or_b64 s[14:15], s[16:17], s[14:15]
	v_cndmask_b32_e64 v42, v42, v44, s[80:81]
	v_cndmask_b32_e64 v36, v36, v40, s[78:79]
	;; [unrolled: 1-line block ×20, first 2 shown]
	s_and_b64 s[12:13], s[12:13], s[14:15]
	v_cndmask_b32_e64 v115, v116, v115, s[82:83]
	v_cndmask_b32_e64 v41, v41, v43, s[80:81]
	;; [unrolled: 1-line block ×16, first 2 shown]
	s_barrier
	ds_write2_b64 v97, v[1:2], v[7:8] offset1:1
	ds_write2_b64 v97, v[5:6], v[11:12] offset0:2 offset1:3
	ds_write2_b64 v97, v[9:10], v[15:16] offset0:4 offset1:5
	;; [unrolled: 1-line block ×3, first 2 shown]
	v_lshlrev_b32_e32 v1, 3, v24
	v_lshlrev_b32_e32 v2, 3, v23
	;; [unrolled: 1-line block ×4, first 2 shown]
	s_waitcnt lgkmcnt(0)
	s_barrier
	ds_read_b64 v[9:10], v1
	ds_read_b64 v[13:14], v2
	;; [unrolled: 1-line block ×4, first 2 shown]
	v_lshlrev_b32_e32 v3, 3, v39
	v_lshlrev_b32_e32 v4, 3, v43
	;; [unrolled: 1-line block ×4, first 2 shown]
	ds_read_b64 v[11:12], v3
	ds_read_b64 v[15:16], v4
	ds_read_b64 v[3:4], v7
	ds_read_b64 v[7:8], v8
	v_cndmask_b32_e64 v20, v34, v38, s[12:13]
	v_cndmask_b32_e64 v19, v33, v37, s[12:13]
	s_waitcnt lgkmcnt(0)
	s_barrier
	ds_write2_b64 v97, v[17:18], v[21:22] offset1:1
	ds_write2_b64 v97, v[25:26], v[29:30] offset0:2 offset1:3
	ds_write2_b64 v97, v[35:36], v[41:42] offset0:4 offset1:5
	;; [unrolled: 1-line block ×3, first 2 shown]
	v_mov_b32_e32 v21, v71
	s_waitcnt lgkmcnt(0)
	s_barrier
	s_and_saveexec_b64 s[14:15], s[0:1]
	s_cbranch_execz .LBB139_38
; %bb.35:                               ;   in Loop: Header=BB139_2 Depth=1
	s_mov_b64 s[16:17], 0
	v_mov_b32_e32 v21, v71
	v_mov_b32_e32 v17, v72
.LBB139_36:                             ;   Parent Loop BB139_2 Depth=1
                                        ; =>  This Inner Loop Header: Depth=2
	v_sub_u32_e32 v18, v17, v21
	v_lshrrev_b32_e32 v18, 1, v18
	v_add_u32_e32 v20, v18, v21
	v_not_b32_e32 v19, v20
	v_lshl_add_u32 v18, v20, 3, v99
	v_lshl_add_u32 v22, v19, 3, v88
	ds_read_b64 v[18:19], v18
	ds_read_b64 v[22:23], v22
	v_add_u32_e32 v24, 1, v20
	s_waitcnt lgkmcnt(0)
	v_cmp_lt_i64_e64 s[12:13], v[22:23], v[18:19]
	v_cndmask_b32_e64 v17, v17, v20, s[12:13]
	v_cndmask_b32_e64 v21, v24, v21, s[12:13]
	v_cmp_ge_i32_e64 s[12:13], v21, v17
	s_or_b64 s[16:17], s[12:13], s[16:17]
	s_andn2_b64 exec, exec, s[16:17]
	s_cbranch_execnz .LBB139_36
; %bb.37:                               ;   in Loop: Header=BB139_2 Depth=1
	s_or_b64 exec, exec, s[16:17]
.LBB139_38:                             ;   in Loop: Header=BB139_2 Depth=1
	s_or_b64 exec, exec, s[14:15]
	v_sub_u32_e32 v49, v87, v21
	v_lshl_add_u32 v23, v21, 3, v99
	v_lshlrev_b32_e32 v25, 3, v49
	ds_read_b64 v[17:18], v23
	ds_read_b64 v[19:20], v25
	v_add_u32_e32 v50, v21, v52
	v_cmp_le_i32_e64 s[16:17], v59, v50
	v_cmp_gt_i32_e64 s[12:13], v60, v49
                                        ; implicit-def: $vgpr21_vgpr22
	s_waitcnt lgkmcnt(0)
	v_cmp_lt_i64_e64 s[14:15], v[19:20], v[17:18]
	s_or_b64 s[14:15], s[16:17], s[14:15]
	s_and_b64 s[12:13], s[12:13], s[14:15]
	s_xor_b64 s[14:15], s[12:13], -1
	s_and_saveexec_b64 s[16:17], s[14:15]
	s_xor_b64 s[14:15], exec, s[16:17]
; %bb.39:                               ;   in Loop: Header=BB139_2 Depth=1
	ds_read_b64 v[21:22], v23 offset:8
                                        ; implicit-def: $vgpr25
; %bb.40:                               ;   in Loop: Header=BB139_2 Depth=1
	s_or_saveexec_b64 s[14:15], s[14:15]
	v_mov_b32_e32 v24, v20
	v_mov_b32_e32 v23, v19
	s_xor_b64 exec, exec, s[14:15]
	s_cbranch_execz .LBB139_42
; %bb.41:                               ;   in Loop: Header=BB139_2 Depth=1
	ds_read_b64 v[23:24], v25 offset:8
	s_waitcnt lgkmcnt(1)
	v_mov_b32_e32 v22, v18
	v_mov_b32_e32 v21, v17
.LBB139_42:                             ;   in Loop: Header=BB139_2 Depth=1
	s_or_b64 exec, exec, s[14:15]
	v_add_u32_e32 v26, 1, v50
	v_add_u32_e32 v25, 1, v49
	v_cndmask_b32_e64 v106, v26, v50, s[12:13]
	s_waitcnt lgkmcnt(0)
	v_cmp_lt_i64_e64 s[16:17], v[23:24], v[21:22]
	v_cndmask_b32_e64 v105, v49, v25, s[12:13]
	v_cmp_ge_i32_e64 s[18:19], v106, v59
	v_cmp_lt_i32_e64 s[14:15], v105, v60
	s_or_b64 s[16:17], s[18:19], s[16:17]
	s_and_b64 s[14:15], s[14:15], s[16:17]
	s_xor_b64 s[16:17], s[14:15], -1
                                        ; implicit-def: $vgpr25_vgpr26
	s_and_saveexec_b64 s[18:19], s[16:17]
	s_xor_b64 s[16:17], exec, s[18:19]
; %bb.43:                               ;   in Loop: Header=BB139_2 Depth=1
	v_lshlrev_b32_e32 v25, 3, v106
	ds_read_b64 v[25:26], v25 offset:8
; %bb.44:                               ;   in Loop: Header=BB139_2 Depth=1
	s_or_saveexec_b64 s[16:17], s[16:17]
	v_mov_b32_e32 v28, v24
	v_mov_b32_e32 v27, v23
	s_xor_b64 exec, exec, s[16:17]
	s_cbranch_execz .LBB139_46
; %bb.45:                               ;   in Loop: Header=BB139_2 Depth=1
	s_waitcnt lgkmcnt(0)
	v_lshlrev_b32_e32 v25, 3, v105
	ds_read_b64 v[27:28], v25 offset:8
	v_mov_b32_e32 v26, v22
	v_mov_b32_e32 v25, v21
.LBB139_46:                             ;   in Loop: Header=BB139_2 Depth=1
	s_or_b64 exec, exec, s[16:17]
	v_add_u32_e32 v30, 1, v106
	v_add_u32_e32 v29, 1, v105
	v_cndmask_b32_e64 v108, v30, v106, s[14:15]
	s_waitcnt lgkmcnt(0)
	v_cmp_lt_i64_e64 s[18:19], v[27:28], v[25:26]
	v_cndmask_b32_e64 v107, v105, v29, s[14:15]
	v_cmp_ge_i32_e64 s[20:21], v108, v59
	v_cmp_lt_i32_e64 s[16:17], v107, v60
	s_or_b64 s[18:19], s[20:21], s[18:19]
	s_and_b64 s[16:17], s[16:17], s[18:19]
	s_xor_b64 s[18:19], s[16:17], -1
                                        ; implicit-def: $vgpr29_vgpr30
	s_and_saveexec_b64 s[20:21], s[18:19]
	s_xor_b64 s[18:19], exec, s[20:21]
; %bb.47:                               ;   in Loop: Header=BB139_2 Depth=1
	v_lshlrev_b32_e32 v29, 3, v108
	ds_read_b64 v[29:30], v29 offset:8
; %bb.48:                               ;   in Loop: Header=BB139_2 Depth=1
	s_or_saveexec_b64 s[18:19], s[18:19]
	v_mov_b32_e32 v32, v28
	v_mov_b32_e32 v31, v27
	s_xor_b64 exec, exec, s[18:19]
	s_cbranch_execz .LBB139_50
; %bb.49:                               ;   in Loop: Header=BB139_2 Depth=1
	s_waitcnt lgkmcnt(0)
	v_lshlrev_b32_e32 v29, 3, v107
	ds_read_b64 v[31:32], v29 offset:8
	v_mov_b32_e32 v30, v26
	v_mov_b32_e32 v29, v25
.LBB139_50:                             ;   in Loop: Header=BB139_2 Depth=1
	s_or_b64 exec, exec, s[18:19]
	v_add_u32_e32 v34, 1, v108
	v_add_u32_e32 v33, 1, v107
	v_cndmask_b32_e64 v110, v34, v108, s[16:17]
	s_waitcnt lgkmcnt(0)
	v_cmp_lt_i64_e64 s[20:21], v[31:32], v[29:30]
	v_cndmask_b32_e64 v109, v107, v33, s[16:17]
	v_cmp_ge_i32_e64 s[22:23], v110, v59
	v_cmp_lt_i32_e64 s[18:19], v109, v60
	s_or_b64 s[20:21], s[22:23], s[20:21]
	s_and_b64 s[18:19], s[18:19], s[20:21]
	s_xor_b64 s[20:21], s[18:19], -1
                                        ; implicit-def: $vgpr33_vgpr34
	s_and_saveexec_b64 s[22:23], s[20:21]
	s_xor_b64 s[20:21], exec, s[22:23]
; %bb.51:                               ;   in Loop: Header=BB139_2 Depth=1
	v_lshlrev_b32_e32 v33, 3, v110
	ds_read_b64 v[33:34], v33 offset:8
; %bb.52:                               ;   in Loop: Header=BB139_2 Depth=1
	s_or_saveexec_b64 s[20:21], s[20:21]
	v_mov_b32_e32 v36, v32
	v_mov_b32_e32 v35, v31
	s_xor_b64 exec, exec, s[20:21]
	s_cbranch_execz .LBB139_54
; %bb.53:                               ;   in Loop: Header=BB139_2 Depth=1
	s_waitcnt lgkmcnt(0)
	v_lshlrev_b32_e32 v33, 3, v109
	ds_read_b64 v[35:36], v33 offset:8
	v_mov_b32_e32 v34, v30
	v_mov_b32_e32 v33, v29
.LBB139_54:                             ;   in Loop: Header=BB139_2 Depth=1
	s_or_b64 exec, exec, s[20:21]
	v_add_u32_e32 v38, 1, v110
	v_add_u32_e32 v37, 1, v109
	v_cndmask_b32_e64 v112, v38, v110, s[18:19]
	s_waitcnt lgkmcnt(0)
	v_cmp_lt_i64_e64 s[22:23], v[35:36], v[33:34]
	v_cndmask_b32_e64 v111, v109, v37, s[18:19]
	v_cmp_ge_i32_e64 s[24:25], v112, v59
	v_cmp_lt_i32_e64 s[20:21], v111, v60
	s_or_b64 s[22:23], s[24:25], s[22:23]
	s_and_b64 s[20:21], s[20:21], s[22:23]
	s_xor_b64 s[22:23], s[20:21], -1
                                        ; implicit-def: $vgpr37_vgpr38
	s_and_saveexec_b64 s[24:25], s[22:23]
	s_xor_b64 s[22:23], exec, s[24:25]
; %bb.55:                               ;   in Loop: Header=BB139_2 Depth=1
	v_lshlrev_b32_e32 v37, 3, v112
	ds_read_b64 v[37:38], v37 offset:8
; %bb.56:                               ;   in Loop: Header=BB139_2 Depth=1
	s_or_saveexec_b64 s[22:23], s[22:23]
	v_mov_b32_e32 v40, v36
	v_mov_b32_e32 v39, v35
	s_xor_b64 exec, exec, s[22:23]
	s_cbranch_execz .LBB139_58
; %bb.57:                               ;   in Loop: Header=BB139_2 Depth=1
	s_waitcnt lgkmcnt(0)
	v_lshlrev_b32_e32 v37, 3, v111
	ds_read_b64 v[39:40], v37 offset:8
	v_mov_b32_e32 v38, v34
	v_mov_b32_e32 v37, v33
.LBB139_58:                             ;   in Loop: Header=BB139_2 Depth=1
	s_or_b64 exec, exec, s[22:23]
	v_add_u32_e32 v42, 1, v112
	v_add_u32_e32 v41, 1, v111
	v_cndmask_b32_e64 v114, v42, v112, s[20:21]
	s_waitcnt lgkmcnt(0)
	v_cmp_lt_i64_e64 s[24:25], v[39:40], v[37:38]
	v_cndmask_b32_e64 v113, v111, v41, s[20:21]
	v_cmp_ge_i32_e64 s[26:27], v114, v59
	v_cmp_lt_i32_e64 s[22:23], v113, v60
	s_or_b64 s[24:25], s[26:27], s[24:25]
	s_and_b64 s[22:23], s[22:23], s[24:25]
	s_xor_b64 s[24:25], s[22:23], -1
                                        ; implicit-def: $vgpr41_vgpr42
	s_and_saveexec_b64 s[26:27], s[24:25]
	s_xor_b64 s[24:25], exec, s[26:27]
; %bb.59:                               ;   in Loop: Header=BB139_2 Depth=1
	v_lshlrev_b32_e32 v41, 3, v114
	ds_read_b64 v[41:42], v41 offset:8
; %bb.60:                               ;   in Loop: Header=BB139_2 Depth=1
	s_or_saveexec_b64 s[24:25], s[24:25]
	v_mov_b32_e32 v46, v40
	v_mov_b32_e32 v45, v39
	s_xor_b64 exec, exec, s[24:25]
	s_cbranch_execz .LBB139_62
; %bb.61:                               ;   in Loop: Header=BB139_2 Depth=1
	s_waitcnt lgkmcnt(0)
	v_lshlrev_b32_e32 v41, 3, v113
	ds_read_b64 v[45:46], v41 offset:8
	v_mov_b32_e32 v42, v38
	v_mov_b32_e32 v41, v37
.LBB139_62:                             ;   in Loop: Header=BB139_2 Depth=1
	s_or_b64 exec, exec, s[24:25]
	v_add_u32_e32 v44, 1, v114
	v_add_u32_e32 v43, 1, v113
	v_cndmask_b32_e64 v116, v44, v114, s[22:23]
	s_waitcnt lgkmcnt(0)
	v_cmp_lt_i64_e64 s[26:27], v[45:46], v[41:42]
	v_cndmask_b32_e64 v115, v113, v43, s[22:23]
	v_cmp_ge_i32_e64 s[28:29], v116, v59
	v_cmp_lt_i32_e64 s[24:25], v115, v60
	s_or_b64 s[26:27], s[28:29], s[26:27]
	s_and_b64 s[24:25], s[24:25], s[26:27]
	s_xor_b64 s[26:27], s[24:25], -1
                                        ; implicit-def: $vgpr43_vgpr44
	s_and_saveexec_b64 s[28:29], s[26:27]
	s_xor_b64 s[26:27], exec, s[28:29]
; %bb.63:                               ;   in Loop: Header=BB139_2 Depth=1
	v_lshlrev_b32_e32 v43, 3, v116
	ds_read_b64 v[43:44], v43 offset:8
; %bb.64:                               ;   in Loop: Header=BB139_2 Depth=1
	s_or_saveexec_b64 s[26:27], s[26:27]
	v_mov_b32_e32 v48, v46
	v_mov_b32_e32 v47, v45
	s_xor_b64 exec, exec, s[26:27]
	s_cbranch_execz .LBB139_66
; %bb.65:                               ;   in Loop: Header=BB139_2 Depth=1
	s_waitcnt lgkmcnt(0)
	v_lshlrev_b32_e32 v43, 3, v115
	ds_read_b64 v[47:48], v43 offset:8
	v_mov_b32_e32 v44, v42
	v_mov_b32_e32 v43, v41
.LBB139_66:                             ;   in Loop: Header=BB139_2 Depth=1
	s_or_b64 exec, exec, s[26:27]
	v_cndmask_b32_e64 v42, v42, v46, s[24:25]
	v_add_u32_e32 v46, 1, v116
	v_cndmask_b32_e64 v41, v41, v45, s[24:25]
	v_add_u32_e32 v45, 1, v115
	v_cndmask_b32_e64 v46, v46, v116, s[24:25]
	v_cndmask_b32_e64 v22, v22, v24, s[14:15]
	;; [unrolled: 1-line block ×4, first 2 shown]
	s_waitcnt lgkmcnt(0)
	v_cmp_lt_i64_e64 s[14:15], v[47:48], v[43:44]
	v_cndmask_b32_e64 v45, v115, v45, s[24:25]
	v_cndmask_b32_e64 v26, v26, v28, s[16:17]
	;; [unrolled: 1-line block ×4, first 2 shown]
	v_cmp_ge_i32_e64 s[16:17], v46, v59
	v_cndmask_b32_e64 v18, v18, v20, s[12:13]
	v_cndmask_b32_e64 v17, v17, v19, s[12:13]
	;; [unrolled: 1-line block ×3, first 2 shown]
	v_cmp_lt_i32_e64 s[12:13], v45, v60
	s_or_b64 s[14:15], s[16:17], s[14:15]
	v_cndmask_b32_e64 v29, v29, v31, s[18:19]
	v_cndmask_b32_e64 v31, v110, v109, s[18:19]
	s_and_b64 s[12:13], s[12:13], s[14:15]
	v_cndmask_b32_e64 v115, v116, v115, s[24:25]
	v_cndmask_b32_e64 v37, v37, v39, s[22:23]
	;; [unrolled: 1-line block ×6, first 2 shown]
	s_barrier
	ds_write2_b64 v97, v[9:10], v[13:14] offset1:1
	ds_write2_b64 v97, v[1:2], v[5:6] offset0:2 offset1:3
	ds_write2_b64 v97, v[11:12], v[15:16] offset0:4 offset1:5
	;; [unrolled: 1-line block ×3, first 2 shown]
	v_lshlrev_b32_e32 v1, 3, v24
	v_lshlrev_b32_e32 v2, 3, v23
	;; [unrolled: 1-line block ×4, first 2 shown]
	s_waitcnt lgkmcnt(0)
	s_barrier
	ds_read_b64 v[9:10], v1
	ds_read_b64 v[13:14], v2
	;; [unrolled: 1-line block ×4, first 2 shown]
	v_lshlrev_b32_e32 v3, 3, v35
	v_lshlrev_b32_e32 v4, 3, v39
	v_lshlrev_b32_e32 v7, 3, v115
	v_lshlrev_b32_e32 v8, 3, v28
	ds_read_b64 v[11:12], v3
	ds_read_b64 v[15:16], v4
	;; [unrolled: 1-line block ×4, first 2 shown]
	v_cndmask_b32_e64 v38, v38, v40, s[22:23]
	v_cndmask_b32_e64 v34, v34, v36, s[20:21]
	;; [unrolled: 1-line block ×5, first 2 shown]
	s_waitcnt lgkmcnt(0)
	s_barrier
	ds_write2_b64 v97, v[17:18], v[21:22] offset1:1
	ds_write2_b64 v97, v[25:26], v[29:30] offset0:2 offset1:3
	ds_write2_b64 v97, v[33:34], v[37:38] offset0:4 offset1:5
	;; [unrolled: 1-line block ×3, first 2 shown]
	v_mov_b32_e32 v21, v73
	s_waitcnt lgkmcnt(0)
	s_barrier
	s_and_saveexec_b64 s[14:15], s[2:3]
	s_cbranch_execz .LBB139_70
; %bb.67:                               ;   in Loop: Header=BB139_2 Depth=1
	s_mov_b64 s[16:17], 0
	v_mov_b32_e32 v21, v73
	v_mov_b32_e32 v17, v74
.LBB139_68:                             ;   Parent Loop BB139_2 Depth=1
                                        ; =>  This Inner Loop Header: Depth=2
	v_sub_u32_e32 v18, v17, v21
	v_lshrrev_b32_e32 v18, 1, v18
	v_add_u32_e32 v20, v18, v21
	v_not_b32_e32 v19, v20
	v_lshl_add_u32 v18, v20, 3, v100
	v_lshl_add_u32 v22, v19, 3, v90
	ds_read_b64 v[18:19], v18
	ds_read_b64 v[22:23], v22
	v_add_u32_e32 v24, 1, v20
	s_waitcnt lgkmcnt(0)
	v_cmp_lt_i64_e64 s[12:13], v[22:23], v[18:19]
	v_cndmask_b32_e64 v17, v17, v20, s[12:13]
	v_cndmask_b32_e64 v21, v24, v21, s[12:13]
	v_cmp_ge_i32_e64 s[12:13], v21, v17
	s_or_b64 s[16:17], s[12:13], s[16:17]
	s_andn2_b64 exec, exec, s[16:17]
	s_cbranch_execnz .LBB139_68
; %bb.69:                               ;   in Loop: Header=BB139_2 Depth=1
	s_or_b64 exec, exec, s[16:17]
.LBB139_70:                             ;   in Loop: Header=BB139_2 Depth=1
	s_or_b64 exec, exec, s[14:15]
	v_sub_u32_e32 v49, v89, v21
	v_lshl_add_u32 v23, v21, 3, v100
	v_lshlrev_b32_e32 v25, 3, v49
	ds_read_b64 v[17:18], v23
	ds_read_b64 v[19:20], v25
	v_add_u32_e32 v50, v21, v53
	v_cmp_le_i32_e64 s[16:17], v61, v50
	v_cmp_gt_i32_e64 s[12:13], v62, v49
                                        ; implicit-def: $vgpr21_vgpr22
	s_waitcnt lgkmcnt(0)
	v_cmp_lt_i64_e64 s[14:15], v[19:20], v[17:18]
	s_or_b64 s[14:15], s[16:17], s[14:15]
	s_and_b64 s[12:13], s[12:13], s[14:15]
	s_xor_b64 s[14:15], s[12:13], -1
	s_and_saveexec_b64 s[16:17], s[14:15]
	s_xor_b64 s[14:15], exec, s[16:17]
; %bb.71:                               ;   in Loop: Header=BB139_2 Depth=1
	ds_read_b64 v[21:22], v23 offset:8
                                        ; implicit-def: $vgpr25
; %bb.72:                               ;   in Loop: Header=BB139_2 Depth=1
	s_or_saveexec_b64 s[14:15], s[14:15]
	v_mov_b32_e32 v24, v20
	v_mov_b32_e32 v23, v19
	s_xor_b64 exec, exec, s[14:15]
	s_cbranch_execz .LBB139_74
; %bb.73:                               ;   in Loop: Header=BB139_2 Depth=1
	ds_read_b64 v[23:24], v25 offset:8
	s_waitcnt lgkmcnt(1)
	v_mov_b32_e32 v22, v18
	v_mov_b32_e32 v21, v17
.LBB139_74:                             ;   in Loop: Header=BB139_2 Depth=1
	s_or_b64 exec, exec, s[14:15]
	v_add_u32_e32 v26, 1, v50
	v_add_u32_e32 v25, 1, v49
	v_cndmask_b32_e64 v106, v26, v50, s[12:13]
	s_waitcnt lgkmcnt(0)
	v_cmp_lt_i64_e64 s[16:17], v[23:24], v[21:22]
	v_cndmask_b32_e64 v105, v49, v25, s[12:13]
	v_cmp_ge_i32_e64 s[18:19], v106, v61
	v_cmp_lt_i32_e64 s[14:15], v105, v62
	s_or_b64 s[16:17], s[18:19], s[16:17]
	s_and_b64 s[14:15], s[14:15], s[16:17]
	s_xor_b64 s[16:17], s[14:15], -1
                                        ; implicit-def: $vgpr25_vgpr26
	s_and_saveexec_b64 s[18:19], s[16:17]
	s_xor_b64 s[16:17], exec, s[18:19]
; %bb.75:                               ;   in Loop: Header=BB139_2 Depth=1
	v_lshlrev_b32_e32 v25, 3, v106
	ds_read_b64 v[25:26], v25 offset:8
; %bb.76:                               ;   in Loop: Header=BB139_2 Depth=1
	s_or_saveexec_b64 s[16:17], s[16:17]
	v_mov_b32_e32 v28, v24
	v_mov_b32_e32 v27, v23
	s_xor_b64 exec, exec, s[16:17]
	s_cbranch_execz .LBB139_78
; %bb.77:                               ;   in Loop: Header=BB139_2 Depth=1
	s_waitcnt lgkmcnt(0)
	v_lshlrev_b32_e32 v25, 3, v105
	ds_read_b64 v[27:28], v25 offset:8
	v_mov_b32_e32 v26, v22
	v_mov_b32_e32 v25, v21
.LBB139_78:                             ;   in Loop: Header=BB139_2 Depth=1
	s_or_b64 exec, exec, s[16:17]
	v_add_u32_e32 v30, 1, v106
	v_add_u32_e32 v29, 1, v105
	v_cndmask_b32_e64 v108, v30, v106, s[14:15]
	s_waitcnt lgkmcnt(0)
	v_cmp_lt_i64_e64 s[18:19], v[27:28], v[25:26]
	v_cndmask_b32_e64 v107, v105, v29, s[14:15]
	v_cmp_ge_i32_e64 s[20:21], v108, v61
	v_cmp_lt_i32_e64 s[16:17], v107, v62
	s_or_b64 s[18:19], s[20:21], s[18:19]
	s_and_b64 s[16:17], s[16:17], s[18:19]
	s_xor_b64 s[18:19], s[16:17], -1
                                        ; implicit-def: $vgpr29_vgpr30
	s_and_saveexec_b64 s[20:21], s[18:19]
	s_xor_b64 s[18:19], exec, s[20:21]
; %bb.79:                               ;   in Loop: Header=BB139_2 Depth=1
	v_lshlrev_b32_e32 v29, 3, v108
	ds_read_b64 v[29:30], v29 offset:8
; %bb.80:                               ;   in Loop: Header=BB139_2 Depth=1
	s_or_saveexec_b64 s[18:19], s[18:19]
	v_mov_b32_e32 v32, v28
	v_mov_b32_e32 v31, v27
	s_xor_b64 exec, exec, s[18:19]
	s_cbranch_execz .LBB139_82
; %bb.81:                               ;   in Loop: Header=BB139_2 Depth=1
	s_waitcnt lgkmcnt(0)
	v_lshlrev_b32_e32 v29, 3, v107
	ds_read_b64 v[31:32], v29 offset:8
	v_mov_b32_e32 v30, v26
	v_mov_b32_e32 v29, v25
.LBB139_82:                             ;   in Loop: Header=BB139_2 Depth=1
	s_or_b64 exec, exec, s[18:19]
	v_add_u32_e32 v34, 1, v108
	v_add_u32_e32 v33, 1, v107
	v_cndmask_b32_e64 v110, v34, v108, s[16:17]
	s_waitcnt lgkmcnt(0)
	v_cmp_lt_i64_e64 s[20:21], v[31:32], v[29:30]
	v_cndmask_b32_e64 v109, v107, v33, s[16:17]
	v_cmp_ge_i32_e64 s[22:23], v110, v61
	v_cmp_lt_i32_e64 s[18:19], v109, v62
	s_or_b64 s[20:21], s[22:23], s[20:21]
	s_and_b64 s[18:19], s[18:19], s[20:21]
	s_xor_b64 s[20:21], s[18:19], -1
                                        ; implicit-def: $vgpr33_vgpr34
	s_and_saveexec_b64 s[22:23], s[20:21]
	s_xor_b64 s[20:21], exec, s[22:23]
; %bb.83:                               ;   in Loop: Header=BB139_2 Depth=1
	v_lshlrev_b32_e32 v33, 3, v110
	ds_read_b64 v[33:34], v33 offset:8
; %bb.84:                               ;   in Loop: Header=BB139_2 Depth=1
	s_or_saveexec_b64 s[20:21], s[20:21]
	v_mov_b32_e32 v36, v32
	v_mov_b32_e32 v35, v31
	s_xor_b64 exec, exec, s[20:21]
	s_cbranch_execz .LBB139_86
; %bb.85:                               ;   in Loop: Header=BB139_2 Depth=1
	s_waitcnt lgkmcnt(0)
	v_lshlrev_b32_e32 v33, 3, v109
	ds_read_b64 v[35:36], v33 offset:8
	v_mov_b32_e32 v34, v30
	v_mov_b32_e32 v33, v29
.LBB139_86:                             ;   in Loop: Header=BB139_2 Depth=1
	s_or_b64 exec, exec, s[20:21]
	v_add_u32_e32 v38, 1, v110
	v_add_u32_e32 v37, 1, v109
	v_cndmask_b32_e64 v112, v38, v110, s[18:19]
	s_waitcnt lgkmcnt(0)
	v_cmp_lt_i64_e64 s[22:23], v[35:36], v[33:34]
	v_cndmask_b32_e64 v111, v109, v37, s[18:19]
	v_cmp_ge_i32_e64 s[24:25], v112, v61
	v_cmp_lt_i32_e64 s[20:21], v111, v62
	s_or_b64 s[22:23], s[24:25], s[22:23]
	s_and_b64 s[20:21], s[20:21], s[22:23]
	s_xor_b64 s[22:23], s[20:21], -1
                                        ; implicit-def: $vgpr37_vgpr38
	s_and_saveexec_b64 s[24:25], s[22:23]
	s_xor_b64 s[22:23], exec, s[24:25]
; %bb.87:                               ;   in Loop: Header=BB139_2 Depth=1
	v_lshlrev_b32_e32 v37, 3, v112
	ds_read_b64 v[37:38], v37 offset:8
; %bb.88:                               ;   in Loop: Header=BB139_2 Depth=1
	s_or_saveexec_b64 s[22:23], s[22:23]
	v_mov_b32_e32 v40, v36
	v_mov_b32_e32 v39, v35
	s_xor_b64 exec, exec, s[22:23]
	s_cbranch_execz .LBB139_90
; %bb.89:                               ;   in Loop: Header=BB139_2 Depth=1
	s_waitcnt lgkmcnt(0)
	v_lshlrev_b32_e32 v37, 3, v111
	ds_read_b64 v[39:40], v37 offset:8
	v_mov_b32_e32 v38, v34
	v_mov_b32_e32 v37, v33
.LBB139_90:                             ;   in Loop: Header=BB139_2 Depth=1
	s_or_b64 exec, exec, s[22:23]
	v_add_u32_e32 v42, 1, v112
	v_add_u32_e32 v41, 1, v111
	v_cndmask_b32_e64 v114, v42, v112, s[20:21]
	s_waitcnt lgkmcnt(0)
	v_cmp_lt_i64_e64 s[24:25], v[39:40], v[37:38]
	v_cndmask_b32_e64 v113, v111, v41, s[20:21]
	v_cmp_ge_i32_e64 s[26:27], v114, v61
	v_cmp_lt_i32_e64 s[22:23], v113, v62
	s_or_b64 s[24:25], s[26:27], s[24:25]
	s_and_b64 s[22:23], s[22:23], s[24:25]
	s_xor_b64 s[24:25], s[22:23], -1
                                        ; implicit-def: $vgpr41_vgpr42
	s_and_saveexec_b64 s[26:27], s[24:25]
	s_xor_b64 s[24:25], exec, s[26:27]
; %bb.91:                               ;   in Loop: Header=BB139_2 Depth=1
	v_lshlrev_b32_e32 v41, 3, v114
	ds_read_b64 v[41:42], v41 offset:8
; %bb.92:                               ;   in Loop: Header=BB139_2 Depth=1
	s_or_saveexec_b64 s[24:25], s[24:25]
	v_mov_b32_e32 v46, v40
	v_mov_b32_e32 v45, v39
	s_xor_b64 exec, exec, s[24:25]
	s_cbranch_execz .LBB139_94
; %bb.93:                               ;   in Loop: Header=BB139_2 Depth=1
	s_waitcnt lgkmcnt(0)
	v_lshlrev_b32_e32 v41, 3, v113
	ds_read_b64 v[45:46], v41 offset:8
	v_mov_b32_e32 v42, v38
	v_mov_b32_e32 v41, v37
.LBB139_94:                             ;   in Loop: Header=BB139_2 Depth=1
	s_or_b64 exec, exec, s[24:25]
	v_add_u32_e32 v44, 1, v114
	v_add_u32_e32 v43, 1, v113
	v_cndmask_b32_e64 v116, v44, v114, s[22:23]
	s_waitcnt lgkmcnt(0)
	v_cmp_lt_i64_e64 s[26:27], v[45:46], v[41:42]
	v_cndmask_b32_e64 v115, v113, v43, s[22:23]
	v_cmp_ge_i32_e64 s[28:29], v116, v61
	v_cmp_lt_i32_e64 s[24:25], v115, v62
	s_or_b64 s[26:27], s[28:29], s[26:27]
	s_and_b64 s[24:25], s[24:25], s[26:27]
	s_xor_b64 s[26:27], s[24:25], -1
                                        ; implicit-def: $vgpr43_vgpr44
	s_and_saveexec_b64 s[28:29], s[26:27]
	s_xor_b64 s[26:27], exec, s[28:29]
; %bb.95:                               ;   in Loop: Header=BB139_2 Depth=1
	v_lshlrev_b32_e32 v43, 3, v116
	ds_read_b64 v[43:44], v43 offset:8
; %bb.96:                               ;   in Loop: Header=BB139_2 Depth=1
	s_or_saveexec_b64 s[26:27], s[26:27]
	v_mov_b32_e32 v48, v46
	v_mov_b32_e32 v47, v45
	s_xor_b64 exec, exec, s[26:27]
	s_cbranch_execz .LBB139_98
; %bb.97:                               ;   in Loop: Header=BB139_2 Depth=1
	s_waitcnt lgkmcnt(0)
	v_lshlrev_b32_e32 v43, 3, v115
	ds_read_b64 v[47:48], v43 offset:8
	v_mov_b32_e32 v44, v42
	v_mov_b32_e32 v43, v41
.LBB139_98:                             ;   in Loop: Header=BB139_2 Depth=1
	s_or_b64 exec, exec, s[26:27]
	v_cndmask_b32_e64 v42, v42, v46, s[24:25]
	v_add_u32_e32 v46, 1, v116
	v_cndmask_b32_e64 v41, v41, v45, s[24:25]
	v_add_u32_e32 v45, 1, v115
	v_cndmask_b32_e64 v46, v46, v116, s[24:25]
	v_cndmask_b32_e64 v22, v22, v24, s[14:15]
	;; [unrolled: 1-line block ×4, first 2 shown]
	s_waitcnt lgkmcnt(0)
	v_cmp_lt_i64_e64 s[14:15], v[47:48], v[43:44]
	v_cndmask_b32_e64 v45, v115, v45, s[24:25]
	v_cndmask_b32_e64 v26, v26, v28, s[16:17]
	;; [unrolled: 1-line block ×4, first 2 shown]
	v_cmp_ge_i32_e64 s[16:17], v46, v61
	v_cndmask_b32_e64 v18, v18, v20, s[12:13]
	v_cndmask_b32_e64 v17, v17, v19, s[12:13]
	v_cndmask_b32_e64 v24, v50, v49, s[12:13]
	v_cmp_lt_i32_e64 s[12:13], v45, v62
	s_or_b64 s[14:15], s[16:17], s[14:15]
	v_cndmask_b32_e64 v29, v29, v31, s[18:19]
	v_cndmask_b32_e64 v31, v110, v109, s[18:19]
	s_and_b64 s[12:13], s[12:13], s[14:15]
	v_cndmask_b32_e64 v115, v116, v115, s[24:25]
	v_cndmask_b32_e64 v37, v37, v39, s[22:23]
	;; [unrolled: 1-line block ×6, first 2 shown]
	s_barrier
	ds_write2_b64 v97, v[9:10], v[13:14] offset1:1
	ds_write2_b64 v97, v[1:2], v[5:6] offset0:2 offset1:3
	ds_write2_b64 v97, v[11:12], v[15:16] offset0:4 offset1:5
	;; [unrolled: 1-line block ×3, first 2 shown]
	v_lshlrev_b32_e32 v1, 3, v24
	v_lshlrev_b32_e32 v2, 3, v23
	;; [unrolled: 1-line block ×4, first 2 shown]
	s_waitcnt lgkmcnt(0)
	s_barrier
	ds_read_b64 v[9:10], v1
	ds_read_b64 v[13:14], v2
	;; [unrolled: 1-line block ×4, first 2 shown]
	v_lshlrev_b32_e32 v3, 3, v35
	v_lshlrev_b32_e32 v4, 3, v39
	;; [unrolled: 1-line block ×4, first 2 shown]
	ds_read_b64 v[11:12], v3
	ds_read_b64 v[15:16], v4
	;; [unrolled: 1-line block ×4, first 2 shown]
	v_cndmask_b32_e64 v38, v38, v40, s[22:23]
	v_cndmask_b32_e64 v34, v34, v36, s[20:21]
	;; [unrolled: 1-line block ×5, first 2 shown]
	s_waitcnt lgkmcnt(0)
	s_barrier
	ds_write2_b64 v97, v[17:18], v[21:22] offset1:1
	ds_write2_b64 v97, v[25:26], v[29:30] offset0:2 offset1:3
	ds_write2_b64 v97, v[33:34], v[37:38] offset0:4 offset1:5
	;; [unrolled: 1-line block ×3, first 2 shown]
	v_mov_b32_e32 v21, v75
	s_waitcnt lgkmcnt(0)
	s_barrier
	s_and_saveexec_b64 s[14:15], s[4:5]
	s_cbranch_execz .LBB139_102
; %bb.99:                               ;   in Loop: Header=BB139_2 Depth=1
	s_mov_b64 s[16:17], 0
	v_mov_b32_e32 v21, v75
	v_mov_b32_e32 v17, v76
.LBB139_100:                            ;   Parent Loop BB139_2 Depth=1
                                        ; =>  This Inner Loop Header: Depth=2
	v_sub_u32_e32 v18, v17, v21
	v_lshrrev_b32_e32 v18, 1, v18
	v_add_u32_e32 v20, v18, v21
	v_not_b32_e32 v19, v20
	v_lshl_add_u32 v18, v20, 3, v101
	v_lshl_add_u32 v22, v19, 3, v92
	ds_read_b64 v[18:19], v18
	ds_read_b64 v[22:23], v22
	v_add_u32_e32 v24, 1, v20
	s_waitcnt lgkmcnt(0)
	v_cmp_lt_i64_e64 s[12:13], v[22:23], v[18:19]
	v_cndmask_b32_e64 v17, v17, v20, s[12:13]
	v_cndmask_b32_e64 v21, v24, v21, s[12:13]
	v_cmp_ge_i32_e64 s[12:13], v21, v17
	s_or_b64 s[16:17], s[12:13], s[16:17]
	s_andn2_b64 exec, exec, s[16:17]
	s_cbranch_execnz .LBB139_100
; %bb.101:                              ;   in Loop: Header=BB139_2 Depth=1
	s_or_b64 exec, exec, s[16:17]
.LBB139_102:                            ;   in Loop: Header=BB139_2 Depth=1
	s_or_b64 exec, exec, s[14:15]
	v_sub_u32_e32 v49, v91, v21
	v_lshl_add_u32 v23, v21, 3, v101
	v_lshlrev_b32_e32 v25, 3, v49
	ds_read_b64 v[17:18], v23
	ds_read_b64 v[19:20], v25
	v_add_u32_e32 v50, v21, v54
	v_cmp_le_i32_e64 s[16:17], v63, v50
	v_cmp_gt_i32_e64 s[12:13], v64, v49
                                        ; implicit-def: $vgpr21_vgpr22
	s_waitcnt lgkmcnt(0)
	v_cmp_lt_i64_e64 s[14:15], v[19:20], v[17:18]
	s_or_b64 s[14:15], s[16:17], s[14:15]
	s_and_b64 s[12:13], s[12:13], s[14:15]
	s_xor_b64 s[14:15], s[12:13], -1
	s_and_saveexec_b64 s[16:17], s[14:15]
	s_xor_b64 s[14:15], exec, s[16:17]
; %bb.103:                              ;   in Loop: Header=BB139_2 Depth=1
	ds_read_b64 v[21:22], v23 offset:8
                                        ; implicit-def: $vgpr25
; %bb.104:                              ;   in Loop: Header=BB139_2 Depth=1
	s_or_saveexec_b64 s[14:15], s[14:15]
	v_mov_b32_e32 v24, v20
	v_mov_b32_e32 v23, v19
	s_xor_b64 exec, exec, s[14:15]
	s_cbranch_execz .LBB139_106
; %bb.105:                              ;   in Loop: Header=BB139_2 Depth=1
	ds_read_b64 v[23:24], v25 offset:8
	s_waitcnt lgkmcnt(1)
	v_mov_b32_e32 v22, v18
	v_mov_b32_e32 v21, v17
.LBB139_106:                            ;   in Loop: Header=BB139_2 Depth=1
	s_or_b64 exec, exec, s[14:15]
	v_add_u32_e32 v26, 1, v50
	v_add_u32_e32 v25, 1, v49
	v_cndmask_b32_e64 v106, v26, v50, s[12:13]
	s_waitcnt lgkmcnt(0)
	v_cmp_lt_i64_e64 s[16:17], v[23:24], v[21:22]
	v_cndmask_b32_e64 v105, v49, v25, s[12:13]
	v_cmp_ge_i32_e64 s[18:19], v106, v63
	v_cmp_lt_i32_e64 s[14:15], v105, v64
	s_or_b64 s[16:17], s[18:19], s[16:17]
	s_and_b64 s[14:15], s[14:15], s[16:17]
	s_xor_b64 s[16:17], s[14:15], -1
                                        ; implicit-def: $vgpr25_vgpr26
	s_and_saveexec_b64 s[18:19], s[16:17]
	s_xor_b64 s[16:17], exec, s[18:19]
; %bb.107:                              ;   in Loop: Header=BB139_2 Depth=1
	v_lshlrev_b32_e32 v25, 3, v106
	ds_read_b64 v[25:26], v25 offset:8
; %bb.108:                              ;   in Loop: Header=BB139_2 Depth=1
	s_or_saveexec_b64 s[16:17], s[16:17]
	v_mov_b32_e32 v28, v24
	v_mov_b32_e32 v27, v23
	s_xor_b64 exec, exec, s[16:17]
	s_cbranch_execz .LBB139_110
; %bb.109:                              ;   in Loop: Header=BB139_2 Depth=1
	s_waitcnt lgkmcnt(0)
	v_lshlrev_b32_e32 v25, 3, v105
	ds_read_b64 v[27:28], v25 offset:8
	v_mov_b32_e32 v26, v22
	v_mov_b32_e32 v25, v21
.LBB139_110:                            ;   in Loop: Header=BB139_2 Depth=1
	s_or_b64 exec, exec, s[16:17]
	v_add_u32_e32 v30, 1, v106
	v_add_u32_e32 v29, 1, v105
	v_cndmask_b32_e64 v108, v30, v106, s[14:15]
	s_waitcnt lgkmcnt(0)
	v_cmp_lt_i64_e64 s[18:19], v[27:28], v[25:26]
	v_cndmask_b32_e64 v107, v105, v29, s[14:15]
	v_cmp_ge_i32_e64 s[20:21], v108, v63
	v_cmp_lt_i32_e64 s[16:17], v107, v64
	s_or_b64 s[18:19], s[20:21], s[18:19]
	s_and_b64 s[16:17], s[16:17], s[18:19]
	s_xor_b64 s[18:19], s[16:17], -1
                                        ; implicit-def: $vgpr29_vgpr30
	s_and_saveexec_b64 s[20:21], s[18:19]
	s_xor_b64 s[18:19], exec, s[20:21]
; %bb.111:                              ;   in Loop: Header=BB139_2 Depth=1
	v_lshlrev_b32_e32 v29, 3, v108
	ds_read_b64 v[29:30], v29 offset:8
; %bb.112:                              ;   in Loop: Header=BB139_2 Depth=1
	s_or_saveexec_b64 s[18:19], s[18:19]
	v_mov_b32_e32 v32, v28
	v_mov_b32_e32 v31, v27
	s_xor_b64 exec, exec, s[18:19]
	s_cbranch_execz .LBB139_114
; %bb.113:                              ;   in Loop: Header=BB139_2 Depth=1
	s_waitcnt lgkmcnt(0)
	v_lshlrev_b32_e32 v29, 3, v107
	ds_read_b64 v[31:32], v29 offset:8
	v_mov_b32_e32 v30, v26
	v_mov_b32_e32 v29, v25
.LBB139_114:                            ;   in Loop: Header=BB139_2 Depth=1
	s_or_b64 exec, exec, s[18:19]
	v_add_u32_e32 v34, 1, v108
	v_add_u32_e32 v33, 1, v107
	v_cndmask_b32_e64 v110, v34, v108, s[16:17]
	s_waitcnt lgkmcnt(0)
	v_cmp_lt_i64_e64 s[20:21], v[31:32], v[29:30]
	v_cndmask_b32_e64 v109, v107, v33, s[16:17]
	v_cmp_ge_i32_e64 s[22:23], v110, v63
	v_cmp_lt_i32_e64 s[18:19], v109, v64
	s_or_b64 s[20:21], s[22:23], s[20:21]
	s_and_b64 s[18:19], s[18:19], s[20:21]
	s_xor_b64 s[20:21], s[18:19], -1
                                        ; implicit-def: $vgpr33_vgpr34
	s_and_saveexec_b64 s[22:23], s[20:21]
	s_xor_b64 s[20:21], exec, s[22:23]
; %bb.115:                              ;   in Loop: Header=BB139_2 Depth=1
	v_lshlrev_b32_e32 v33, 3, v110
	ds_read_b64 v[33:34], v33 offset:8
; %bb.116:                              ;   in Loop: Header=BB139_2 Depth=1
	s_or_saveexec_b64 s[20:21], s[20:21]
	v_mov_b32_e32 v36, v32
	v_mov_b32_e32 v35, v31
	s_xor_b64 exec, exec, s[20:21]
	s_cbranch_execz .LBB139_118
; %bb.117:                              ;   in Loop: Header=BB139_2 Depth=1
	s_waitcnt lgkmcnt(0)
	v_lshlrev_b32_e32 v33, 3, v109
	ds_read_b64 v[35:36], v33 offset:8
	v_mov_b32_e32 v34, v30
	v_mov_b32_e32 v33, v29
.LBB139_118:                            ;   in Loop: Header=BB139_2 Depth=1
	s_or_b64 exec, exec, s[20:21]
	v_add_u32_e32 v38, 1, v110
	v_add_u32_e32 v37, 1, v109
	v_cndmask_b32_e64 v112, v38, v110, s[18:19]
	s_waitcnt lgkmcnt(0)
	v_cmp_lt_i64_e64 s[22:23], v[35:36], v[33:34]
	v_cndmask_b32_e64 v111, v109, v37, s[18:19]
	v_cmp_ge_i32_e64 s[24:25], v112, v63
	v_cmp_lt_i32_e64 s[20:21], v111, v64
	s_or_b64 s[22:23], s[24:25], s[22:23]
	s_and_b64 s[20:21], s[20:21], s[22:23]
	s_xor_b64 s[22:23], s[20:21], -1
                                        ; implicit-def: $vgpr37_vgpr38
	s_and_saveexec_b64 s[24:25], s[22:23]
	s_xor_b64 s[22:23], exec, s[24:25]
; %bb.119:                              ;   in Loop: Header=BB139_2 Depth=1
	v_lshlrev_b32_e32 v37, 3, v112
	ds_read_b64 v[37:38], v37 offset:8
; %bb.120:                              ;   in Loop: Header=BB139_2 Depth=1
	s_or_saveexec_b64 s[22:23], s[22:23]
	v_mov_b32_e32 v40, v36
	v_mov_b32_e32 v39, v35
	s_xor_b64 exec, exec, s[22:23]
	s_cbranch_execz .LBB139_122
; %bb.121:                              ;   in Loop: Header=BB139_2 Depth=1
	s_waitcnt lgkmcnt(0)
	v_lshlrev_b32_e32 v37, 3, v111
	ds_read_b64 v[39:40], v37 offset:8
	v_mov_b32_e32 v38, v34
	v_mov_b32_e32 v37, v33
.LBB139_122:                            ;   in Loop: Header=BB139_2 Depth=1
	s_or_b64 exec, exec, s[22:23]
	v_add_u32_e32 v42, 1, v112
	v_add_u32_e32 v41, 1, v111
	v_cndmask_b32_e64 v114, v42, v112, s[20:21]
	s_waitcnt lgkmcnt(0)
	v_cmp_lt_i64_e64 s[24:25], v[39:40], v[37:38]
	v_cndmask_b32_e64 v113, v111, v41, s[20:21]
	v_cmp_ge_i32_e64 s[26:27], v114, v63
	v_cmp_lt_i32_e64 s[22:23], v113, v64
	s_or_b64 s[24:25], s[26:27], s[24:25]
	s_and_b64 s[22:23], s[22:23], s[24:25]
	s_xor_b64 s[24:25], s[22:23], -1
                                        ; implicit-def: $vgpr41_vgpr42
	s_and_saveexec_b64 s[26:27], s[24:25]
	s_xor_b64 s[24:25], exec, s[26:27]
; %bb.123:                              ;   in Loop: Header=BB139_2 Depth=1
	v_lshlrev_b32_e32 v41, 3, v114
	ds_read_b64 v[41:42], v41 offset:8
; %bb.124:                              ;   in Loop: Header=BB139_2 Depth=1
	s_or_saveexec_b64 s[24:25], s[24:25]
	v_mov_b32_e32 v46, v40
	v_mov_b32_e32 v45, v39
	s_xor_b64 exec, exec, s[24:25]
	s_cbranch_execz .LBB139_126
; %bb.125:                              ;   in Loop: Header=BB139_2 Depth=1
	s_waitcnt lgkmcnt(0)
	v_lshlrev_b32_e32 v41, 3, v113
	ds_read_b64 v[45:46], v41 offset:8
	v_mov_b32_e32 v42, v38
	v_mov_b32_e32 v41, v37
.LBB139_126:                            ;   in Loop: Header=BB139_2 Depth=1
	s_or_b64 exec, exec, s[24:25]
	v_add_u32_e32 v44, 1, v114
	v_add_u32_e32 v43, 1, v113
	v_cndmask_b32_e64 v116, v44, v114, s[22:23]
	s_waitcnt lgkmcnt(0)
	v_cmp_lt_i64_e64 s[26:27], v[45:46], v[41:42]
	v_cndmask_b32_e64 v115, v113, v43, s[22:23]
	v_cmp_ge_i32_e64 s[28:29], v116, v63
	v_cmp_lt_i32_e64 s[24:25], v115, v64
	s_or_b64 s[26:27], s[28:29], s[26:27]
	s_and_b64 s[24:25], s[24:25], s[26:27]
	s_xor_b64 s[26:27], s[24:25], -1
                                        ; implicit-def: $vgpr43_vgpr44
	s_and_saveexec_b64 s[28:29], s[26:27]
	s_xor_b64 s[26:27], exec, s[28:29]
; %bb.127:                              ;   in Loop: Header=BB139_2 Depth=1
	v_lshlrev_b32_e32 v43, 3, v116
	ds_read_b64 v[43:44], v43 offset:8
; %bb.128:                              ;   in Loop: Header=BB139_2 Depth=1
	s_or_saveexec_b64 s[26:27], s[26:27]
	v_mov_b32_e32 v48, v46
	v_mov_b32_e32 v47, v45
	s_xor_b64 exec, exec, s[26:27]
	s_cbranch_execz .LBB139_130
; %bb.129:                              ;   in Loop: Header=BB139_2 Depth=1
	s_waitcnt lgkmcnt(0)
	v_lshlrev_b32_e32 v43, 3, v115
	ds_read_b64 v[47:48], v43 offset:8
	v_mov_b32_e32 v44, v42
	v_mov_b32_e32 v43, v41
.LBB139_130:                            ;   in Loop: Header=BB139_2 Depth=1
	s_or_b64 exec, exec, s[26:27]
	v_cndmask_b32_e64 v42, v42, v46, s[24:25]
	v_add_u32_e32 v46, 1, v116
	v_cndmask_b32_e64 v41, v41, v45, s[24:25]
	v_add_u32_e32 v45, 1, v115
	v_cndmask_b32_e64 v46, v46, v116, s[24:25]
	v_cndmask_b32_e64 v22, v22, v24, s[14:15]
	;; [unrolled: 1-line block ×4, first 2 shown]
	s_waitcnt lgkmcnt(0)
	v_cmp_lt_i64_e64 s[14:15], v[47:48], v[43:44]
	v_cndmask_b32_e64 v45, v115, v45, s[24:25]
	v_cndmask_b32_e64 v26, v26, v28, s[16:17]
	;; [unrolled: 1-line block ×4, first 2 shown]
	v_cmp_ge_i32_e64 s[16:17], v46, v63
	v_cndmask_b32_e64 v18, v18, v20, s[12:13]
	v_cndmask_b32_e64 v17, v17, v19, s[12:13]
	;; [unrolled: 1-line block ×3, first 2 shown]
	v_cmp_lt_i32_e64 s[12:13], v45, v64
	s_or_b64 s[14:15], s[16:17], s[14:15]
	v_cndmask_b32_e64 v29, v29, v31, s[18:19]
	v_cndmask_b32_e64 v31, v110, v109, s[18:19]
	s_and_b64 s[12:13], s[12:13], s[14:15]
	v_cndmask_b32_e64 v115, v116, v115, s[24:25]
	v_cndmask_b32_e64 v37, v37, v39, s[22:23]
	;; [unrolled: 1-line block ×6, first 2 shown]
	s_barrier
	ds_write2_b64 v97, v[9:10], v[13:14] offset1:1
	ds_write2_b64 v97, v[1:2], v[5:6] offset0:2 offset1:3
	ds_write2_b64 v97, v[11:12], v[15:16] offset0:4 offset1:5
	;; [unrolled: 1-line block ×3, first 2 shown]
	v_lshlrev_b32_e32 v1, 3, v24
	v_lshlrev_b32_e32 v2, 3, v23
	;; [unrolled: 1-line block ×4, first 2 shown]
	s_waitcnt lgkmcnt(0)
	s_barrier
	ds_read_b64 v[9:10], v1
	ds_read_b64 v[13:14], v2
	;; [unrolled: 1-line block ×4, first 2 shown]
	v_lshlrev_b32_e32 v3, 3, v35
	v_lshlrev_b32_e32 v4, 3, v39
	;; [unrolled: 1-line block ×4, first 2 shown]
	ds_read_b64 v[11:12], v3
	ds_read_b64 v[15:16], v4
	ds_read_b64 v[3:4], v7
	ds_read_b64 v[7:8], v8
	v_cndmask_b32_e64 v38, v38, v40, s[22:23]
	v_cndmask_b32_e64 v34, v34, v36, s[20:21]
	;; [unrolled: 1-line block ×5, first 2 shown]
	s_waitcnt lgkmcnt(0)
	s_barrier
	ds_write2_b64 v97, v[17:18], v[21:22] offset1:1
	ds_write2_b64 v97, v[25:26], v[29:30] offset0:2 offset1:3
	ds_write2_b64 v97, v[33:34], v[37:38] offset0:4 offset1:5
	;; [unrolled: 1-line block ×3, first 2 shown]
	v_mov_b32_e32 v21, v77
	s_waitcnt lgkmcnt(0)
	s_barrier
	s_and_saveexec_b64 s[14:15], s[6:7]
	s_cbranch_execz .LBB139_134
; %bb.131:                              ;   in Loop: Header=BB139_2 Depth=1
	s_mov_b64 s[16:17], 0
	v_mov_b32_e32 v21, v77
	v_mov_b32_e32 v17, v78
.LBB139_132:                            ;   Parent Loop BB139_2 Depth=1
                                        ; =>  This Inner Loop Header: Depth=2
	v_sub_u32_e32 v18, v17, v21
	v_lshrrev_b32_e32 v18, 1, v18
	v_add_u32_e32 v20, v18, v21
	v_not_b32_e32 v19, v20
	v_lshl_add_u32 v18, v20, 3, v102
	v_lshl_add_u32 v22, v19, 3, v94
	ds_read_b64 v[18:19], v18
	ds_read_b64 v[22:23], v22
	v_add_u32_e32 v24, 1, v20
	s_waitcnt lgkmcnt(0)
	v_cmp_lt_i64_e64 s[12:13], v[22:23], v[18:19]
	v_cndmask_b32_e64 v17, v17, v20, s[12:13]
	v_cndmask_b32_e64 v21, v24, v21, s[12:13]
	v_cmp_ge_i32_e64 s[12:13], v21, v17
	s_or_b64 s[16:17], s[12:13], s[16:17]
	s_andn2_b64 exec, exec, s[16:17]
	s_cbranch_execnz .LBB139_132
; %bb.133:                              ;   in Loop: Header=BB139_2 Depth=1
	s_or_b64 exec, exec, s[16:17]
.LBB139_134:                            ;   in Loop: Header=BB139_2 Depth=1
	s_or_b64 exec, exec, s[14:15]
	v_sub_u32_e32 v49, v93, v21
	v_lshl_add_u32 v23, v21, 3, v102
	v_lshlrev_b32_e32 v25, 3, v49
	ds_read_b64 v[17:18], v23
	ds_read_b64 v[19:20], v25
	v_add_u32_e32 v50, v21, v55
	v_cmp_le_i32_e64 s[16:17], v65, v50
	v_cmp_gt_i32_e64 s[12:13], v66, v49
                                        ; implicit-def: $vgpr21_vgpr22
	s_waitcnt lgkmcnt(0)
	v_cmp_lt_i64_e64 s[14:15], v[19:20], v[17:18]
	s_or_b64 s[14:15], s[16:17], s[14:15]
	s_and_b64 s[12:13], s[12:13], s[14:15]
	s_xor_b64 s[14:15], s[12:13], -1
	s_and_saveexec_b64 s[16:17], s[14:15]
	s_xor_b64 s[14:15], exec, s[16:17]
; %bb.135:                              ;   in Loop: Header=BB139_2 Depth=1
	ds_read_b64 v[21:22], v23 offset:8
                                        ; implicit-def: $vgpr25
; %bb.136:                              ;   in Loop: Header=BB139_2 Depth=1
	s_or_saveexec_b64 s[14:15], s[14:15]
	v_mov_b32_e32 v24, v20
	v_mov_b32_e32 v23, v19
	s_xor_b64 exec, exec, s[14:15]
	s_cbranch_execz .LBB139_138
; %bb.137:                              ;   in Loop: Header=BB139_2 Depth=1
	ds_read_b64 v[23:24], v25 offset:8
	s_waitcnt lgkmcnt(1)
	v_mov_b32_e32 v22, v18
	v_mov_b32_e32 v21, v17
.LBB139_138:                            ;   in Loop: Header=BB139_2 Depth=1
	s_or_b64 exec, exec, s[14:15]
	v_add_u32_e32 v26, 1, v50
	v_add_u32_e32 v25, 1, v49
	v_cndmask_b32_e64 v106, v26, v50, s[12:13]
	s_waitcnt lgkmcnt(0)
	v_cmp_lt_i64_e64 s[16:17], v[23:24], v[21:22]
	v_cndmask_b32_e64 v105, v49, v25, s[12:13]
	v_cmp_ge_i32_e64 s[18:19], v106, v65
	v_cmp_lt_i32_e64 s[14:15], v105, v66
	s_or_b64 s[16:17], s[18:19], s[16:17]
	s_and_b64 s[14:15], s[14:15], s[16:17]
	s_xor_b64 s[16:17], s[14:15], -1
                                        ; implicit-def: $vgpr25_vgpr26
	s_and_saveexec_b64 s[18:19], s[16:17]
	s_xor_b64 s[16:17], exec, s[18:19]
; %bb.139:                              ;   in Loop: Header=BB139_2 Depth=1
	v_lshlrev_b32_e32 v25, 3, v106
	ds_read_b64 v[25:26], v25 offset:8
; %bb.140:                              ;   in Loop: Header=BB139_2 Depth=1
	s_or_saveexec_b64 s[16:17], s[16:17]
	v_mov_b32_e32 v28, v24
	v_mov_b32_e32 v27, v23
	s_xor_b64 exec, exec, s[16:17]
	s_cbranch_execz .LBB139_142
; %bb.141:                              ;   in Loop: Header=BB139_2 Depth=1
	s_waitcnt lgkmcnt(0)
	v_lshlrev_b32_e32 v25, 3, v105
	ds_read_b64 v[27:28], v25 offset:8
	v_mov_b32_e32 v26, v22
	v_mov_b32_e32 v25, v21
.LBB139_142:                            ;   in Loop: Header=BB139_2 Depth=1
	s_or_b64 exec, exec, s[16:17]
	v_add_u32_e32 v30, 1, v106
	v_add_u32_e32 v29, 1, v105
	v_cndmask_b32_e64 v108, v30, v106, s[14:15]
	s_waitcnt lgkmcnt(0)
	v_cmp_lt_i64_e64 s[18:19], v[27:28], v[25:26]
	v_cndmask_b32_e64 v107, v105, v29, s[14:15]
	v_cmp_ge_i32_e64 s[20:21], v108, v65
	v_cmp_lt_i32_e64 s[16:17], v107, v66
	s_or_b64 s[18:19], s[20:21], s[18:19]
	s_and_b64 s[16:17], s[16:17], s[18:19]
	s_xor_b64 s[18:19], s[16:17], -1
                                        ; implicit-def: $vgpr29_vgpr30
	s_and_saveexec_b64 s[20:21], s[18:19]
	s_xor_b64 s[18:19], exec, s[20:21]
; %bb.143:                              ;   in Loop: Header=BB139_2 Depth=1
	v_lshlrev_b32_e32 v29, 3, v108
	ds_read_b64 v[29:30], v29 offset:8
; %bb.144:                              ;   in Loop: Header=BB139_2 Depth=1
	s_or_saveexec_b64 s[18:19], s[18:19]
	v_mov_b32_e32 v32, v28
	v_mov_b32_e32 v31, v27
	s_xor_b64 exec, exec, s[18:19]
	s_cbranch_execz .LBB139_146
; %bb.145:                              ;   in Loop: Header=BB139_2 Depth=1
	s_waitcnt lgkmcnt(0)
	v_lshlrev_b32_e32 v29, 3, v107
	ds_read_b64 v[31:32], v29 offset:8
	v_mov_b32_e32 v30, v26
	v_mov_b32_e32 v29, v25
.LBB139_146:                            ;   in Loop: Header=BB139_2 Depth=1
	s_or_b64 exec, exec, s[18:19]
	v_add_u32_e32 v34, 1, v108
	v_add_u32_e32 v33, 1, v107
	v_cndmask_b32_e64 v110, v34, v108, s[16:17]
	s_waitcnt lgkmcnt(0)
	v_cmp_lt_i64_e64 s[20:21], v[31:32], v[29:30]
	v_cndmask_b32_e64 v109, v107, v33, s[16:17]
	v_cmp_ge_i32_e64 s[22:23], v110, v65
	v_cmp_lt_i32_e64 s[18:19], v109, v66
	s_or_b64 s[20:21], s[22:23], s[20:21]
	s_and_b64 s[18:19], s[18:19], s[20:21]
	s_xor_b64 s[20:21], s[18:19], -1
                                        ; implicit-def: $vgpr33_vgpr34
	s_and_saveexec_b64 s[22:23], s[20:21]
	s_xor_b64 s[20:21], exec, s[22:23]
; %bb.147:                              ;   in Loop: Header=BB139_2 Depth=1
	v_lshlrev_b32_e32 v33, 3, v110
	ds_read_b64 v[33:34], v33 offset:8
; %bb.148:                              ;   in Loop: Header=BB139_2 Depth=1
	s_or_saveexec_b64 s[20:21], s[20:21]
	v_mov_b32_e32 v36, v32
	v_mov_b32_e32 v35, v31
	s_xor_b64 exec, exec, s[20:21]
	s_cbranch_execz .LBB139_150
; %bb.149:                              ;   in Loop: Header=BB139_2 Depth=1
	s_waitcnt lgkmcnt(0)
	v_lshlrev_b32_e32 v33, 3, v109
	ds_read_b64 v[35:36], v33 offset:8
	v_mov_b32_e32 v34, v30
	v_mov_b32_e32 v33, v29
.LBB139_150:                            ;   in Loop: Header=BB139_2 Depth=1
	s_or_b64 exec, exec, s[20:21]
	v_add_u32_e32 v38, 1, v110
	v_add_u32_e32 v37, 1, v109
	v_cndmask_b32_e64 v112, v38, v110, s[18:19]
	s_waitcnt lgkmcnt(0)
	v_cmp_lt_i64_e64 s[22:23], v[35:36], v[33:34]
	v_cndmask_b32_e64 v111, v109, v37, s[18:19]
	v_cmp_ge_i32_e64 s[24:25], v112, v65
	v_cmp_lt_i32_e64 s[20:21], v111, v66
	s_or_b64 s[22:23], s[24:25], s[22:23]
	s_and_b64 s[20:21], s[20:21], s[22:23]
	s_xor_b64 s[22:23], s[20:21], -1
                                        ; implicit-def: $vgpr37_vgpr38
	s_and_saveexec_b64 s[24:25], s[22:23]
	s_xor_b64 s[22:23], exec, s[24:25]
; %bb.151:                              ;   in Loop: Header=BB139_2 Depth=1
	v_lshlrev_b32_e32 v37, 3, v112
	ds_read_b64 v[37:38], v37 offset:8
; %bb.152:                              ;   in Loop: Header=BB139_2 Depth=1
	s_or_saveexec_b64 s[22:23], s[22:23]
	v_mov_b32_e32 v40, v36
	v_mov_b32_e32 v39, v35
	s_xor_b64 exec, exec, s[22:23]
	s_cbranch_execz .LBB139_154
; %bb.153:                              ;   in Loop: Header=BB139_2 Depth=1
	s_waitcnt lgkmcnt(0)
	v_lshlrev_b32_e32 v37, 3, v111
	ds_read_b64 v[39:40], v37 offset:8
	v_mov_b32_e32 v38, v34
	v_mov_b32_e32 v37, v33
.LBB139_154:                            ;   in Loop: Header=BB139_2 Depth=1
	s_or_b64 exec, exec, s[22:23]
	v_add_u32_e32 v42, 1, v112
	v_add_u32_e32 v41, 1, v111
	v_cndmask_b32_e64 v114, v42, v112, s[20:21]
	s_waitcnt lgkmcnt(0)
	v_cmp_lt_i64_e64 s[24:25], v[39:40], v[37:38]
	v_cndmask_b32_e64 v113, v111, v41, s[20:21]
	v_cmp_ge_i32_e64 s[26:27], v114, v65
	v_cmp_lt_i32_e64 s[22:23], v113, v66
	s_or_b64 s[24:25], s[26:27], s[24:25]
	s_and_b64 s[22:23], s[22:23], s[24:25]
	s_xor_b64 s[24:25], s[22:23], -1
                                        ; implicit-def: $vgpr41_vgpr42
	s_and_saveexec_b64 s[26:27], s[24:25]
	s_xor_b64 s[24:25], exec, s[26:27]
; %bb.155:                              ;   in Loop: Header=BB139_2 Depth=1
	v_lshlrev_b32_e32 v41, 3, v114
	ds_read_b64 v[41:42], v41 offset:8
; %bb.156:                              ;   in Loop: Header=BB139_2 Depth=1
	s_or_saveexec_b64 s[24:25], s[24:25]
	v_mov_b32_e32 v46, v40
	v_mov_b32_e32 v45, v39
	s_xor_b64 exec, exec, s[24:25]
	s_cbranch_execz .LBB139_158
; %bb.157:                              ;   in Loop: Header=BB139_2 Depth=1
	s_waitcnt lgkmcnt(0)
	v_lshlrev_b32_e32 v41, 3, v113
	ds_read_b64 v[45:46], v41 offset:8
	v_mov_b32_e32 v42, v38
	v_mov_b32_e32 v41, v37
.LBB139_158:                            ;   in Loop: Header=BB139_2 Depth=1
	s_or_b64 exec, exec, s[24:25]
	v_add_u32_e32 v44, 1, v114
	v_add_u32_e32 v43, 1, v113
	v_cndmask_b32_e64 v116, v44, v114, s[22:23]
	s_waitcnt lgkmcnt(0)
	v_cmp_lt_i64_e64 s[26:27], v[45:46], v[41:42]
	v_cndmask_b32_e64 v115, v113, v43, s[22:23]
	v_cmp_ge_i32_e64 s[28:29], v116, v65
	v_cmp_lt_i32_e64 s[24:25], v115, v66
	s_or_b64 s[26:27], s[28:29], s[26:27]
	s_and_b64 s[24:25], s[24:25], s[26:27]
	s_xor_b64 s[26:27], s[24:25], -1
                                        ; implicit-def: $vgpr43_vgpr44
	s_and_saveexec_b64 s[28:29], s[26:27]
	s_xor_b64 s[26:27], exec, s[28:29]
; %bb.159:                              ;   in Loop: Header=BB139_2 Depth=1
	v_lshlrev_b32_e32 v43, 3, v116
	ds_read_b64 v[43:44], v43 offset:8
; %bb.160:                              ;   in Loop: Header=BB139_2 Depth=1
	s_or_saveexec_b64 s[26:27], s[26:27]
	v_mov_b32_e32 v48, v46
	v_mov_b32_e32 v47, v45
	s_xor_b64 exec, exec, s[26:27]
	s_cbranch_execz .LBB139_162
; %bb.161:                              ;   in Loop: Header=BB139_2 Depth=1
	s_waitcnt lgkmcnt(0)
	v_lshlrev_b32_e32 v43, 3, v115
	ds_read_b64 v[47:48], v43 offset:8
	v_mov_b32_e32 v44, v42
	v_mov_b32_e32 v43, v41
.LBB139_162:                            ;   in Loop: Header=BB139_2 Depth=1
	s_or_b64 exec, exec, s[26:27]
	v_cndmask_b32_e64 v42, v42, v46, s[24:25]
	v_add_u32_e32 v46, 1, v116
	v_cndmask_b32_e64 v41, v41, v45, s[24:25]
	v_add_u32_e32 v45, 1, v115
	v_cndmask_b32_e64 v46, v46, v116, s[24:25]
	v_cndmask_b32_e64 v22, v22, v24, s[14:15]
	;; [unrolled: 1-line block ×4, first 2 shown]
	s_waitcnt lgkmcnt(0)
	v_cmp_lt_i64_e64 s[14:15], v[47:48], v[43:44]
	v_cndmask_b32_e64 v45, v115, v45, s[24:25]
	v_cndmask_b32_e64 v26, v26, v28, s[16:17]
	;; [unrolled: 1-line block ×4, first 2 shown]
	v_cmp_ge_i32_e64 s[16:17], v46, v65
	v_cndmask_b32_e64 v18, v18, v20, s[12:13]
	v_cndmask_b32_e64 v17, v17, v19, s[12:13]
	;; [unrolled: 1-line block ×3, first 2 shown]
	v_cmp_lt_i32_e64 s[12:13], v45, v66
	s_or_b64 s[14:15], s[16:17], s[14:15]
	v_cndmask_b32_e64 v29, v29, v31, s[18:19]
	v_cndmask_b32_e64 v31, v110, v109, s[18:19]
	s_and_b64 s[12:13], s[12:13], s[14:15]
	v_cndmask_b32_e64 v115, v116, v115, s[24:25]
	v_cndmask_b32_e64 v37, v37, v39, s[22:23]
	v_cndmask_b32_e64 v39, v114, v113, s[22:23]
	v_cndmask_b32_e64 v33, v33, v35, s[20:21]
	v_cndmask_b32_e64 v35, v112, v111, s[20:21]
	v_cndmask_b32_e64 v28, v46, v45, s[12:13]
	s_barrier
	ds_write2_b64 v97, v[9:10], v[13:14] offset1:1
	ds_write2_b64 v97, v[1:2], v[5:6] offset0:2 offset1:3
	ds_write2_b64 v97, v[11:12], v[15:16] offset0:4 offset1:5
	;; [unrolled: 1-line block ×3, first 2 shown]
	v_lshlrev_b32_e32 v1, 3, v24
	v_lshlrev_b32_e32 v2, 3, v23
	;; [unrolled: 1-line block ×4, first 2 shown]
	s_waitcnt lgkmcnt(0)
	s_barrier
	ds_read_b64 v[9:10], v1
	ds_read_b64 v[13:14], v2
	ds_read_b64 v[1:2], v3
	ds_read_b64 v[5:6], v4
	v_lshlrev_b32_e32 v3, 3, v35
	v_lshlrev_b32_e32 v4, 3, v39
	;; [unrolled: 1-line block ×4, first 2 shown]
	ds_read_b64 v[11:12], v3
	ds_read_b64 v[15:16], v4
	;; [unrolled: 1-line block ×4, first 2 shown]
	v_cndmask_b32_e64 v38, v38, v40, s[22:23]
	v_cndmask_b32_e64 v34, v34, v36, s[20:21]
	;; [unrolled: 1-line block ×5, first 2 shown]
	s_waitcnt lgkmcnt(0)
	s_barrier
	ds_write2_b64 v97, v[17:18], v[21:22] offset1:1
	ds_write2_b64 v97, v[25:26], v[29:30] offset0:2 offset1:3
	ds_write2_b64 v97, v[33:34], v[37:38] offset0:4 offset1:5
	;; [unrolled: 1-line block ×3, first 2 shown]
	v_mov_b32_e32 v21, v79
	s_waitcnt lgkmcnt(0)
	s_barrier
	s_and_saveexec_b64 s[14:15], s[8:9]
	s_cbranch_execz .LBB139_166
; %bb.163:                              ;   in Loop: Header=BB139_2 Depth=1
	s_mov_b64 s[16:17], 0
	v_mov_b32_e32 v21, v79
	v_mov_b32_e32 v17, v80
.LBB139_164:                            ;   Parent Loop BB139_2 Depth=1
                                        ; =>  This Inner Loop Header: Depth=2
	v_sub_u32_e32 v18, v17, v21
	v_lshrrev_b32_e32 v18, 1, v18
	v_add_u32_e32 v20, v18, v21
	v_not_b32_e32 v19, v20
	v_lshl_add_u32 v18, v20, 3, v103
	v_lshl_add_u32 v22, v19, 3, v96
	ds_read_b64 v[18:19], v18
	ds_read_b64 v[22:23], v22
	v_add_u32_e32 v24, 1, v20
	s_waitcnt lgkmcnt(0)
	v_cmp_lt_i64_e64 s[12:13], v[22:23], v[18:19]
	v_cndmask_b32_e64 v17, v17, v20, s[12:13]
	v_cndmask_b32_e64 v21, v24, v21, s[12:13]
	v_cmp_ge_i32_e64 s[12:13], v21, v17
	s_or_b64 s[16:17], s[12:13], s[16:17]
	s_andn2_b64 exec, exec, s[16:17]
	s_cbranch_execnz .LBB139_164
; %bb.165:                              ;   in Loop: Header=BB139_2 Depth=1
	s_or_b64 exec, exec, s[16:17]
.LBB139_166:                            ;   in Loop: Header=BB139_2 Depth=1
	s_or_b64 exec, exec, s[14:15]
	v_sub_u32_e32 v49, v95, v21
	v_lshl_add_u32 v23, v21, 3, v103
	v_lshlrev_b32_e32 v25, 3, v49
	ds_read_b64 v[17:18], v23
	ds_read_b64 v[19:20], v25
	v_add_u32_e32 v50, v21, v56
	v_cmp_le_i32_e64 s[16:17], v67, v50
	v_cmp_gt_i32_e64 s[12:13], v68, v49
                                        ; implicit-def: $vgpr21_vgpr22
	s_waitcnt lgkmcnt(0)
	v_cmp_lt_i64_e64 s[14:15], v[19:20], v[17:18]
	s_or_b64 s[14:15], s[16:17], s[14:15]
	s_and_b64 s[12:13], s[12:13], s[14:15]
	s_xor_b64 s[14:15], s[12:13], -1
	s_and_saveexec_b64 s[16:17], s[14:15]
	s_xor_b64 s[14:15], exec, s[16:17]
; %bb.167:                              ;   in Loop: Header=BB139_2 Depth=1
	ds_read_b64 v[21:22], v23 offset:8
                                        ; implicit-def: $vgpr25
; %bb.168:                              ;   in Loop: Header=BB139_2 Depth=1
	s_or_saveexec_b64 s[14:15], s[14:15]
	v_mov_b32_e32 v24, v20
	v_mov_b32_e32 v23, v19
	s_xor_b64 exec, exec, s[14:15]
	s_cbranch_execz .LBB139_170
; %bb.169:                              ;   in Loop: Header=BB139_2 Depth=1
	ds_read_b64 v[23:24], v25 offset:8
	s_waitcnt lgkmcnt(1)
	v_mov_b32_e32 v22, v18
	v_mov_b32_e32 v21, v17
.LBB139_170:                            ;   in Loop: Header=BB139_2 Depth=1
	s_or_b64 exec, exec, s[14:15]
	v_add_u32_e32 v26, 1, v50
	v_add_u32_e32 v25, 1, v49
	v_cndmask_b32_e64 v106, v26, v50, s[12:13]
	s_waitcnt lgkmcnt(0)
	v_cmp_lt_i64_e64 s[16:17], v[23:24], v[21:22]
	v_cndmask_b32_e64 v105, v49, v25, s[12:13]
	v_cmp_ge_i32_e64 s[18:19], v106, v67
	v_cmp_lt_i32_e64 s[14:15], v105, v68
	s_or_b64 s[16:17], s[18:19], s[16:17]
	s_and_b64 s[14:15], s[14:15], s[16:17]
	s_xor_b64 s[16:17], s[14:15], -1
                                        ; implicit-def: $vgpr25_vgpr26
	s_and_saveexec_b64 s[18:19], s[16:17]
	s_xor_b64 s[16:17], exec, s[18:19]
; %bb.171:                              ;   in Loop: Header=BB139_2 Depth=1
	v_lshlrev_b32_e32 v25, 3, v106
	ds_read_b64 v[25:26], v25 offset:8
; %bb.172:                              ;   in Loop: Header=BB139_2 Depth=1
	s_or_saveexec_b64 s[16:17], s[16:17]
	v_mov_b32_e32 v28, v24
	v_mov_b32_e32 v27, v23
	s_xor_b64 exec, exec, s[16:17]
	s_cbranch_execz .LBB139_174
; %bb.173:                              ;   in Loop: Header=BB139_2 Depth=1
	s_waitcnt lgkmcnt(0)
	v_lshlrev_b32_e32 v25, 3, v105
	ds_read_b64 v[27:28], v25 offset:8
	v_mov_b32_e32 v26, v22
	v_mov_b32_e32 v25, v21
.LBB139_174:                            ;   in Loop: Header=BB139_2 Depth=1
	s_or_b64 exec, exec, s[16:17]
	v_add_u32_e32 v30, 1, v106
	v_add_u32_e32 v29, 1, v105
	v_cndmask_b32_e64 v108, v30, v106, s[14:15]
	s_waitcnt lgkmcnt(0)
	v_cmp_lt_i64_e64 s[18:19], v[27:28], v[25:26]
	v_cndmask_b32_e64 v107, v105, v29, s[14:15]
	v_cmp_ge_i32_e64 s[20:21], v108, v67
	v_cmp_lt_i32_e64 s[16:17], v107, v68
	s_or_b64 s[18:19], s[20:21], s[18:19]
	s_and_b64 s[16:17], s[16:17], s[18:19]
	s_xor_b64 s[18:19], s[16:17], -1
                                        ; implicit-def: $vgpr29_vgpr30
	s_and_saveexec_b64 s[20:21], s[18:19]
	s_xor_b64 s[18:19], exec, s[20:21]
; %bb.175:                              ;   in Loop: Header=BB139_2 Depth=1
	v_lshlrev_b32_e32 v29, 3, v108
	ds_read_b64 v[29:30], v29 offset:8
; %bb.176:                              ;   in Loop: Header=BB139_2 Depth=1
	s_or_saveexec_b64 s[18:19], s[18:19]
	v_mov_b32_e32 v32, v28
	v_mov_b32_e32 v31, v27
	s_xor_b64 exec, exec, s[18:19]
	s_cbranch_execz .LBB139_178
; %bb.177:                              ;   in Loop: Header=BB139_2 Depth=1
	s_waitcnt lgkmcnt(0)
	v_lshlrev_b32_e32 v29, 3, v107
	ds_read_b64 v[31:32], v29 offset:8
	v_mov_b32_e32 v30, v26
	v_mov_b32_e32 v29, v25
.LBB139_178:                            ;   in Loop: Header=BB139_2 Depth=1
	s_or_b64 exec, exec, s[18:19]
	v_add_u32_e32 v34, 1, v108
	v_add_u32_e32 v33, 1, v107
	v_cndmask_b32_e64 v110, v34, v108, s[16:17]
	s_waitcnt lgkmcnt(0)
	v_cmp_lt_i64_e64 s[20:21], v[31:32], v[29:30]
	v_cndmask_b32_e64 v109, v107, v33, s[16:17]
	v_cmp_ge_i32_e64 s[22:23], v110, v67
	v_cmp_lt_i32_e64 s[18:19], v109, v68
	s_or_b64 s[20:21], s[22:23], s[20:21]
	s_and_b64 s[18:19], s[18:19], s[20:21]
	s_xor_b64 s[20:21], s[18:19], -1
                                        ; implicit-def: $vgpr33_vgpr34
	s_and_saveexec_b64 s[22:23], s[20:21]
	s_xor_b64 s[20:21], exec, s[22:23]
; %bb.179:                              ;   in Loop: Header=BB139_2 Depth=1
	v_lshlrev_b32_e32 v33, 3, v110
	ds_read_b64 v[33:34], v33 offset:8
; %bb.180:                              ;   in Loop: Header=BB139_2 Depth=1
	s_or_saveexec_b64 s[20:21], s[20:21]
	v_mov_b32_e32 v36, v32
	v_mov_b32_e32 v35, v31
	s_xor_b64 exec, exec, s[20:21]
	s_cbranch_execz .LBB139_182
; %bb.181:                              ;   in Loop: Header=BB139_2 Depth=1
	s_waitcnt lgkmcnt(0)
	v_lshlrev_b32_e32 v33, 3, v109
	ds_read_b64 v[35:36], v33 offset:8
	v_mov_b32_e32 v34, v30
	v_mov_b32_e32 v33, v29
.LBB139_182:                            ;   in Loop: Header=BB139_2 Depth=1
	s_or_b64 exec, exec, s[20:21]
	v_add_u32_e32 v38, 1, v110
	v_add_u32_e32 v37, 1, v109
	v_cndmask_b32_e64 v112, v38, v110, s[18:19]
	s_waitcnt lgkmcnt(0)
	v_cmp_lt_i64_e64 s[22:23], v[35:36], v[33:34]
	v_cndmask_b32_e64 v111, v109, v37, s[18:19]
	v_cmp_ge_i32_e64 s[24:25], v112, v67
	v_cmp_lt_i32_e64 s[20:21], v111, v68
	s_or_b64 s[22:23], s[24:25], s[22:23]
	s_and_b64 s[20:21], s[20:21], s[22:23]
	s_xor_b64 s[22:23], s[20:21], -1
                                        ; implicit-def: $vgpr37_vgpr38
	s_and_saveexec_b64 s[24:25], s[22:23]
	s_xor_b64 s[22:23], exec, s[24:25]
; %bb.183:                              ;   in Loop: Header=BB139_2 Depth=1
	v_lshlrev_b32_e32 v37, 3, v112
	ds_read_b64 v[37:38], v37 offset:8
; %bb.184:                              ;   in Loop: Header=BB139_2 Depth=1
	s_or_saveexec_b64 s[22:23], s[22:23]
	v_mov_b32_e32 v40, v36
	v_mov_b32_e32 v39, v35
	s_xor_b64 exec, exec, s[22:23]
	s_cbranch_execz .LBB139_186
; %bb.185:                              ;   in Loop: Header=BB139_2 Depth=1
	s_waitcnt lgkmcnt(0)
	v_lshlrev_b32_e32 v37, 3, v111
	ds_read_b64 v[39:40], v37 offset:8
	v_mov_b32_e32 v38, v34
	v_mov_b32_e32 v37, v33
.LBB139_186:                            ;   in Loop: Header=BB139_2 Depth=1
	s_or_b64 exec, exec, s[22:23]
	v_add_u32_e32 v42, 1, v112
	v_add_u32_e32 v41, 1, v111
	v_cndmask_b32_e64 v114, v42, v112, s[20:21]
	s_waitcnt lgkmcnt(0)
	v_cmp_lt_i64_e64 s[24:25], v[39:40], v[37:38]
	v_cndmask_b32_e64 v113, v111, v41, s[20:21]
	v_cmp_ge_i32_e64 s[26:27], v114, v67
	v_cmp_lt_i32_e64 s[22:23], v113, v68
	s_or_b64 s[24:25], s[26:27], s[24:25]
	s_and_b64 s[22:23], s[22:23], s[24:25]
	s_xor_b64 s[24:25], s[22:23], -1
                                        ; implicit-def: $vgpr41_vgpr42
	s_and_saveexec_b64 s[26:27], s[24:25]
	s_xor_b64 s[24:25], exec, s[26:27]
; %bb.187:                              ;   in Loop: Header=BB139_2 Depth=1
	v_lshlrev_b32_e32 v41, 3, v114
	ds_read_b64 v[41:42], v41 offset:8
; %bb.188:                              ;   in Loop: Header=BB139_2 Depth=1
	s_or_saveexec_b64 s[24:25], s[24:25]
	v_mov_b32_e32 v46, v40
	v_mov_b32_e32 v45, v39
	s_xor_b64 exec, exec, s[24:25]
	s_cbranch_execz .LBB139_190
; %bb.189:                              ;   in Loop: Header=BB139_2 Depth=1
	s_waitcnt lgkmcnt(0)
	v_lshlrev_b32_e32 v41, 3, v113
	ds_read_b64 v[45:46], v41 offset:8
	v_mov_b32_e32 v42, v38
	v_mov_b32_e32 v41, v37
.LBB139_190:                            ;   in Loop: Header=BB139_2 Depth=1
	s_or_b64 exec, exec, s[24:25]
	v_add_u32_e32 v44, 1, v114
	v_add_u32_e32 v43, 1, v113
	v_cndmask_b32_e64 v116, v44, v114, s[22:23]
	s_waitcnt lgkmcnt(0)
	v_cmp_lt_i64_e64 s[26:27], v[45:46], v[41:42]
	v_cndmask_b32_e64 v115, v113, v43, s[22:23]
	v_cmp_ge_i32_e64 s[28:29], v116, v67
	v_cmp_lt_i32_e64 s[24:25], v115, v68
	s_or_b64 s[26:27], s[28:29], s[26:27]
	s_and_b64 s[24:25], s[24:25], s[26:27]
	s_xor_b64 s[26:27], s[24:25], -1
                                        ; implicit-def: $vgpr43_vgpr44
	s_and_saveexec_b64 s[28:29], s[26:27]
	s_xor_b64 s[26:27], exec, s[28:29]
; %bb.191:                              ;   in Loop: Header=BB139_2 Depth=1
	v_lshlrev_b32_e32 v43, 3, v116
	ds_read_b64 v[43:44], v43 offset:8
; %bb.192:                              ;   in Loop: Header=BB139_2 Depth=1
	s_or_saveexec_b64 s[26:27], s[26:27]
	v_mov_b32_e32 v48, v46
	v_mov_b32_e32 v47, v45
	s_xor_b64 exec, exec, s[26:27]
	s_cbranch_execz .LBB139_194
; %bb.193:                              ;   in Loop: Header=BB139_2 Depth=1
	s_waitcnt lgkmcnt(0)
	v_lshlrev_b32_e32 v43, 3, v115
	ds_read_b64 v[47:48], v43 offset:8
	v_mov_b32_e32 v44, v42
	v_mov_b32_e32 v43, v41
.LBB139_194:                            ;   in Loop: Header=BB139_2 Depth=1
	s_or_b64 exec, exec, s[26:27]
	v_cndmask_b32_e64 v42, v42, v46, s[24:25]
	v_add_u32_e32 v46, 1, v116
	v_cndmask_b32_e64 v41, v41, v45, s[24:25]
	v_add_u32_e32 v45, 1, v115
	v_cndmask_b32_e64 v46, v46, v116, s[24:25]
	v_cndmask_b32_e64 v22, v22, v24, s[14:15]
	;; [unrolled: 1-line block ×4, first 2 shown]
	s_waitcnt lgkmcnt(0)
	v_cmp_lt_i64_e64 s[14:15], v[47:48], v[43:44]
	v_cndmask_b32_e64 v45, v115, v45, s[24:25]
	v_cndmask_b32_e64 v26, v26, v28, s[16:17]
	;; [unrolled: 1-line block ×4, first 2 shown]
	v_cmp_ge_i32_e64 s[16:17], v46, v67
	v_cndmask_b32_e64 v18, v18, v20, s[12:13]
	v_cndmask_b32_e64 v17, v17, v19, s[12:13]
	;; [unrolled: 1-line block ×3, first 2 shown]
	v_cmp_lt_i32_e64 s[12:13], v45, v68
	s_or_b64 s[14:15], s[16:17], s[14:15]
	v_cndmask_b32_e64 v29, v29, v31, s[18:19]
	v_cndmask_b32_e64 v31, v110, v109, s[18:19]
	s_and_b64 s[12:13], s[12:13], s[14:15]
	v_cndmask_b32_e64 v115, v116, v115, s[24:25]
	v_cndmask_b32_e64 v37, v37, v39, s[22:23]
	;; [unrolled: 1-line block ×6, first 2 shown]
	s_barrier
	ds_write2_b64 v97, v[9:10], v[13:14] offset1:1
	ds_write2_b64 v97, v[1:2], v[5:6] offset0:2 offset1:3
	ds_write2_b64 v97, v[11:12], v[15:16] offset0:4 offset1:5
	;; [unrolled: 1-line block ×3, first 2 shown]
	v_lshlrev_b32_e32 v1, 3, v24
	v_lshlrev_b32_e32 v2, 3, v23
	v_lshlrev_b32_e32 v3, 3, v27
	v_lshlrev_b32_e32 v4, 3, v31
	s_waitcnt lgkmcnt(0)
	s_barrier
	ds_read_b64 v[9:10], v1
	ds_read_b64 v[13:14], v2
	;; [unrolled: 1-line block ×4, first 2 shown]
	v_lshlrev_b32_e32 v3, 3, v35
	v_lshlrev_b32_e32 v4, 3, v39
	;; [unrolled: 1-line block ×4, first 2 shown]
	ds_read_b64 v[11:12], v3
	ds_read_b64 v[15:16], v4
	;; [unrolled: 1-line block ×4, first 2 shown]
	v_mov_b32_e32 v105, v82
	v_cndmask_b32_e64 v38, v38, v40, s[22:23]
	v_cndmask_b32_e64 v34, v34, v36, s[20:21]
	;; [unrolled: 1-line block ×5, first 2 shown]
	s_waitcnt lgkmcnt(0)
	s_barrier
	ds_write2_b64 v97, v[17:18], v[21:22] offset1:1
	ds_write2_b64 v97, v[25:26], v[29:30] offset0:2 offset1:3
	ds_write2_b64 v97, v[33:34], v[37:38] offset0:4 offset1:5
	;; [unrolled: 1-line block ×3, first 2 shown]
	s_waitcnt lgkmcnt(0)
	s_barrier
	s_and_saveexec_b64 s[14:15], s[10:11]
	s_cbranch_execz .LBB139_198
; %bb.195:                              ;   in Loop: Header=BB139_2 Depth=1
	s_mov_b64 s[16:17], 0
	v_mov_b32_e32 v105, v82
	v_mov_b32_e32 v17, v83
.LBB139_196:                            ;   Parent Loop BB139_2 Depth=1
                                        ; =>  This Inner Loop Header: Depth=2
	v_sub_u32_e32 v18, v17, v105
	v_lshrrev_b32_e32 v18, 1, v18
	v_add_u32_e32 v22, v18, v105
	v_not_b32_e32 v19, v22
	v_lshlrev_b32_e32 v18, 3, v22
	v_lshl_add_u32 v20, v19, 3, v104
	ds_read_b64 v[18:19], v18
	ds_read_b64 v[20:21], v20
	v_add_u32_e32 v23, 1, v22
	s_waitcnt lgkmcnt(0)
	v_cmp_lt_i64_e64 s[12:13], v[20:21], v[18:19]
	v_cndmask_b32_e64 v17, v17, v22, s[12:13]
	v_cndmask_b32_e64 v105, v23, v105, s[12:13]
	v_cmp_ge_i32_e64 s[12:13], v105, v17
	s_or_b64 s[16:17], s[12:13], s[16:17]
	s_andn2_b64 exec, exec, s[16:17]
	s_cbranch_execnz .LBB139_196
; %bb.197:                              ;   in Loop: Header=BB139_2 Depth=1
	s_or_b64 exec, exec, s[16:17]
.LBB139_198:                            ;   in Loop: Header=BB139_2 Depth=1
	s_or_b64 exec, exec, s[14:15]
	v_sub_u32_e32 v106, v84, v105
	v_lshlrev_b32_e32 v23, 3, v105
	v_lshlrev_b32_e32 v25, 3, v106
	ds_read_b64 v[17:18], v23
	ds_read_b64 v[19:20], v25
	v_cmp_le_i32_e64 s[16:17], v81, v105
	v_cmp_gt_i32_e64 s[12:13], s33, v106
                                        ; implicit-def: $vgpr21_vgpr22
	s_waitcnt lgkmcnt(0)
	v_cmp_lt_i64_e64 s[14:15], v[19:20], v[17:18]
	s_or_b64 s[14:15], s[16:17], s[14:15]
	s_and_b64 s[12:13], s[12:13], s[14:15]
	s_xor_b64 s[14:15], s[12:13], -1
	s_and_saveexec_b64 s[16:17], s[14:15]
	s_xor_b64 s[14:15], exec, s[16:17]
; %bb.199:                              ;   in Loop: Header=BB139_2 Depth=1
	ds_read_b64 v[21:22], v23 offset:8
                                        ; implicit-def: $vgpr25
; %bb.200:                              ;   in Loop: Header=BB139_2 Depth=1
	s_or_saveexec_b64 s[14:15], s[14:15]
	v_mov_b32_e32 v24, v20
	v_mov_b32_e32 v23, v19
	s_xor_b64 exec, exec, s[14:15]
	s_cbranch_execz .LBB139_202
; %bb.201:                              ;   in Loop: Header=BB139_2 Depth=1
	ds_read_b64 v[23:24], v25 offset:8
	s_waitcnt lgkmcnt(1)
	v_mov_b32_e32 v22, v18
	v_mov_b32_e32 v21, v17
.LBB139_202:                            ;   in Loop: Header=BB139_2 Depth=1
	s_or_b64 exec, exec, s[14:15]
	v_add_u32_e32 v26, 1, v105
	v_add_u32_e32 v25, 1, v106
	v_cndmask_b32_e64 v108, v26, v105, s[12:13]
	s_waitcnt lgkmcnt(0)
	v_cmp_lt_i64_e64 s[16:17], v[23:24], v[21:22]
	v_cndmask_b32_e64 v107, v106, v25, s[12:13]
	v_cmp_ge_i32_e64 s[18:19], v108, v81
	v_cmp_gt_i32_e64 s[14:15], s33, v107
	s_or_b64 s[16:17], s[18:19], s[16:17]
	s_and_b64 s[14:15], s[14:15], s[16:17]
	s_xor_b64 s[16:17], s[14:15], -1
                                        ; implicit-def: $vgpr25_vgpr26
	s_and_saveexec_b64 s[18:19], s[16:17]
	s_xor_b64 s[16:17], exec, s[18:19]
; %bb.203:                              ;   in Loop: Header=BB139_2 Depth=1
	v_lshlrev_b32_e32 v25, 3, v108
	ds_read_b64 v[25:26], v25 offset:8
; %bb.204:                              ;   in Loop: Header=BB139_2 Depth=1
	s_or_saveexec_b64 s[16:17], s[16:17]
	v_mov_b32_e32 v30, v24
	v_mov_b32_e32 v29, v23
	s_xor_b64 exec, exec, s[16:17]
	s_cbranch_execz .LBB139_206
; %bb.205:                              ;   in Loop: Header=BB139_2 Depth=1
	s_waitcnt lgkmcnt(0)
	v_lshlrev_b32_e32 v25, 3, v107
	ds_read_b64 v[29:30], v25 offset:8
	v_mov_b32_e32 v26, v22
	v_mov_b32_e32 v25, v21
.LBB139_206:                            ;   in Loop: Header=BB139_2 Depth=1
	s_or_b64 exec, exec, s[16:17]
	v_add_u32_e32 v28, 1, v108
	v_add_u32_e32 v27, 1, v107
	v_cndmask_b32_e64 v110, v28, v108, s[14:15]
	s_waitcnt lgkmcnt(0)
	v_cmp_lt_i64_e64 s[18:19], v[29:30], v[25:26]
	v_cndmask_b32_e64 v109, v107, v27, s[14:15]
	v_cmp_ge_i32_e64 s[20:21], v110, v81
	v_cmp_gt_i32_e64 s[16:17], s33, v109
	s_or_b64 s[18:19], s[20:21], s[18:19]
	s_and_b64 s[16:17], s[16:17], s[18:19]
	s_xor_b64 s[18:19], s[16:17], -1
                                        ; implicit-def: $vgpr31_vgpr32
	s_and_saveexec_b64 s[20:21], s[18:19]
	s_xor_b64 s[18:19], exec, s[20:21]
; %bb.207:                              ;   in Loop: Header=BB139_2 Depth=1
	v_lshlrev_b32_e32 v27, 3, v110
	ds_read_b64 v[31:32], v27 offset:8
; %bb.208:                              ;   in Loop: Header=BB139_2 Depth=1
	s_or_saveexec_b64 s[18:19], s[18:19]
	v_mov_b32_e32 v34, v30
	v_mov_b32_e32 v33, v29
	s_xor_b64 exec, exec, s[18:19]
	s_cbranch_execz .LBB139_210
; %bb.209:                              ;   in Loop: Header=BB139_2 Depth=1
	v_lshlrev_b32_e32 v27, 3, v109
	ds_read_b64 v[33:34], v27 offset:8
	s_waitcnt lgkmcnt(1)
	v_mov_b32_e32 v32, v26
	v_mov_b32_e32 v31, v25
.LBB139_210:                            ;   in Loop: Header=BB139_2 Depth=1
	s_or_b64 exec, exec, s[18:19]
	v_add_u32_e32 v28, 1, v110
	v_add_u32_e32 v27, 1, v109
	v_cndmask_b32_e64 v112, v28, v110, s[16:17]
	s_waitcnt lgkmcnt(0)
	v_cmp_lt_i64_e64 s[20:21], v[33:34], v[31:32]
	v_cndmask_b32_e64 v111, v109, v27, s[16:17]
	v_cmp_ge_i32_e64 s[22:23], v112, v81
	v_cmp_gt_i32_e64 s[18:19], s33, v111
	s_or_b64 s[20:21], s[22:23], s[20:21]
	s_and_b64 s[18:19], s[18:19], s[20:21]
	s_xor_b64 s[20:21], s[18:19], -1
                                        ; implicit-def: $vgpr35_vgpr36
	s_and_saveexec_b64 s[22:23], s[20:21]
	s_xor_b64 s[20:21], exec, s[22:23]
; %bb.211:                              ;   in Loop: Header=BB139_2 Depth=1
	v_lshlrev_b32_e32 v27, 3, v112
	ds_read_b64 v[35:36], v27 offset:8
; %bb.212:                              ;   in Loop: Header=BB139_2 Depth=1
	s_or_saveexec_b64 s[20:21], s[20:21]
	v_mov_b32_e32 v40, v34
	v_mov_b32_e32 v39, v33
	s_xor_b64 exec, exec, s[20:21]
	s_cbranch_execz .LBB139_214
; %bb.213:                              ;   in Loop: Header=BB139_2 Depth=1
	v_lshlrev_b32_e32 v27, 3, v111
	ds_read_b64 v[39:40], v27 offset:8
	s_waitcnt lgkmcnt(1)
	v_mov_b32_e32 v36, v32
	v_mov_b32_e32 v35, v31
.LBB139_214:                            ;   in Loop: Header=BB139_2 Depth=1
	s_or_b64 exec, exec, s[20:21]
	v_add_u32_e32 v28, 1, v112
	v_add_u32_e32 v27, 1, v111
	v_cndmask_b32_e64 v114, v28, v112, s[18:19]
	s_waitcnt lgkmcnt(0)
	v_cmp_lt_i64_e64 s[22:23], v[39:40], v[35:36]
	v_cndmask_b32_e64 v113, v111, v27, s[18:19]
	v_cmp_ge_i32_e64 s[24:25], v114, v81
	v_cmp_gt_i32_e64 s[20:21], s33, v113
	s_or_b64 s[22:23], s[24:25], s[22:23]
	s_and_b64 s[20:21], s[20:21], s[22:23]
	s_xor_b64 s[22:23], s[20:21], -1
                                        ; implicit-def: $vgpr43_vgpr44
	s_and_saveexec_b64 s[24:25], s[22:23]
	s_xor_b64 s[22:23], exec, s[24:25]
; %bb.215:                              ;   in Loop: Header=BB139_2 Depth=1
	v_lshlrev_b32_e32 v27, 3, v114
	ds_read_b64 v[43:44], v27 offset:8
; %bb.216:                              ;   in Loop: Header=BB139_2 Depth=1
	s_or_saveexec_b64 s[22:23], s[22:23]
	v_mov_b32_e32 v48, v40
	v_mov_b32_e32 v47, v39
	s_xor_b64 exec, exec, s[22:23]
	s_cbranch_execz .LBB139_218
; %bb.217:                              ;   in Loop: Header=BB139_2 Depth=1
	v_lshlrev_b32_e32 v27, 3, v113
	ds_read_b64 v[47:48], v27 offset:8
	s_waitcnt lgkmcnt(1)
	v_mov_b32_e32 v44, v36
	v_mov_b32_e32 v43, v35
.LBB139_218:                            ;   in Loop: Header=BB139_2 Depth=1
	s_or_b64 exec, exec, s[22:23]
	v_add_u32_e32 v28, 1, v114
	v_add_u32_e32 v27, 1, v113
	v_cndmask_b32_e64 v116, v28, v114, s[20:21]
	s_waitcnt lgkmcnt(0)
	v_cmp_lt_i64_e64 s[24:25], v[47:48], v[43:44]
	v_cndmask_b32_e64 v115, v113, v27, s[20:21]
	v_cmp_ge_i32_e64 s[26:27], v116, v81
	v_cmp_gt_i32_e64 s[22:23], s33, v115
	s_or_b64 s[24:25], s[26:27], s[24:25]
	s_and_b64 s[24:25], s[22:23], s[24:25]
	s_xor_b64 s[22:23], s[24:25], -1
                                        ; implicit-def: $vgpr37_vgpr38
	s_and_saveexec_b64 s[26:27], s[22:23]
	s_xor_b64 s[22:23], exec, s[26:27]
; %bb.219:                              ;   in Loop: Header=BB139_2 Depth=1
	v_lshlrev_b32_e32 v27, 3, v116
	ds_read_b64 v[37:38], v27 offset:8
; %bb.220:                              ;   in Loop: Header=BB139_2 Depth=1
	s_or_saveexec_b64 s[22:23], s[22:23]
	v_mov_b32_e32 v41, v47
	v_mov_b32_e32 v42, v48
	s_xor_b64 exec, exec, s[22:23]
	s_cbranch_execz .LBB139_222
; %bb.221:                              ;   in Loop: Header=BB139_2 Depth=1
	v_lshlrev_b32_e32 v27, 3, v115
	ds_read_b64 v[41:42], v27 offset:8
	s_waitcnt lgkmcnt(1)
	v_mov_b32_e32 v37, v43
	v_mov_b32_e32 v38, v44
.LBB139_222:                            ;   in Loop: Header=BB139_2 Depth=1
	s_or_b64 exec, exec, s[22:23]
	v_add_u32_e32 v27, 1, v115
	v_add_u32_e32 v28, 1, v116
	v_cndmask_b32_e64 v118, v115, v27, s[24:25]
	v_cndmask_b32_e64 v27, v28, v116, s[24:25]
	s_waitcnt lgkmcnt(0)
	v_cmp_lt_i64_e64 s[26:27], v[41:42], v[37:38]
	v_cmp_ge_i32_e64 s[28:29], v27, v81
	v_cmp_gt_i32_e64 s[22:23], s33, v118
	s_or_b64 s[26:27], s[28:29], s[26:27]
	s_and_b64 s[22:23], s[22:23], s[26:27]
	s_xor_b64 s[26:27], s[22:23], -1
                                        ; implicit-def: $vgpr45_vgpr46
                                        ; implicit-def: $vgpr119
	s_and_saveexec_b64 s[28:29], s[26:27]
	s_xor_b64 s[26:27], exec, s[28:29]
; %bb.223:                              ;   in Loop: Header=BB139_2 Depth=1
	v_lshlrev_b32_e32 v28, 3, v27
	ds_read_b64 v[45:46], v28 offset:8
	v_add_u32_e32 v119, 1, v27
; %bb.224:                              ;   in Loop: Header=BB139_2 Depth=1
	s_or_saveexec_b64 s[26:27], s[26:27]
	v_mov_b32_e32 v50, v42
	v_mov_b32_e32 v117, v27
	;; [unrolled: 1-line block ×3, first 2 shown]
	s_xor_b64 exec, exec, s[26:27]
	s_cbranch_execz .LBB139_1
; %bb.225:                              ;   in Loop: Header=BB139_2 Depth=1
	s_waitcnt lgkmcnt(0)
	v_lshlrev_b32_e32 v45, 3, v118
	ds_read_b64 v[49:50], v45 offset:8
	v_add_u32_e32 v28, 1, v118
	v_mov_b32_e32 v46, v38
	v_mov_b32_e32 v117, v118
	;; [unrolled: 1-line block ×5, first 2 shown]
	s_branch .LBB139_1
.LBB139_226:
	s_waitcnt lgkmcnt(7)
	v_add_co_u32_e32 v7, vcc, v17, v7
	v_addc_co_u32_e32 v8, vcc, v18, v8, vcc
	s_waitcnt lgkmcnt(6)
	v_add_co_u32_e32 v15, vcc, v27, v15
	v_addc_co_u32_e32 v16, vcc, v28, v16, vcc
	s_waitcnt lgkmcnt(5)
	v_add_co_u32_e32 v9, vcc, v19, v9
	v_addc_co_u32_e32 v10, vcc, v20, v10, vcc
	s_waitcnt lgkmcnt(4)
	v_add_co_u32_e32 v5, vcc, v23, v5
	v_addc_co_u32_e32 v6, vcc, v24, v6, vcc
	s_waitcnt lgkmcnt(3)
	v_add_co_u32_e32 v11, vcc, v25, v11
	v_addc_co_u32_e32 v12, vcc, v26, v12, vcc
	s_waitcnt lgkmcnt(2)
	v_add_co_u32_e32 v13, vcc, v29, v13
	v_addc_co_u32_e32 v14, vcc, v30, v14, vcc
	s_waitcnt lgkmcnt(1)
	v_add_co_u32_e32 v3, vcc, v21, v3
	v_addc_co_u32_e32 v4, vcc, v22, v4, vcc
	s_waitcnt lgkmcnt(0)
	v_add_co_u32_e32 v1, vcc, v31, v1
	s_add_u32 s0, s90, s92
	v_addc_co_u32_e32 v2, vcc, v32, v2, vcc
	s_addc_u32 s1, s91, s93
	v_lshlrev_b32_e32 v0, 3, v0
	v_mov_b32_e32 v17, s1
	v_add_co_u32_e32 v18, vcc, s0, v0
	v_addc_co_u32_e32 v17, vcc, 0, v17, vcc
	global_store_dwordx2 v0, v[7:8], s[0:1]
	global_store_dwordx2 v0, v[15:16], s[0:1] offset:1024
	global_store_dwordx2 v0, v[9:10], s[0:1] offset:2048
	;; [unrolled: 1-line block ×3, first 2 shown]
	v_add_co_u32_e32 v5, vcc, 0x1000, v18
	v_addc_co_u32_e32 v6, vcc, 0, v17, vcc
	global_store_dwordx2 v[5:6], v[11:12], off
	global_store_dwordx2 v[5:6], v[13:14], off offset:1024
	global_store_dwordx2 v[5:6], v[3:4], off offset:2048
	;; [unrolled: 1-line block ×3, first 2 shown]
	s_endpgm
	.section	.rodata,"a",@progbits
	.p2align	6, 0x0
	.amdhsa_kernel _Z17sort_pairs_kernelIxLj128ELj8EN10test_utils4lessELj10EEvPKT_PS2_T2_
		.amdhsa_group_segment_fixed_size 8200
		.amdhsa_private_segment_fixed_size 0
		.amdhsa_kernarg_size 20
		.amdhsa_user_sgpr_count 6
		.amdhsa_user_sgpr_private_segment_buffer 1
		.amdhsa_user_sgpr_dispatch_ptr 0
		.amdhsa_user_sgpr_queue_ptr 0
		.amdhsa_user_sgpr_kernarg_segment_ptr 1
		.amdhsa_user_sgpr_dispatch_id 0
		.amdhsa_user_sgpr_flat_scratch_init 0
		.amdhsa_user_sgpr_private_segment_size 0
		.amdhsa_uses_dynamic_stack 0
		.amdhsa_system_sgpr_private_segment_wavefront_offset 0
		.amdhsa_system_sgpr_workgroup_id_x 1
		.amdhsa_system_sgpr_workgroup_id_y 0
		.amdhsa_system_sgpr_workgroup_id_z 0
		.amdhsa_system_sgpr_workgroup_info 0
		.amdhsa_system_vgpr_workitem_id 0
		.amdhsa_next_free_vgpr 120
		.amdhsa_next_free_sgpr 98
		.amdhsa_reserve_vcc 1
		.amdhsa_reserve_flat_scratch 0
		.amdhsa_float_round_mode_32 0
		.amdhsa_float_round_mode_16_64 0
		.amdhsa_float_denorm_mode_32 3
		.amdhsa_float_denorm_mode_16_64 3
		.amdhsa_dx10_clamp 1
		.amdhsa_ieee_mode 1
		.amdhsa_fp16_overflow 0
		.amdhsa_exception_fp_ieee_invalid_op 0
		.amdhsa_exception_fp_denorm_src 0
		.amdhsa_exception_fp_ieee_div_zero 0
		.amdhsa_exception_fp_ieee_overflow 0
		.amdhsa_exception_fp_ieee_underflow 0
		.amdhsa_exception_fp_ieee_inexact 0
		.amdhsa_exception_int_div_zero 0
	.end_amdhsa_kernel
	.section	.text._Z17sort_pairs_kernelIxLj128ELj8EN10test_utils4lessELj10EEvPKT_PS2_T2_,"axG",@progbits,_Z17sort_pairs_kernelIxLj128ELj8EN10test_utils4lessELj10EEvPKT_PS2_T2_,comdat
.Lfunc_end139:
	.size	_Z17sort_pairs_kernelIxLj128ELj8EN10test_utils4lessELj10EEvPKT_PS2_T2_, .Lfunc_end139-_Z17sort_pairs_kernelIxLj128ELj8EN10test_utils4lessELj10EEvPKT_PS2_T2_
                                        ; -- End function
	.set _Z17sort_pairs_kernelIxLj128ELj8EN10test_utils4lessELj10EEvPKT_PS2_T2_.num_vgpr, 120
	.set _Z17sort_pairs_kernelIxLj128ELj8EN10test_utils4lessELj10EEvPKT_PS2_T2_.num_agpr, 0
	.set _Z17sort_pairs_kernelIxLj128ELj8EN10test_utils4lessELj10EEvPKT_PS2_T2_.numbered_sgpr, 96
	.set _Z17sort_pairs_kernelIxLj128ELj8EN10test_utils4lessELj10EEvPKT_PS2_T2_.num_named_barrier, 0
	.set _Z17sort_pairs_kernelIxLj128ELj8EN10test_utils4lessELj10EEvPKT_PS2_T2_.private_seg_size, 0
	.set _Z17sort_pairs_kernelIxLj128ELj8EN10test_utils4lessELj10EEvPKT_PS2_T2_.uses_vcc, 1
	.set _Z17sort_pairs_kernelIxLj128ELj8EN10test_utils4lessELj10EEvPKT_PS2_T2_.uses_flat_scratch, 0
	.set _Z17sort_pairs_kernelIxLj128ELj8EN10test_utils4lessELj10EEvPKT_PS2_T2_.has_dyn_sized_stack, 0
	.set _Z17sort_pairs_kernelIxLj128ELj8EN10test_utils4lessELj10EEvPKT_PS2_T2_.has_recursion, 0
	.set _Z17sort_pairs_kernelIxLj128ELj8EN10test_utils4lessELj10EEvPKT_PS2_T2_.has_indirect_call, 0
	.section	.AMDGPU.csdata,"",@progbits
; Kernel info:
; codeLenInByte = 13492
; TotalNumSgprs: 100
; NumVgprs: 120
; ScratchSize: 0
; MemoryBound: 0
; FloatMode: 240
; IeeeMode: 1
; LDSByteSize: 8200 bytes/workgroup (compile time only)
; SGPRBlocks: 12
; VGPRBlocks: 29
; NumSGPRsForWavesPerEU: 102
; NumVGPRsForWavesPerEU: 120
; Occupancy: 2
; WaveLimiterHint : 1
; COMPUTE_PGM_RSRC2:SCRATCH_EN: 0
; COMPUTE_PGM_RSRC2:USER_SGPR: 6
; COMPUTE_PGM_RSRC2:TRAP_HANDLER: 0
; COMPUTE_PGM_RSRC2:TGID_X_EN: 1
; COMPUTE_PGM_RSRC2:TGID_Y_EN: 0
; COMPUTE_PGM_RSRC2:TGID_Z_EN: 0
; COMPUTE_PGM_RSRC2:TIDIG_COMP_CNT: 0
	.section	.text._Z16sort_keys_kernelIxLj256ELj1EN10test_utils4lessELj10EEvPKT_PS2_T2_,"axG",@progbits,_Z16sort_keys_kernelIxLj256ELj1EN10test_utils4lessELj10EEvPKT_PS2_T2_,comdat
	.protected	_Z16sort_keys_kernelIxLj256ELj1EN10test_utils4lessELj10EEvPKT_PS2_T2_ ; -- Begin function _Z16sort_keys_kernelIxLj256ELj1EN10test_utils4lessELj10EEvPKT_PS2_T2_
	.globl	_Z16sort_keys_kernelIxLj256ELj1EN10test_utils4lessELj10EEvPKT_PS2_T2_
	.p2align	8
	.type	_Z16sort_keys_kernelIxLj256ELj1EN10test_utils4lessELj10EEvPKT_PS2_T2_,@function
_Z16sort_keys_kernelIxLj256ELj1EN10test_utils4lessELj10EEvPKT_PS2_T2_: ; @_Z16sort_keys_kernelIxLj256ELj1EN10test_utils4lessELj10EEvPKT_PS2_T2_
; %bb.0:
	s_load_dwordx4 s[20:23], s[4:5], 0x0
	s_lshl_b32 s26, s6, 8
	s_mov_b32 s27, 0
	s_lshl_b64 s[24:25], s[26:27], 3
	v_lshlrev_b32_e32 v8, 3, v0
	s_waitcnt lgkmcnt(0)
	s_add_u32 s0, s20, s24
	s_addc_u32 s1, s21, s25
	global_load_dwordx2 v[1:2], v8, s[0:1]
	v_and_b32_e32 v16, 0xfc, v0
	v_and_b32_e32 v22, 0xf8, v0
	;; [unrolled: 1-line block ×6, first 2 shown]
	v_or_b32_e32 v19, 2, v16
	v_add_u32_e32 v3, 4, v16
	v_or_b32_e32 v25, 4, v22
	v_add_u32_e32 v4, 8, v22
	;; [unrolled: 2-line block ×6, first 2 shown]
	v_and_b32_e32 v20, 3, v0
	v_sub_u32_e32 v17, v3, v19
	v_and_b32_e32 v26, 7, v0
	v_sub_u32_e32 v23, v4, v25
	;; [unrolled: 2-line block ×7, first 2 shown]
	v_sub_u32_e32 v24, v26, v23
	v_sub_u32_e32 v30, v32, v29
	;; [unrolled: 1-line block ×5, first 2 shown]
	v_or_b32_e32 v10, 1, v12
	v_and_b32_e32 v55, 1, v0
	v_cmp_ge_i32_e64 s[0:1], v20, v17
	v_cmp_ge_i32_e64 s[2:3], v26, v23
	;; [unrolled: 1-line block ×6, first 2 shown]
	v_sub_u32_e32 v11, v10, v12
	v_add_u32_e32 v13, -1, v55
	v_cmp_lt_i32_e32 vcc, 0, v55
	v_sub_u32_e32 v15, v19, v16
	v_cndmask_b32_e64 v17, 0, v18, s[0:1]
	v_lshlrev_b32_e32 v18, 3, v20
	v_sub_u32_e32 v21, v25, v22
	v_cndmask_b32_e64 v23, 0, v24, s[2:3]
	v_lshlrev_b32_e32 v24, 3, v26
	;; [unrolled: 3-line block ×6, first 2 shown]
	v_mov_b32_e32 v51, 0x80
	v_cndmask_b32_e32 v13, 0, v13, vcc
	v_min_i32_e32 v14, v55, v11
	v_lshl_add_u32 v18, v19, 3, v18
	v_add_u32_e32 v19, v19, v20
	v_min_i32_e32 v20, v20, v15
	v_lshl_add_u32 v24, v25, 3, v24
	v_add_u32_e32 v25, v25, v26
	;; [unrolled: 3-line block ×6, first 2 shown]
	v_min_i32_e32 v50, v50, v45
	v_sub_u32_e64 v52, v0, v51 clamp
	v_min_i32_e32 v53, 0x80, v0
	v_add_u32_e32 v54, v10, v55
	v_lshlrev_b32_e32 v55, 3, v55
	v_lshlrev_b32_e32 v12, 3, v12
	v_cmp_lt_i32_e32 vcc, v13, v14
	v_lshlrev_b32_e32 v16, 3, v16
	v_cmp_lt_i32_e64 s[0:1], v17, v20
	v_lshlrev_b32_e32 v22, 3, v22
	v_cmp_lt_i32_e64 s[2:3], v23, v26
	;; [unrolled: 2-line block ×6, first 2 shown]
	v_cmp_lt_i32_e64 s[12:13], v52, v53
	v_lshl_add_u32 v55, v10, 3, v55
	s_movk_i32 s20, 0x100
	v_add_u32_e32 v56, 0x80, v0
	v_add_u32_e32 v57, 0x400, v8
	s_branch .LBB140_2
.LBB140_1:                              ;   in Loop: Header=BB140_2 Depth=1
	s_or_b64 exec, exec, s[16:17]
	v_sub_u32_e32 v2, v56, v1
	v_lshlrev_b32_e32 v58, 3, v1
	v_lshlrev_b32_e32 v60, 3, v2
	ds_read_b64 v[58:59], v58
	ds_read_b64 v[60:61], v60
	v_cmp_ge_i32_e64 s[14:15], v1, v51
	v_cmp_gt_i32_e64 s[18:19], s20, v2
	s_add_i32 s27, s27, 1
	s_waitcnt lgkmcnt(0)
	v_cmp_lt_i64_e64 s[16:17], v[60:61], v[58:59]
	s_or_b64 s[14:15], s[14:15], s[16:17]
	s_and_b64 s[14:15], s[18:19], s[14:15]
	v_cndmask_b32_e64 v2, v59, v61, s[14:15]
	s_cmp_eq_u32 s27, 10
	v_cndmask_b32_e64 v1, v58, v60, s[14:15]
	s_cbranch_scc1 .LBB140_34
.LBB140_2:                              ; =>This Loop Header: Depth=1
                                        ;     Child Loop BB140_4 Depth 2
                                        ;     Child Loop BB140_8 Depth 2
	;; [unrolled: 1-line block ×8, first 2 shown]
	s_waitcnt vmcnt(0)
	s_barrier
	ds_write_b64 v8, v[1:2]
	v_mov_b32_e32 v1, v13
	s_waitcnt lgkmcnt(0)
	s_barrier
	s_and_saveexec_b64 s[16:17], vcc
	s_cbranch_execz .LBB140_6
; %bb.3:                                ;   in Loop: Header=BB140_2 Depth=1
	s_mov_b64 s[18:19], 0
	v_mov_b32_e32 v1, v13
	v_mov_b32_e32 v2, v14
.LBB140_4:                              ;   Parent Loop BB140_2 Depth=1
                                        ; =>  This Inner Loop Header: Depth=2
	v_sub_u32_e32 v58, v2, v1
	v_lshrrev_b32_e32 v58, 1, v58
	v_add_u32_e32 v62, v58, v1
	v_not_b32_e32 v59, v62
	v_lshl_add_u32 v58, v62, 3, v12
	v_lshl_add_u32 v60, v59, 3, v55
	ds_read_b64 v[58:59], v58
	ds_read_b64 v[60:61], v60
	v_add_u32_e32 v63, 1, v62
	s_waitcnt lgkmcnt(0)
	v_cmp_lt_i64_e64 s[14:15], v[60:61], v[58:59]
	v_cndmask_b32_e64 v2, v2, v62, s[14:15]
	v_cndmask_b32_e64 v1, v63, v1, s[14:15]
	v_cmp_ge_i32_e64 s[14:15], v1, v2
	s_or_b64 s[18:19], s[14:15], s[18:19]
	s_andn2_b64 exec, exec, s[18:19]
	s_cbranch_execnz .LBB140_4
; %bb.5:                                ;   in Loop: Header=BB140_2 Depth=1
	s_or_b64 exec, exec, s[18:19]
.LBB140_6:                              ;   in Loop: Header=BB140_2 Depth=1
	s_or_b64 exec, exec, s[16:17]
	v_sub_u32_e32 v2, v54, v1
	v_lshl_add_u32 v58, v1, 3, v12
	v_lshlrev_b32_e32 v60, 3, v2
	ds_read_b64 v[58:59], v58
	ds_read_b64 v[60:61], v60
	v_cmp_ge_i32_e64 s[14:15], v1, v11
	v_cmp_ge_i32_e64 s[18:19], v10, v2
	s_waitcnt lgkmcnt(0)
	s_barrier
	v_cmp_lt_i64_e64 s[16:17], v[60:61], v[58:59]
	s_or_b64 s[14:15], s[14:15], s[16:17]
	s_and_b64 s[14:15], s[18:19], s[14:15]
	v_cndmask_b32_e64 v2, v59, v61, s[14:15]
	v_cndmask_b32_e64 v1, v58, v60, s[14:15]
	ds_write_b64 v8, v[1:2]
	v_mov_b32_e32 v1, v17
	s_waitcnt lgkmcnt(0)
	s_barrier
	s_and_saveexec_b64 s[16:17], s[0:1]
	s_cbranch_execz .LBB140_10
; %bb.7:                                ;   in Loop: Header=BB140_2 Depth=1
	s_mov_b64 s[18:19], 0
	v_mov_b32_e32 v1, v17
	v_mov_b32_e32 v2, v20
.LBB140_8:                              ;   Parent Loop BB140_2 Depth=1
                                        ; =>  This Inner Loop Header: Depth=2
	v_sub_u32_e32 v58, v2, v1
	v_lshrrev_b32_e32 v58, 1, v58
	v_add_u32_e32 v62, v58, v1
	v_not_b32_e32 v59, v62
	v_lshl_add_u32 v58, v62, 3, v16
	v_lshl_add_u32 v60, v59, 3, v18
	ds_read_b64 v[58:59], v58
	ds_read_b64 v[60:61], v60
	v_add_u32_e32 v63, 1, v62
	s_waitcnt lgkmcnt(0)
	v_cmp_lt_i64_e64 s[14:15], v[60:61], v[58:59]
	v_cndmask_b32_e64 v2, v2, v62, s[14:15]
	v_cndmask_b32_e64 v1, v63, v1, s[14:15]
	v_cmp_ge_i32_e64 s[14:15], v1, v2
	s_or_b64 s[18:19], s[14:15], s[18:19]
	s_andn2_b64 exec, exec, s[18:19]
	s_cbranch_execnz .LBB140_8
; %bb.9:                                ;   in Loop: Header=BB140_2 Depth=1
	s_or_b64 exec, exec, s[18:19]
.LBB140_10:                             ;   in Loop: Header=BB140_2 Depth=1
	s_or_b64 exec, exec, s[16:17]
	v_sub_u32_e32 v2, v19, v1
	v_lshl_add_u32 v58, v1, 3, v16
	v_lshlrev_b32_e32 v60, 3, v2
	ds_read_b64 v[58:59], v58
	ds_read_b64 v[60:61], v60
	v_cmp_ge_i32_e64 s[14:15], v1, v15
	v_cmp_gt_i32_e64 s[18:19], v3, v2
	s_waitcnt lgkmcnt(0)
	s_barrier
	v_cmp_lt_i64_e64 s[16:17], v[60:61], v[58:59]
	s_or_b64 s[14:15], s[14:15], s[16:17]
	s_and_b64 s[14:15], s[18:19], s[14:15]
	v_cndmask_b32_e64 v2, v59, v61, s[14:15]
	v_cndmask_b32_e64 v1, v58, v60, s[14:15]
	ds_write_b64 v8, v[1:2]
	v_mov_b32_e32 v1, v23
	s_waitcnt lgkmcnt(0)
	s_barrier
	s_and_saveexec_b64 s[16:17], s[2:3]
	s_cbranch_execz .LBB140_14
; %bb.11:                               ;   in Loop: Header=BB140_2 Depth=1
	s_mov_b64 s[18:19], 0
	v_mov_b32_e32 v1, v23
	v_mov_b32_e32 v2, v26
.LBB140_12:                             ;   Parent Loop BB140_2 Depth=1
                                        ; =>  This Inner Loop Header: Depth=2
	v_sub_u32_e32 v58, v2, v1
	v_lshrrev_b32_e32 v58, 1, v58
	v_add_u32_e32 v62, v58, v1
	v_not_b32_e32 v59, v62
	v_lshl_add_u32 v58, v62, 3, v22
	v_lshl_add_u32 v60, v59, 3, v24
	ds_read_b64 v[58:59], v58
	ds_read_b64 v[60:61], v60
	v_add_u32_e32 v63, 1, v62
	s_waitcnt lgkmcnt(0)
	v_cmp_lt_i64_e64 s[14:15], v[60:61], v[58:59]
	v_cndmask_b32_e64 v2, v2, v62, s[14:15]
	v_cndmask_b32_e64 v1, v63, v1, s[14:15]
	v_cmp_ge_i32_e64 s[14:15], v1, v2
	s_or_b64 s[18:19], s[14:15], s[18:19]
	s_andn2_b64 exec, exec, s[18:19]
	s_cbranch_execnz .LBB140_12
; %bb.13:                               ;   in Loop: Header=BB140_2 Depth=1
	s_or_b64 exec, exec, s[18:19]
.LBB140_14:                             ;   in Loop: Header=BB140_2 Depth=1
	s_or_b64 exec, exec, s[16:17]
	v_sub_u32_e32 v2, v25, v1
	v_lshl_add_u32 v58, v1, 3, v22
	v_lshlrev_b32_e32 v60, 3, v2
	ds_read_b64 v[58:59], v58
	ds_read_b64 v[60:61], v60
	v_cmp_ge_i32_e64 s[14:15], v1, v21
	v_cmp_gt_i32_e64 s[18:19], v4, v2
	s_waitcnt lgkmcnt(0)
	s_barrier
	v_cmp_lt_i64_e64 s[16:17], v[60:61], v[58:59]
	s_or_b64 s[14:15], s[14:15], s[16:17]
	s_and_b64 s[14:15], s[18:19], s[14:15]
	v_cndmask_b32_e64 v2, v59, v61, s[14:15]
	v_cndmask_b32_e64 v1, v58, v60, s[14:15]
	ds_write_b64 v8, v[1:2]
	v_mov_b32_e32 v1, v29
	s_waitcnt lgkmcnt(0)
	s_barrier
	s_and_saveexec_b64 s[16:17], s[4:5]
	s_cbranch_execz .LBB140_18
; %bb.15:                               ;   in Loop: Header=BB140_2 Depth=1
	s_mov_b64 s[18:19], 0
	v_mov_b32_e32 v1, v29
	v_mov_b32_e32 v2, v32
.LBB140_16:                             ;   Parent Loop BB140_2 Depth=1
                                        ; =>  This Inner Loop Header: Depth=2
	v_sub_u32_e32 v58, v2, v1
	v_lshrrev_b32_e32 v58, 1, v58
	v_add_u32_e32 v62, v58, v1
	v_not_b32_e32 v59, v62
	v_lshl_add_u32 v58, v62, 3, v28
	v_lshl_add_u32 v60, v59, 3, v30
	ds_read_b64 v[58:59], v58
	ds_read_b64 v[60:61], v60
	v_add_u32_e32 v63, 1, v62
	s_waitcnt lgkmcnt(0)
	v_cmp_lt_i64_e64 s[14:15], v[60:61], v[58:59]
	v_cndmask_b32_e64 v2, v2, v62, s[14:15]
	v_cndmask_b32_e64 v1, v63, v1, s[14:15]
	v_cmp_ge_i32_e64 s[14:15], v1, v2
	s_or_b64 s[18:19], s[14:15], s[18:19]
	s_andn2_b64 exec, exec, s[18:19]
	s_cbranch_execnz .LBB140_16
; %bb.17:                               ;   in Loop: Header=BB140_2 Depth=1
	s_or_b64 exec, exec, s[18:19]
.LBB140_18:                             ;   in Loop: Header=BB140_2 Depth=1
	;; [unrolled: 47-line block ×5, first 2 shown]
	s_or_b64 exec, exec, s[16:17]
	v_sub_u32_e32 v2, v49, v1
	v_lshl_add_u32 v58, v1, 3, v46
	v_lshlrev_b32_e32 v60, 3, v2
	ds_read_b64 v[58:59], v58
	ds_read_b64 v[60:61], v60
	v_cmp_ge_i32_e64 s[14:15], v1, v45
	v_cmp_gt_i32_e64 s[18:19], v9, v2
	s_waitcnt lgkmcnt(0)
	s_barrier
	v_cmp_lt_i64_e64 s[16:17], v[60:61], v[58:59]
	s_or_b64 s[14:15], s[14:15], s[16:17]
	s_and_b64 s[14:15], s[18:19], s[14:15]
	v_cndmask_b32_e64 v2, v59, v61, s[14:15]
	v_cndmask_b32_e64 v1, v58, v60, s[14:15]
	ds_write_b64 v8, v[1:2]
	v_mov_b32_e32 v1, v52
	s_waitcnt lgkmcnt(0)
	s_barrier
	s_and_saveexec_b64 s[16:17], s[12:13]
	s_cbranch_execz .LBB140_1
; %bb.31:                               ;   in Loop: Header=BB140_2 Depth=1
	s_mov_b64 s[18:19], 0
	v_mov_b32_e32 v1, v52
	v_mov_b32_e32 v2, v53
.LBB140_32:                             ;   Parent Loop BB140_2 Depth=1
                                        ; =>  This Inner Loop Header: Depth=2
	v_sub_u32_e32 v58, v2, v1
	v_lshrrev_b32_e32 v58, 1, v58
	v_add_u32_e32 v62, v58, v1
	v_not_b32_e32 v59, v62
	v_lshlrev_b32_e32 v58, 3, v62
	v_lshl_add_u32 v60, v59, 3, v57
	ds_read_b64 v[58:59], v58
	ds_read_b64 v[60:61], v60
	v_add_u32_e32 v63, 1, v62
	s_waitcnt lgkmcnt(0)
	v_cmp_lt_i64_e64 s[14:15], v[60:61], v[58:59]
	v_cndmask_b32_e64 v2, v2, v62, s[14:15]
	v_cndmask_b32_e64 v1, v63, v1, s[14:15]
	v_cmp_ge_i32_e64 s[14:15], v1, v2
	s_or_b64 s[18:19], s[14:15], s[18:19]
	s_andn2_b64 exec, exec, s[18:19]
	s_cbranch_execnz .LBB140_32
; %bb.33:                               ;   in Loop: Header=BB140_2 Depth=1
	s_or_b64 exec, exec, s[18:19]
	s_branch .LBB140_1
.LBB140_34:
	s_add_u32 s0, s22, s24
	s_addc_u32 s1, s23, s25
	v_lshlrev_b32_e32 v0, 3, v0
	global_store_dwordx2 v0, v[1:2], s[0:1]
	s_endpgm
	.section	.rodata,"a",@progbits
	.p2align	6, 0x0
	.amdhsa_kernel _Z16sort_keys_kernelIxLj256ELj1EN10test_utils4lessELj10EEvPKT_PS2_T2_
		.amdhsa_group_segment_fixed_size 2056
		.amdhsa_private_segment_fixed_size 0
		.amdhsa_kernarg_size 20
		.amdhsa_user_sgpr_count 6
		.amdhsa_user_sgpr_private_segment_buffer 1
		.amdhsa_user_sgpr_dispatch_ptr 0
		.amdhsa_user_sgpr_queue_ptr 0
		.amdhsa_user_sgpr_kernarg_segment_ptr 1
		.amdhsa_user_sgpr_dispatch_id 0
		.amdhsa_user_sgpr_flat_scratch_init 0
		.amdhsa_user_sgpr_private_segment_size 0
		.amdhsa_uses_dynamic_stack 0
		.amdhsa_system_sgpr_private_segment_wavefront_offset 0
		.amdhsa_system_sgpr_workgroup_id_x 1
		.amdhsa_system_sgpr_workgroup_id_y 0
		.amdhsa_system_sgpr_workgroup_id_z 0
		.amdhsa_system_sgpr_workgroup_info 0
		.amdhsa_system_vgpr_workitem_id 0
		.amdhsa_next_free_vgpr 64
		.amdhsa_next_free_sgpr 28
		.amdhsa_reserve_vcc 1
		.amdhsa_reserve_flat_scratch 0
		.amdhsa_float_round_mode_32 0
		.amdhsa_float_round_mode_16_64 0
		.amdhsa_float_denorm_mode_32 3
		.amdhsa_float_denorm_mode_16_64 3
		.amdhsa_dx10_clamp 1
		.amdhsa_ieee_mode 1
		.amdhsa_fp16_overflow 0
		.amdhsa_exception_fp_ieee_invalid_op 0
		.amdhsa_exception_fp_denorm_src 0
		.amdhsa_exception_fp_ieee_div_zero 0
		.amdhsa_exception_fp_ieee_overflow 0
		.amdhsa_exception_fp_ieee_underflow 0
		.amdhsa_exception_fp_ieee_inexact 0
		.amdhsa_exception_int_div_zero 0
	.end_amdhsa_kernel
	.section	.text._Z16sort_keys_kernelIxLj256ELj1EN10test_utils4lessELj10EEvPKT_PS2_T2_,"axG",@progbits,_Z16sort_keys_kernelIxLj256ELj1EN10test_utils4lessELj10EEvPKT_PS2_T2_,comdat
.Lfunc_end140:
	.size	_Z16sort_keys_kernelIxLj256ELj1EN10test_utils4lessELj10EEvPKT_PS2_T2_, .Lfunc_end140-_Z16sort_keys_kernelIxLj256ELj1EN10test_utils4lessELj10EEvPKT_PS2_T2_
                                        ; -- End function
	.set _Z16sort_keys_kernelIxLj256ELj1EN10test_utils4lessELj10EEvPKT_PS2_T2_.num_vgpr, 64
	.set _Z16sort_keys_kernelIxLj256ELj1EN10test_utils4lessELj10EEvPKT_PS2_T2_.num_agpr, 0
	.set _Z16sort_keys_kernelIxLj256ELj1EN10test_utils4lessELj10EEvPKT_PS2_T2_.numbered_sgpr, 28
	.set _Z16sort_keys_kernelIxLj256ELj1EN10test_utils4lessELj10EEvPKT_PS2_T2_.num_named_barrier, 0
	.set _Z16sort_keys_kernelIxLj256ELj1EN10test_utils4lessELj10EEvPKT_PS2_T2_.private_seg_size, 0
	.set _Z16sort_keys_kernelIxLj256ELj1EN10test_utils4lessELj10EEvPKT_PS2_T2_.uses_vcc, 1
	.set _Z16sort_keys_kernelIxLj256ELj1EN10test_utils4lessELj10EEvPKT_PS2_T2_.uses_flat_scratch, 0
	.set _Z16sort_keys_kernelIxLj256ELj1EN10test_utils4lessELj10EEvPKT_PS2_T2_.has_dyn_sized_stack, 0
	.set _Z16sort_keys_kernelIxLj256ELj1EN10test_utils4lessELj10EEvPKT_PS2_T2_.has_recursion, 0
	.set _Z16sort_keys_kernelIxLj256ELj1EN10test_utils4lessELj10EEvPKT_PS2_T2_.has_indirect_call, 0
	.section	.AMDGPU.csdata,"",@progbits
; Kernel info:
; codeLenInByte = 2572
; TotalNumSgprs: 32
; NumVgprs: 64
; ScratchSize: 0
; MemoryBound: 0
; FloatMode: 240
; IeeeMode: 1
; LDSByteSize: 2056 bytes/workgroup (compile time only)
; SGPRBlocks: 3
; VGPRBlocks: 15
; NumSGPRsForWavesPerEU: 32
; NumVGPRsForWavesPerEU: 64
; Occupancy: 4
; WaveLimiterHint : 0
; COMPUTE_PGM_RSRC2:SCRATCH_EN: 0
; COMPUTE_PGM_RSRC2:USER_SGPR: 6
; COMPUTE_PGM_RSRC2:TRAP_HANDLER: 0
; COMPUTE_PGM_RSRC2:TGID_X_EN: 1
; COMPUTE_PGM_RSRC2:TGID_Y_EN: 0
; COMPUTE_PGM_RSRC2:TGID_Z_EN: 0
; COMPUTE_PGM_RSRC2:TIDIG_COMP_CNT: 0
	.section	.text._Z17sort_pairs_kernelIxLj256ELj1EN10test_utils4lessELj10EEvPKT_PS2_T2_,"axG",@progbits,_Z17sort_pairs_kernelIxLj256ELj1EN10test_utils4lessELj10EEvPKT_PS2_T2_,comdat
	.protected	_Z17sort_pairs_kernelIxLj256ELj1EN10test_utils4lessELj10EEvPKT_PS2_T2_ ; -- Begin function _Z17sort_pairs_kernelIxLj256ELj1EN10test_utils4lessELj10EEvPKT_PS2_T2_
	.globl	_Z17sort_pairs_kernelIxLj256ELj1EN10test_utils4lessELj10EEvPKT_PS2_T2_
	.p2align	8
	.type	_Z17sort_pairs_kernelIxLj256ELj1EN10test_utils4lessELj10EEvPKT_PS2_T2_,@function
_Z17sort_pairs_kernelIxLj256ELj1EN10test_utils4lessELj10EEvPKT_PS2_T2_: ; @_Z17sort_pairs_kernelIxLj256ELj1EN10test_utils4lessELj10EEvPKT_PS2_T2_
; %bb.0:
	s_load_dwordx4 s[20:23], s[4:5], 0x0
	s_lshl_b32 s26, s6, 8
	s_mov_b32 s27, 0
	s_lshl_b64 s[24:25], s[26:27], 3
	v_lshlrev_b32_e32 v5, 3, v0
	s_waitcnt lgkmcnt(0)
	s_add_u32 s0, s20, s24
	s_addc_u32 s1, s21, s25
	global_load_dwordx2 v[1:2], v5, s[0:1]
	v_and_b32_e32 v6, 0xfc, v0
	v_and_b32_e32 v7, 0xf8, v0
	v_or_b32_e32 v13, 2, v6
	v_add_u32_e32 v14, 4, v6
	v_and_b32_e32 v46, 3, v0
	v_and_b32_e32 v8, 0xf0, v0
	v_or_b32_e32 v15, 4, v7
	v_add_u32_e32 v16, 8, v7
	v_sub_u32_e32 v4, v14, v13
	v_and_b32_e32 v48, 7, v0
	v_and_b32_e32 v9, 0xe0, v0
	v_or_b32_e32 v17, 8, v8
	v_add_u32_e32 v18, 16, v8
	v_sub_u32_e32 v35, v16, v15
	v_sub_u32_e32 v34, v46, v4
	v_cmp_ge_i32_e64 s[0:1], v46, v4
	v_and_b32_e32 v50, 15, v0
	v_and_b32_e32 v10, 0xc0, v0
	v_or_b32_e32 v19, 16, v9
	v_add_u32_e32 v20, 32, v9
	v_sub_u32_e32 v36, v18, v17
	v_sub_u32_e32 v40, v48, v35
	v_cndmask_b32_e64 v34, 0, v34, s[0:1]
	v_cmp_ge_i32_e64 s[0:1], v48, v35
	v_and_b32_e32 v52, 31, v0
	v_and_b32_e32 v11, 0x80, v0
	;; [unrolled: 1-line block ×4, first 2 shown]
	v_or_b32_e32 v21, 32, v10
	v_add_u32_e32 v22, 64, v10
	v_sub_u32_e32 v37, v20, v19
	v_sub_u32_e32 v41, v50, v36
	v_cndmask_b32_e64 v35, 0, v40, s[0:1]
	v_cmp_ge_i32_e64 s[0:1], v50, v36
	v_and_b32_e32 v54, 63, v0
	v_or_b32_e32 v23, 64, v11
	v_add_u32_e32 v24, 0x80, v11
	v_add_u32_e32 v3, -1, v44
	v_or_b32_e32 v25, 1, v12
	v_sub_u32_e32 v38, v22, v21
	v_cmp_lt_i32_e32 vcc, 0, v44
	v_sub_u32_e32 v42, v52, v37
	v_cndmask_b32_e64 v36, 0, v41, s[0:1]
	v_cmp_ge_i32_e64 s[0:1], v52, v37
	v_and_b32_e32 v56, 0x7f, v0
	v_sub_u32_e32 v39, v24, v23
	v_cndmask_b32_e32 v26, 0, v3, vcc
	v_sub_u32_e32 v3, v25, v12
	v_sub_u32_e32 v43, v54, v38
	v_cndmask_b32_e64 v37, 0, v42, s[0:1]
	v_cmp_ge_i32_e64 s[0:1], v54, v38
	v_sub_u32_e32 v28, v13, v6
	v_sub_u32_e32 v29, v15, v7
	;; [unrolled: 1-line block ×7, first 2 shown]
	v_min_i32_e32 v27, v44, v3
	v_cndmask_b32_e64 v38, 0, v43, s[0:1]
	v_cmp_ge_i32_e64 s[0:1], v56, v39
	v_mov_b32_e32 v40, 0x80
	v_min_i32_e32 v28, v46, v28
	v_min_i32_e32 v29, v48, v29
	;; [unrolled: 1-line block ×6, first 2 shown]
	v_cndmask_b32_e64 v39, 0, v45, s[0:1]
	v_sub_u32_e64 v41, v0, v40 clamp
	v_min_i32_e32 v42, 0x80, v0
	v_add_u32_e32 v43, v25, v44
	v_lshlrev_b32_e32 v44, 3, v44
	v_add_u32_e32 v45, v13, v46
	v_lshlrev_b32_e32 v46, 3, v46
	;; [unrolled: 2-line block ×4, first 2 shown]
	s_waitcnt vmcnt(0)
	v_add_co_u32_e64 v3, s[12:13], 1, v1
	v_addc_co_u32_e64 v4, s[12:13], 0, v2, s[12:13]
	v_add_u32_e32 v51, v19, v52
	v_lshlrev_b32_e32 v52, 3, v52
	v_add_u32_e32 v53, v21, v54
	v_lshlrev_b32_e32 v54, 3, v54
	;; [unrolled: 2-line block ×3, first 2 shown]
	v_cmp_lt_i32_e32 vcc, v26, v27
	v_cmp_lt_i32_e64 s[0:1], v34, v28
	v_cmp_lt_i32_e64 s[2:3], v35, v29
	;; [unrolled: 1-line block ×7, first 2 shown]
	v_lshl_add_u32 v44, v25, 3, v44
	v_lshl_add_u32 v46, v13, 3, v46
	;; [unrolled: 1-line block ×7, first 2 shown]
	s_movk_i32 s20, 0x100
	v_lshlrev_b32_e32 v57, 3, v12
	v_lshlrev_b32_e32 v58, 3, v6
	;; [unrolled: 1-line block ×7, first 2 shown]
	v_add_u32_e32 v64, 0x80, v0
	v_add_u32_e32 v65, 0x400, v5
	s_branch .LBB141_2
.LBB141_1:                              ;   in Loop: Header=BB141_2 Depth=1
	s_or_b64 exec, exec, s[16:17]
	v_sub_u32_e32 v70, v64, v1
	v_lshlrev_b32_e32 v2, 3, v1
	v_lshlrev_b32_e32 v68, 3, v70
	ds_read_b64 v[66:67], v2
	ds_read_b64 v[68:69], v68
	v_cmp_le_i32_e64 s[14:15], v40, v1
	v_cmp_gt_i32_e64 s[18:19], s20, v70
	s_waitcnt lgkmcnt(0)
	s_barrier
	v_cmp_lt_i64_e64 s[16:17], v[68:69], v[66:67]
	s_or_b64 s[14:15], s[14:15], s[16:17]
	s_and_b64 s[14:15], s[18:19], s[14:15]
	v_cndmask_b32_e64 v1, v1, v70, s[14:15]
	v_lshlrev_b32_e32 v1, 3, v1
	ds_write_b64 v5, v[3:4]
	s_waitcnt lgkmcnt(0)
	s_barrier
	ds_read_b64 v[3:4], v1
	s_add_i32 s27, s27, 1
	v_cndmask_b32_e64 v2, v67, v69, s[14:15]
	s_cmp_eq_u32 s27, 10
	v_cndmask_b32_e64 v1, v66, v68, s[14:15]
	s_cbranch_scc1 .LBB141_34
.LBB141_2:                              ; =>This Loop Header: Depth=1
                                        ;     Child Loop BB141_4 Depth 2
                                        ;     Child Loop BB141_8 Depth 2
	;; [unrolled: 1-line block ×8, first 2 shown]
	s_waitcnt lgkmcnt(0)
	s_barrier
	ds_write_b64 v5, v[1:2]
	v_mov_b32_e32 v1, v26
	s_waitcnt lgkmcnt(0)
	s_barrier
	s_and_saveexec_b64 s[16:17], vcc
	s_cbranch_execz .LBB141_6
; %bb.3:                                ;   in Loop: Header=BB141_2 Depth=1
	s_mov_b64 s[18:19], 0
	v_mov_b32_e32 v1, v26
	v_mov_b32_e32 v2, v27
.LBB141_4:                              ;   Parent Loop BB141_2 Depth=1
                                        ; =>  This Inner Loop Header: Depth=2
	v_sub_u32_e32 v66, v2, v1
	v_lshrrev_b32_e32 v66, 1, v66
	v_add_u32_e32 v70, v66, v1
	v_not_b32_e32 v67, v70
	v_lshl_add_u32 v66, v70, 3, v57
	v_lshl_add_u32 v68, v67, 3, v44
	ds_read_b64 v[66:67], v66
	ds_read_b64 v[68:69], v68
	v_add_u32_e32 v71, 1, v70
	s_waitcnt lgkmcnt(0)
	v_cmp_lt_i64_e64 s[14:15], v[68:69], v[66:67]
	v_cndmask_b32_e64 v2, v2, v70, s[14:15]
	v_cndmask_b32_e64 v1, v71, v1, s[14:15]
	v_cmp_ge_i32_e64 s[14:15], v1, v2
	s_or_b64 s[18:19], s[14:15], s[18:19]
	s_andn2_b64 exec, exec, s[18:19]
	s_cbranch_execnz .LBB141_4
; %bb.5:                                ;   in Loop: Header=BB141_2 Depth=1
	s_or_b64 exec, exec, s[18:19]
.LBB141_6:                              ;   in Loop: Header=BB141_2 Depth=1
	s_or_b64 exec, exec, s[16:17]
	v_sub_u32_e32 v2, v43, v1
	v_lshl_add_u32 v66, v1, 3, v57
	v_lshlrev_b32_e32 v68, 3, v2
	ds_read_b64 v[66:67], v66
	ds_read_b64 v[68:69], v68
	v_add_u32_e32 v1, v1, v12
	v_cmp_le_i32_e64 s[18:19], v25, v1
	v_cmp_ge_i32_e64 s[14:15], v25, v2
	s_waitcnt lgkmcnt(0)
	v_cmp_lt_i64_e64 s[16:17], v[68:69], v[66:67]
	s_barrier
	s_or_b64 s[16:17], s[18:19], s[16:17]
	s_and_b64 s[14:15], s[14:15], s[16:17]
	v_cndmask_b32_e64 v1, v1, v2, s[14:15]
	v_lshlrev_b32_e32 v1, 3, v1
	ds_write_b64 v5, v[3:4]
	s_waitcnt lgkmcnt(0)
	s_barrier
	ds_read_b64 v[1:2], v1
	v_cndmask_b32_e64 v67, v67, v69, s[14:15]
	v_cndmask_b32_e64 v66, v66, v68, s[14:15]
	v_mov_b32_e32 v3, v34
	s_waitcnt lgkmcnt(0)
	s_barrier
	ds_write_b64 v5, v[66:67]
	s_waitcnt lgkmcnt(0)
	s_barrier
	s_and_saveexec_b64 s[16:17], s[0:1]
	s_cbranch_execz .LBB141_10
; %bb.7:                                ;   in Loop: Header=BB141_2 Depth=1
	s_mov_b64 s[18:19], 0
	v_mov_b32_e32 v3, v34
	v_mov_b32_e32 v4, v28
.LBB141_8:                              ;   Parent Loop BB141_2 Depth=1
                                        ; =>  This Inner Loop Header: Depth=2
	v_sub_u32_e32 v66, v4, v3
	v_lshrrev_b32_e32 v66, 1, v66
	v_add_u32_e32 v70, v66, v3
	v_not_b32_e32 v67, v70
	v_lshl_add_u32 v66, v70, 3, v58
	v_lshl_add_u32 v68, v67, 3, v46
	ds_read_b64 v[66:67], v66
	ds_read_b64 v[68:69], v68
	v_add_u32_e32 v71, 1, v70
	s_waitcnt lgkmcnt(0)
	v_cmp_lt_i64_e64 s[14:15], v[68:69], v[66:67]
	v_cndmask_b32_e64 v4, v4, v70, s[14:15]
	v_cndmask_b32_e64 v3, v71, v3, s[14:15]
	v_cmp_ge_i32_e64 s[14:15], v3, v4
	s_or_b64 s[18:19], s[14:15], s[18:19]
	s_andn2_b64 exec, exec, s[18:19]
	s_cbranch_execnz .LBB141_8
; %bb.9:                                ;   in Loop: Header=BB141_2 Depth=1
	s_or_b64 exec, exec, s[18:19]
.LBB141_10:                             ;   in Loop: Header=BB141_2 Depth=1
	s_or_b64 exec, exec, s[16:17]
	v_sub_u32_e32 v70, v45, v3
	v_lshl_add_u32 v4, v3, 3, v58
	v_lshlrev_b32_e32 v68, 3, v70
	ds_read_b64 v[66:67], v4
	ds_read_b64 v[68:69], v68
	v_add_u32_e32 v71, v3, v6
	v_cmp_le_i32_e64 s[18:19], v13, v71
	v_cmp_gt_i32_e64 s[14:15], v14, v70
	s_waitcnt lgkmcnt(0)
	v_cmp_lt_i64_e64 s[16:17], v[68:69], v[66:67]
	s_barrier
	s_or_b64 s[16:17], s[18:19], s[16:17]
	s_and_b64 s[14:15], s[14:15], s[16:17]
	v_cndmask_b32_e64 v3, v66, v68, s[14:15]
	v_cndmask_b32_e64 v66, v71, v70, s[14:15]
	ds_write_b64 v5, v[1:2]
	v_lshlrev_b32_e32 v1, 3, v66
	s_waitcnt lgkmcnt(0)
	s_barrier
	ds_read_b64 v[1:2], v1
	v_cndmask_b32_e64 v4, v67, v69, s[14:15]
	s_waitcnt lgkmcnt(0)
	s_barrier
	ds_write_b64 v5, v[3:4]
	v_mov_b32_e32 v3, v35
	s_waitcnt lgkmcnt(0)
	s_barrier
	s_and_saveexec_b64 s[16:17], s[2:3]
	s_cbranch_execz .LBB141_14
; %bb.11:                               ;   in Loop: Header=BB141_2 Depth=1
	s_mov_b64 s[18:19], 0
	v_mov_b32_e32 v3, v35
	v_mov_b32_e32 v4, v29
.LBB141_12:                             ;   Parent Loop BB141_2 Depth=1
                                        ; =>  This Inner Loop Header: Depth=2
	v_sub_u32_e32 v66, v4, v3
	v_lshrrev_b32_e32 v66, 1, v66
	v_add_u32_e32 v70, v66, v3
	v_not_b32_e32 v67, v70
	v_lshl_add_u32 v66, v70, 3, v59
	v_lshl_add_u32 v68, v67, 3, v48
	ds_read_b64 v[66:67], v66
	ds_read_b64 v[68:69], v68
	v_add_u32_e32 v71, 1, v70
	s_waitcnt lgkmcnt(0)
	v_cmp_lt_i64_e64 s[14:15], v[68:69], v[66:67]
	v_cndmask_b32_e64 v4, v4, v70, s[14:15]
	v_cndmask_b32_e64 v3, v71, v3, s[14:15]
	v_cmp_ge_i32_e64 s[14:15], v3, v4
	s_or_b64 s[18:19], s[14:15], s[18:19]
	s_andn2_b64 exec, exec, s[18:19]
	s_cbranch_execnz .LBB141_12
; %bb.13:                               ;   in Loop: Header=BB141_2 Depth=1
	s_or_b64 exec, exec, s[18:19]
.LBB141_14:                             ;   in Loop: Header=BB141_2 Depth=1
	s_or_b64 exec, exec, s[16:17]
	v_sub_u32_e32 v70, v47, v3
	v_lshl_add_u32 v4, v3, 3, v59
	v_lshlrev_b32_e32 v68, 3, v70
	ds_read_b64 v[66:67], v4
	ds_read_b64 v[68:69], v68
	v_add_u32_e32 v71, v3, v7
	v_cmp_le_i32_e64 s[18:19], v15, v71
	v_cmp_gt_i32_e64 s[14:15], v16, v70
	s_waitcnt lgkmcnt(0)
	v_cmp_lt_i64_e64 s[16:17], v[68:69], v[66:67]
	s_barrier
	s_or_b64 s[16:17], s[18:19], s[16:17]
	s_and_b64 s[14:15], s[14:15], s[16:17]
	v_cndmask_b32_e64 v3, v66, v68, s[14:15]
	v_cndmask_b32_e64 v66, v71, v70, s[14:15]
	ds_write_b64 v5, v[1:2]
	v_lshlrev_b32_e32 v1, 3, v66
	s_waitcnt lgkmcnt(0)
	s_barrier
	ds_read_b64 v[1:2], v1
	v_cndmask_b32_e64 v4, v67, v69, s[14:15]
	s_waitcnt lgkmcnt(0)
	s_barrier
	ds_write_b64 v5, v[3:4]
	v_mov_b32_e32 v3, v36
	s_waitcnt lgkmcnt(0)
	s_barrier
	s_and_saveexec_b64 s[16:17], s[4:5]
	s_cbranch_execz .LBB141_18
; %bb.15:                               ;   in Loop: Header=BB141_2 Depth=1
	s_mov_b64 s[18:19], 0
	v_mov_b32_e32 v3, v36
	v_mov_b32_e32 v4, v30
.LBB141_16:                             ;   Parent Loop BB141_2 Depth=1
                                        ; =>  This Inner Loop Header: Depth=2
	v_sub_u32_e32 v66, v4, v3
	v_lshrrev_b32_e32 v66, 1, v66
	v_add_u32_e32 v70, v66, v3
	v_not_b32_e32 v67, v70
	v_lshl_add_u32 v66, v70, 3, v60
	v_lshl_add_u32 v68, v67, 3, v50
	ds_read_b64 v[66:67], v66
	ds_read_b64 v[68:69], v68
	v_add_u32_e32 v71, 1, v70
	s_waitcnt lgkmcnt(0)
	v_cmp_lt_i64_e64 s[14:15], v[68:69], v[66:67]
	v_cndmask_b32_e64 v4, v4, v70, s[14:15]
	v_cndmask_b32_e64 v3, v71, v3, s[14:15]
	v_cmp_ge_i32_e64 s[14:15], v3, v4
	s_or_b64 s[18:19], s[14:15], s[18:19]
	s_andn2_b64 exec, exec, s[18:19]
	s_cbranch_execnz .LBB141_16
; %bb.17:                               ;   in Loop: Header=BB141_2 Depth=1
	s_or_b64 exec, exec, s[18:19]
.LBB141_18:                             ;   in Loop: Header=BB141_2 Depth=1
	;; [unrolled: 56-line block ×5, first 2 shown]
	s_or_b64 exec, exec, s[16:17]
	v_sub_u32_e32 v4, v55, v3
	v_lshl_add_u32 v66, v3, 3, v63
	v_lshlrev_b32_e32 v68, 3, v4
	ds_read_b64 v[66:67], v66
	ds_read_b64 v[68:69], v68
	v_add_u32_e32 v3, v3, v11
	v_cmp_le_i32_e64 s[18:19], v23, v3
	v_cmp_gt_i32_e64 s[14:15], v24, v4
	s_waitcnt lgkmcnt(0)
	v_cmp_lt_i64_e64 s[16:17], v[68:69], v[66:67]
	s_barrier
	s_or_b64 s[16:17], s[18:19], s[16:17]
	s_and_b64 s[14:15], s[14:15], s[16:17]
	v_cndmask_b32_e64 v3, v3, v4, s[14:15]
	ds_write_b64 v5, v[1:2]
	v_lshlrev_b32_e32 v1, 3, v3
	s_waitcnt lgkmcnt(0)
	s_barrier
	ds_read_b64 v[3:4], v1
	v_cndmask_b32_e64 v67, v67, v69, s[14:15]
	v_cndmask_b32_e64 v66, v66, v68, s[14:15]
	v_mov_b32_e32 v1, v41
	s_waitcnt lgkmcnt(0)
	s_barrier
	ds_write_b64 v5, v[66:67]
	s_waitcnt lgkmcnt(0)
	s_barrier
	s_and_saveexec_b64 s[16:17], s[12:13]
	s_cbranch_execz .LBB141_1
; %bb.31:                               ;   in Loop: Header=BB141_2 Depth=1
	s_mov_b64 s[18:19], 0
	v_mov_b32_e32 v1, v41
	v_mov_b32_e32 v2, v42
.LBB141_32:                             ;   Parent Loop BB141_2 Depth=1
                                        ; =>  This Inner Loop Header: Depth=2
	v_sub_u32_e32 v66, v2, v1
	v_lshrrev_b32_e32 v66, 1, v66
	v_add_u32_e32 v70, v66, v1
	v_not_b32_e32 v67, v70
	v_lshlrev_b32_e32 v66, 3, v70
	v_lshl_add_u32 v68, v67, 3, v65
	ds_read_b64 v[66:67], v66
	ds_read_b64 v[68:69], v68
	v_add_u32_e32 v71, 1, v70
	s_waitcnt lgkmcnt(0)
	v_cmp_lt_i64_e64 s[14:15], v[68:69], v[66:67]
	v_cndmask_b32_e64 v2, v2, v70, s[14:15]
	v_cndmask_b32_e64 v1, v71, v1, s[14:15]
	v_cmp_ge_i32_e64 s[14:15], v1, v2
	s_or_b64 s[18:19], s[14:15], s[18:19]
	s_andn2_b64 exec, exec, s[18:19]
	s_cbranch_execnz .LBB141_32
; %bb.33:                               ;   in Loop: Header=BB141_2 Depth=1
	s_or_b64 exec, exec, s[18:19]
	s_branch .LBB141_1
.LBB141_34:
	s_waitcnt lgkmcnt(0)
	v_add_co_u32_e32 v1, vcc, v1, v3
	s_add_u32 s0, s22, s24
	v_addc_co_u32_e32 v2, vcc, v2, v4, vcc
	s_addc_u32 s1, s23, s25
	v_lshlrev_b32_e32 v0, 3, v0
	global_store_dwordx2 v0, v[1:2], s[0:1]
	s_endpgm
	.section	.rodata,"a",@progbits
	.p2align	6, 0x0
	.amdhsa_kernel _Z17sort_pairs_kernelIxLj256ELj1EN10test_utils4lessELj10EEvPKT_PS2_T2_
		.amdhsa_group_segment_fixed_size 2056
		.amdhsa_private_segment_fixed_size 0
		.amdhsa_kernarg_size 20
		.amdhsa_user_sgpr_count 6
		.amdhsa_user_sgpr_private_segment_buffer 1
		.amdhsa_user_sgpr_dispatch_ptr 0
		.amdhsa_user_sgpr_queue_ptr 0
		.amdhsa_user_sgpr_kernarg_segment_ptr 1
		.amdhsa_user_sgpr_dispatch_id 0
		.amdhsa_user_sgpr_flat_scratch_init 0
		.amdhsa_user_sgpr_private_segment_size 0
		.amdhsa_uses_dynamic_stack 0
		.amdhsa_system_sgpr_private_segment_wavefront_offset 0
		.amdhsa_system_sgpr_workgroup_id_x 1
		.amdhsa_system_sgpr_workgroup_id_y 0
		.amdhsa_system_sgpr_workgroup_id_z 0
		.amdhsa_system_sgpr_workgroup_info 0
		.amdhsa_system_vgpr_workitem_id 0
		.amdhsa_next_free_vgpr 72
		.amdhsa_next_free_sgpr 28
		.amdhsa_reserve_vcc 1
		.amdhsa_reserve_flat_scratch 0
		.amdhsa_float_round_mode_32 0
		.amdhsa_float_round_mode_16_64 0
		.amdhsa_float_denorm_mode_32 3
		.amdhsa_float_denorm_mode_16_64 3
		.amdhsa_dx10_clamp 1
		.amdhsa_ieee_mode 1
		.amdhsa_fp16_overflow 0
		.amdhsa_exception_fp_ieee_invalid_op 0
		.amdhsa_exception_fp_denorm_src 0
		.amdhsa_exception_fp_ieee_div_zero 0
		.amdhsa_exception_fp_ieee_overflow 0
		.amdhsa_exception_fp_ieee_underflow 0
		.amdhsa_exception_fp_ieee_inexact 0
		.amdhsa_exception_int_div_zero 0
	.end_amdhsa_kernel
	.section	.text._Z17sort_pairs_kernelIxLj256ELj1EN10test_utils4lessELj10EEvPKT_PS2_T2_,"axG",@progbits,_Z17sort_pairs_kernelIxLj256ELj1EN10test_utils4lessELj10EEvPKT_PS2_T2_,comdat
.Lfunc_end141:
	.size	_Z17sort_pairs_kernelIxLj256ELj1EN10test_utils4lessELj10EEvPKT_PS2_T2_, .Lfunc_end141-_Z17sort_pairs_kernelIxLj256ELj1EN10test_utils4lessELj10EEvPKT_PS2_T2_
                                        ; -- End function
	.set _Z17sort_pairs_kernelIxLj256ELj1EN10test_utils4lessELj10EEvPKT_PS2_T2_.num_vgpr, 72
	.set _Z17sort_pairs_kernelIxLj256ELj1EN10test_utils4lessELj10EEvPKT_PS2_T2_.num_agpr, 0
	.set _Z17sort_pairs_kernelIxLj256ELj1EN10test_utils4lessELj10EEvPKT_PS2_T2_.numbered_sgpr, 28
	.set _Z17sort_pairs_kernelIxLj256ELj1EN10test_utils4lessELj10EEvPKT_PS2_T2_.num_named_barrier, 0
	.set _Z17sort_pairs_kernelIxLj256ELj1EN10test_utils4lessELj10EEvPKT_PS2_T2_.private_seg_size, 0
	.set _Z17sort_pairs_kernelIxLj256ELj1EN10test_utils4lessELj10EEvPKT_PS2_T2_.uses_vcc, 1
	.set _Z17sort_pairs_kernelIxLj256ELj1EN10test_utils4lessELj10EEvPKT_PS2_T2_.uses_flat_scratch, 0
	.set _Z17sort_pairs_kernelIxLj256ELj1EN10test_utils4lessELj10EEvPKT_PS2_T2_.has_dyn_sized_stack, 0
	.set _Z17sort_pairs_kernelIxLj256ELj1EN10test_utils4lessELj10EEvPKT_PS2_T2_.has_recursion, 0
	.set _Z17sort_pairs_kernelIxLj256ELj1EN10test_utils4lessELj10EEvPKT_PS2_T2_.has_indirect_call, 0
	.section	.AMDGPU.csdata,"",@progbits
; Kernel info:
; codeLenInByte = 2980
; TotalNumSgprs: 32
; NumVgprs: 72
; ScratchSize: 0
; MemoryBound: 0
; FloatMode: 240
; IeeeMode: 1
; LDSByteSize: 2056 bytes/workgroup (compile time only)
; SGPRBlocks: 3
; VGPRBlocks: 17
; NumSGPRsForWavesPerEU: 32
; NumVGPRsForWavesPerEU: 72
; Occupancy: 3
; WaveLimiterHint : 0
; COMPUTE_PGM_RSRC2:SCRATCH_EN: 0
; COMPUTE_PGM_RSRC2:USER_SGPR: 6
; COMPUTE_PGM_RSRC2:TRAP_HANDLER: 0
; COMPUTE_PGM_RSRC2:TGID_X_EN: 1
; COMPUTE_PGM_RSRC2:TGID_Y_EN: 0
; COMPUTE_PGM_RSRC2:TGID_Z_EN: 0
; COMPUTE_PGM_RSRC2:TIDIG_COMP_CNT: 0
	.section	.text._Z16sort_keys_kernelIxLj256ELj2EN10test_utils4lessELj10EEvPKT_PS2_T2_,"axG",@progbits,_Z16sort_keys_kernelIxLj256ELj2EN10test_utils4lessELj10EEvPKT_PS2_T2_,comdat
	.protected	_Z16sort_keys_kernelIxLj256ELj2EN10test_utils4lessELj10EEvPKT_PS2_T2_ ; -- Begin function _Z16sort_keys_kernelIxLj256ELj2EN10test_utils4lessELj10EEvPKT_PS2_T2_
	.globl	_Z16sort_keys_kernelIxLj256ELj2EN10test_utils4lessELj10EEvPKT_PS2_T2_
	.p2align	8
	.type	_Z16sort_keys_kernelIxLj256ELj2EN10test_utils4lessELj10EEvPKT_PS2_T2_,@function
_Z16sort_keys_kernelIxLj256ELj2EN10test_utils4lessELj10EEvPKT_PS2_T2_: ; @_Z16sort_keys_kernelIxLj256ELj2EN10test_utils4lessELj10EEvPKT_PS2_T2_
; %bb.0:
	s_load_dwordx4 s[20:23], s[4:5], 0x0
	s_lshl_b32 s26, s6, 9
	s_mov_b32 s27, 0
	s_lshl_b64 s[24:25], s[26:27], 3
	v_lshlrev_b32_e32 v27, 3, v0
	s_waitcnt lgkmcnt(0)
	s_add_u32 s0, s20, s24
	s_addc_u32 s1, s21, s25
	global_load_dwordx2 v[1:2], v27, s[0:1]
	global_load_dwordx2 v[3:4], v27, s[0:1] offset:2048
	v_lshlrev_b32_e32 v5, 1, v0
	v_and_b32_e32 v9, 0x1fc, v5
	v_or_b32_e32 v10, 2, v9
	v_add_u32_e32 v11, 4, v9
	v_and_b32_e32 v12, 0x1f8, v5
	v_and_b32_e32 v6, 2, v5
	v_sub_u32_e32 v7, v11, v10
	v_or_b32_e32 v13, 4, v12
	v_add_u32_e32 v14, 8, v12
	v_and_b32_e32 v15, 0x1f0, v5
	v_sub_u32_e32 v8, v6, v7
	v_and_b32_e32 v51, 6, v5
	v_sub_u32_e32 v32, v14, v13
	v_or_b32_e32 v16, 8, v15
	v_add_u32_e32 v17, 16, v15
	v_and_b32_e32 v18, 0x1e0, v5
	v_cmp_ge_i32_e32 vcc, v6, v7
	v_sub_u32_e32 v7, v10, v9
	v_mov_b32_e32 v44, 0x100
	v_sub_u32_e32 v33, v51, v32
	v_and_b32_e32 v53, 14, v5
	v_sub_u32_e32 v34, v17, v16
	v_and_b32_e32 v55, 30, v5
	v_or_b32_e32 v19, 16, v18
	v_add_u32_e32 v20, 32, v18
	v_and_b32_e32 v21, 0x1c0, v5
	v_and_b32_e32 v57, 62, v5
	;; [unrolled: 1-line block ×6, first 2 shown]
	v_min_i32_e32 v31, v6, v7
	v_cmp_ge_i32_e64 s[0:1], v51, v32
	v_sub_u32_e32 v7, v13, v12
	v_sub_u32_e64 v45, v5, v44 clamp
	v_min_i32_e32 v46, 0x100, v5
	v_add_u32_e32 v47, 0x100, v5
	v_lshlrev_b32_e32 v5, 3, v6
	v_sub_u32_e32 v35, v53, v34
	v_sub_u32_e32 v36, v20, v19
	v_or_b32_e32 v22, 32, v21
	v_add_u32_e32 v23, 64, v21
	v_cndmask_b32_e64 v32, 0, v33, s[0:1]
	v_min_i32_e32 v33, v51, v7
	v_cmp_ge_i32_e64 s[2:3], v53, v34
	v_sub_u32_e32 v7, v16, v15
	v_lshl_add_u32 v49, v10, 3, v5
	v_lshlrev_b32_e32 v5, 3, v51
	v_sub_u32_e32 v37, v55, v36
	v_sub_u32_e32 v38, v23, v22
	v_or_b32_e32 v25, 64, v24
	v_add_u32_e32 v26, 0x80, v24
	v_cndmask_b32_e64 v34, 0, v35, s[2:3]
	v_min_i32_e32 v35, v53, v7
	v_cmp_ge_i32_e64 s[4:5], v55, v36
	v_sub_u32_e32 v7, v19, v18
	v_add_u32_e32 v50, v13, v51
	v_lshl_add_u32 v51, v13, 3, v5
	v_lshlrev_b32_e32 v5, 3, v53
	v_sub_u32_e32 v39, v57, v38
	v_sub_u32_e32 v40, v26, v25
	v_or_b32_e32 v28, 0x80, v27
	v_add_u32_e32 v29, 0x100, v27
	v_cndmask_b32_e64 v36, 0, v37, s[4:5]
	v_min_i32_e32 v37, v55, v7
	v_cmp_ge_i32_e64 s[6:7], v57, v38
	v_sub_u32_e32 v7, v22, v21
	v_add_u32_e32 v52, v16, v53
	v_lshl_add_u32 v53, v16, 3, v5
	v_lshlrev_b32_e32 v5, 3, v55
	v_sub_u32_e32 v41, v59, v40
	v_sub_u32_e32 v42, v29, v28
	v_cndmask_b32_e64 v38, 0, v39, s[6:7]
	v_min_i32_e32 v39, v57, v7
	v_cmp_ge_i32_e64 s[8:9], v59, v40
	v_sub_u32_e32 v7, v25, v24
	v_add_u32_e32 v54, v19, v55
	v_lshl_add_u32 v55, v19, 3, v5
	v_lshlrev_b32_e32 v5, 3, v57
	v_sub_u32_e32 v43, v61, v42
	v_cndmask_b32_e64 v40, 0, v41, s[8:9]
	v_min_i32_e32 v41, v59, v7
	v_cmp_ge_i32_e64 s[10:11], v61, v42
	v_sub_u32_e32 v7, v28, v27
	v_add_u32_e32 v56, v22, v57
	v_lshl_add_u32 v57, v22, 3, v5
	v_lshlrev_b32_e32 v5, 3, v59
	v_cndmask_b32_e32 v30, 0, v8, vcc
	v_cndmask_b32_e64 v42, 0, v43, s[10:11]
	v_min_i32_e32 v43, v61, v7
	v_add_u32_e32 v58, v25, v59
	v_lshl_add_u32 v59, v25, 3, v5
	v_lshlrev_b32_e32 v5, 3, v61
	v_lshlrev_b32_e32 v62, 4, v0
	v_cmp_lt_i32_e32 vcc, v30, v31
	v_cmp_lt_i32_e64 s[0:1], v32, v33
	v_cmp_lt_i32_e64 s[2:3], v34, v35
	;; [unrolled: 1-line block ×7, first 2 shown]
	v_add_u32_e32 v48, v10, v6
	v_add_u32_e32 v60, v28, v61
	v_lshl_add_u32 v61, v28, 3, v5
	s_movk_i32 s20, 0x200
	v_lshlrev_b32_e32 v63, 3, v9
	v_lshlrev_b32_e32 v64, 3, v12
	;; [unrolled: 1-line block ×7, first 2 shown]
	v_add_u32_e32 v70, 0x800, v62
	s_branch .LBB142_2
.LBB142_1:                              ;   in Loop: Header=BB142_2 Depth=1
	s_or_b64 exec, exec, s[16:17]
	s_waitcnt lgkmcnt(0)
	v_cmp_lt_i64_e64 s[16:17], v[7:8], v[5:6]
	v_cmp_ge_i32_e64 s[18:19], v71, v44
	v_cndmask_b32_e64 v2, v2, v4, s[14:15]
	v_cndmask_b32_e64 v1, v1, v3, s[14:15]
	v_cmp_gt_i32_e64 s[14:15], s20, v72
	s_or_b64 s[16:17], s[18:19], s[16:17]
	s_and_b64 s[14:15], s[14:15], s[16:17]
	s_add_i32 s27, s27, 1
	v_cndmask_b32_e64 v4, v6, v8, s[14:15]
	s_cmp_eq_u32 s27, 10
	v_cndmask_b32_e64 v3, v5, v7, s[14:15]
	s_cbranch_scc1 .LBB142_66
.LBB142_2:                              ; =>This Loop Header: Depth=1
                                        ;     Child Loop BB142_4 Depth 2
                                        ;     Child Loop BB142_12 Depth 2
	;; [unrolled: 1-line block ×8, first 2 shown]
	s_waitcnt vmcnt(0)
	v_cmp_lt_i64_e64 s[14:15], v[3:4], v[1:2]
	v_cndmask_b32_e64 v6, v4, v2, s[14:15]
	v_cndmask_b32_e64 v5, v3, v1, s[14:15]
	;; [unrolled: 1-line block ×4, first 2 shown]
	s_barrier
	ds_write2_b64 v62, v[1:2], v[5:6] offset1:1
	v_mov_b32_e32 v5, v30
	s_waitcnt lgkmcnt(0)
	s_barrier
	s_and_saveexec_b64 s[16:17], vcc
	s_cbranch_execz .LBB142_6
; %bb.3:                                ;   in Loop: Header=BB142_2 Depth=1
	s_mov_b64 s[18:19], 0
	v_mov_b32_e32 v5, v30
	v_mov_b32_e32 v1, v31
.LBB142_4:                              ;   Parent Loop BB142_2 Depth=1
                                        ; =>  This Inner Loop Header: Depth=2
	v_sub_u32_e32 v2, v1, v5
	v_lshrrev_b32_e32 v2, 1, v2
	v_add_u32_e32 v4, v2, v5
	v_not_b32_e32 v3, v4
	v_lshl_add_u32 v2, v4, 3, v63
	v_lshl_add_u32 v6, v3, 3, v49
	ds_read_b64 v[2:3], v2
	ds_read_b64 v[6:7], v6
	v_add_u32_e32 v8, 1, v4
	s_waitcnt lgkmcnt(0)
	v_cmp_lt_i64_e64 s[14:15], v[6:7], v[2:3]
	v_cndmask_b32_e64 v1, v1, v4, s[14:15]
	v_cndmask_b32_e64 v5, v8, v5, s[14:15]
	v_cmp_ge_i32_e64 s[14:15], v5, v1
	s_or_b64 s[18:19], s[14:15], s[18:19]
	s_andn2_b64 exec, exec, s[18:19]
	s_cbranch_execnz .LBB142_4
; %bb.5:                                ;   in Loop: Header=BB142_2 Depth=1
	s_or_b64 exec, exec, s[18:19]
.LBB142_6:                              ;   in Loop: Header=BB142_2 Depth=1
	s_or_b64 exec, exec, s[16:17]
	v_sub_u32_e32 v71, v48, v5
	v_lshl_add_u32 v7, v5, 3, v63
	v_lshlrev_b32_e32 v73, 3, v71
	ds_read_b64 v[1:2], v7
	ds_read_b64 v[3:4], v73
	v_add_u32_e32 v72, v5, v9
	v_cmp_le_i32_e64 s[18:19], v10, v72
	v_cmp_gt_i32_e64 s[14:15], v11, v71
                                        ; implicit-def: $vgpr5_vgpr6
	s_waitcnt lgkmcnt(0)
	v_cmp_lt_i64_e64 s[16:17], v[3:4], v[1:2]
	s_or_b64 s[16:17], s[18:19], s[16:17]
	s_and_b64 s[14:15], s[14:15], s[16:17]
	s_xor_b64 s[16:17], s[14:15], -1
	s_and_saveexec_b64 s[18:19], s[16:17]
	s_xor_b64 s[16:17], exec, s[18:19]
; %bb.7:                                ;   in Loop: Header=BB142_2 Depth=1
	ds_read_b64 v[5:6], v7 offset:8
                                        ; implicit-def: $vgpr73
; %bb.8:                                ;   in Loop: Header=BB142_2 Depth=1
	s_or_saveexec_b64 s[16:17], s[16:17]
	v_mov_b32_e32 v8, v4
	v_mov_b32_e32 v7, v3
	s_xor_b64 exec, exec, s[16:17]
	s_cbranch_execz .LBB142_10
; %bb.9:                                ;   in Loop: Header=BB142_2 Depth=1
	ds_read_b64 v[7:8], v73 offset:8
	s_waitcnt lgkmcnt(1)
	v_mov_b32_e32 v6, v2
	v_mov_b32_e32 v5, v1
.LBB142_10:                             ;   in Loop: Header=BB142_2 Depth=1
	s_or_b64 exec, exec, s[16:17]
	v_cndmask_b32_e64 v2, v2, v4, s[14:15]
	v_add_u32_e32 v4, 1, v72
	v_cndmask_b32_e64 v1, v1, v3, s[14:15]
	v_add_u32_e32 v3, 1, v71
	v_cndmask_b32_e64 v4, v4, v72, s[14:15]
	s_waitcnt lgkmcnt(0)
	v_cmp_lt_i64_e64 s[16:17], v[7:8], v[5:6]
	v_cndmask_b32_e64 v3, v71, v3, s[14:15]
	v_cmp_ge_i32_e64 s[18:19], v4, v10
	v_cmp_lt_i32_e64 s[14:15], v3, v11
	s_or_b64 s[16:17], s[18:19], s[16:17]
	s_and_b64 s[14:15], s[14:15], s[16:17]
	v_cndmask_b32_e64 v4, v6, v8, s[14:15]
	v_cndmask_b32_e64 v3, v5, v7, s[14:15]
	v_mov_b32_e32 v5, v32
	s_barrier
	ds_write2_b64 v62, v[1:2], v[3:4] offset1:1
	s_waitcnt lgkmcnt(0)
	s_barrier
	s_and_saveexec_b64 s[16:17], s[0:1]
	s_cbranch_execz .LBB142_14
; %bb.11:                               ;   in Loop: Header=BB142_2 Depth=1
	s_mov_b64 s[18:19], 0
	v_mov_b32_e32 v5, v32
	v_mov_b32_e32 v1, v33
.LBB142_12:                             ;   Parent Loop BB142_2 Depth=1
                                        ; =>  This Inner Loop Header: Depth=2
	v_sub_u32_e32 v2, v1, v5
	v_lshrrev_b32_e32 v2, 1, v2
	v_add_u32_e32 v4, v2, v5
	v_not_b32_e32 v3, v4
	v_lshl_add_u32 v2, v4, 3, v64
	v_lshl_add_u32 v6, v3, 3, v51
	ds_read_b64 v[2:3], v2
	ds_read_b64 v[6:7], v6
	v_add_u32_e32 v8, 1, v4
	s_waitcnt lgkmcnt(0)
	v_cmp_lt_i64_e64 s[14:15], v[6:7], v[2:3]
	v_cndmask_b32_e64 v1, v1, v4, s[14:15]
	v_cndmask_b32_e64 v5, v8, v5, s[14:15]
	v_cmp_ge_i32_e64 s[14:15], v5, v1
	s_or_b64 s[18:19], s[14:15], s[18:19]
	s_andn2_b64 exec, exec, s[18:19]
	s_cbranch_execnz .LBB142_12
; %bb.13:                               ;   in Loop: Header=BB142_2 Depth=1
	s_or_b64 exec, exec, s[18:19]
.LBB142_14:                             ;   in Loop: Header=BB142_2 Depth=1
	s_or_b64 exec, exec, s[16:17]
	v_sub_u32_e32 v71, v50, v5
	v_lshl_add_u32 v7, v5, 3, v64
	v_lshlrev_b32_e32 v73, 3, v71
	ds_read_b64 v[1:2], v7
	ds_read_b64 v[3:4], v73
	v_add_u32_e32 v72, v5, v12
	v_cmp_le_i32_e64 s[18:19], v13, v72
	v_cmp_gt_i32_e64 s[14:15], v14, v71
                                        ; implicit-def: $vgpr5_vgpr6
	s_waitcnt lgkmcnt(0)
	v_cmp_lt_i64_e64 s[16:17], v[3:4], v[1:2]
	s_or_b64 s[16:17], s[18:19], s[16:17]
	s_and_b64 s[14:15], s[14:15], s[16:17]
	s_xor_b64 s[16:17], s[14:15], -1
	s_and_saveexec_b64 s[18:19], s[16:17]
	s_xor_b64 s[16:17], exec, s[18:19]
; %bb.15:                               ;   in Loop: Header=BB142_2 Depth=1
	ds_read_b64 v[5:6], v7 offset:8
                                        ; implicit-def: $vgpr73
; %bb.16:                               ;   in Loop: Header=BB142_2 Depth=1
	s_or_saveexec_b64 s[16:17], s[16:17]
	v_mov_b32_e32 v8, v4
	v_mov_b32_e32 v7, v3
	s_xor_b64 exec, exec, s[16:17]
	s_cbranch_execz .LBB142_18
; %bb.17:                               ;   in Loop: Header=BB142_2 Depth=1
	ds_read_b64 v[7:8], v73 offset:8
	s_waitcnt lgkmcnt(1)
	v_mov_b32_e32 v6, v2
	v_mov_b32_e32 v5, v1
.LBB142_18:                             ;   in Loop: Header=BB142_2 Depth=1
	s_or_b64 exec, exec, s[16:17]
	v_cndmask_b32_e64 v2, v2, v4, s[14:15]
	v_add_u32_e32 v4, 1, v72
	v_cndmask_b32_e64 v1, v1, v3, s[14:15]
	v_add_u32_e32 v3, 1, v71
	v_cndmask_b32_e64 v4, v4, v72, s[14:15]
	s_waitcnt lgkmcnt(0)
	v_cmp_lt_i64_e64 s[16:17], v[7:8], v[5:6]
	v_cndmask_b32_e64 v3, v71, v3, s[14:15]
	v_cmp_ge_i32_e64 s[18:19], v4, v13
	v_cmp_lt_i32_e64 s[14:15], v3, v14
	s_or_b64 s[16:17], s[18:19], s[16:17]
	s_and_b64 s[14:15], s[14:15], s[16:17]
	v_cndmask_b32_e64 v4, v6, v8, s[14:15]
	v_cndmask_b32_e64 v3, v5, v7, s[14:15]
	v_mov_b32_e32 v5, v34
	s_barrier
	ds_write2_b64 v62, v[1:2], v[3:4] offset1:1
	s_waitcnt lgkmcnt(0)
	s_barrier
	s_and_saveexec_b64 s[16:17], s[2:3]
	s_cbranch_execz .LBB142_22
; %bb.19:                               ;   in Loop: Header=BB142_2 Depth=1
	s_mov_b64 s[18:19], 0
	v_mov_b32_e32 v5, v34
	v_mov_b32_e32 v1, v35
.LBB142_20:                             ;   Parent Loop BB142_2 Depth=1
                                        ; =>  This Inner Loop Header: Depth=2
	v_sub_u32_e32 v2, v1, v5
	v_lshrrev_b32_e32 v2, 1, v2
	v_add_u32_e32 v4, v2, v5
	v_not_b32_e32 v3, v4
	v_lshl_add_u32 v2, v4, 3, v65
	v_lshl_add_u32 v6, v3, 3, v53
	ds_read_b64 v[2:3], v2
	ds_read_b64 v[6:7], v6
	v_add_u32_e32 v8, 1, v4
	s_waitcnt lgkmcnt(0)
	v_cmp_lt_i64_e64 s[14:15], v[6:7], v[2:3]
	v_cndmask_b32_e64 v1, v1, v4, s[14:15]
	v_cndmask_b32_e64 v5, v8, v5, s[14:15]
	v_cmp_ge_i32_e64 s[14:15], v5, v1
	s_or_b64 s[18:19], s[14:15], s[18:19]
	s_andn2_b64 exec, exec, s[18:19]
	s_cbranch_execnz .LBB142_20
; %bb.21:                               ;   in Loop: Header=BB142_2 Depth=1
	s_or_b64 exec, exec, s[18:19]
.LBB142_22:                             ;   in Loop: Header=BB142_2 Depth=1
	s_or_b64 exec, exec, s[16:17]
	v_sub_u32_e32 v71, v52, v5
	v_lshl_add_u32 v7, v5, 3, v65
	v_lshlrev_b32_e32 v73, 3, v71
	ds_read_b64 v[1:2], v7
	ds_read_b64 v[3:4], v73
	v_add_u32_e32 v72, v5, v15
	v_cmp_le_i32_e64 s[18:19], v16, v72
	v_cmp_gt_i32_e64 s[14:15], v17, v71
                                        ; implicit-def: $vgpr5_vgpr6
	s_waitcnt lgkmcnt(0)
	v_cmp_lt_i64_e64 s[16:17], v[3:4], v[1:2]
	s_or_b64 s[16:17], s[18:19], s[16:17]
	s_and_b64 s[14:15], s[14:15], s[16:17]
	s_xor_b64 s[16:17], s[14:15], -1
	s_and_saveexec_b64 s[18:19], s[16:17]
	s_xor_b64 s[16:17], exec, s[18:19]
; %bb.23:                               ;   in Loop: Header=BB142_2 Depth=1
	ds_read_b64 v[5:6], v7 offset:8
                                        ; implicit-def: $vgpr73
; %bb.24:                               ;   in Loop: Header=BB142_2 Depth=1
	s_or_saveexec_b64 s[16:17], s[16:17]
	v_mov_b32_e32 v8, v4
	v_mov_b32_e32 v7, v3
	s_xor_b64 exec, exec, s[16:17]
	s_cbranch_execz .LBB142_26
; %bb.25:                               ;   in Loop: Header=BB142_2 Depth=1
	ds_read_b64 v[7:8], v73 offset:8
	s_waitcnt lgkmcnt(1)
	v_mov_b32_e32 v6, v2
	v_mov_b32_e32 v5, v1
.LBB142_26:                             ;   in Loop: Header=BB142_2 Depth=1
	s_or_b64 exec, exec, s[16:17]
	v_cndmask_b32_e64 v2, v2, v4, s[14:15]
	v_add_u32_e32 v4, 1, v72
	v_cndmask_b32_e64 v1, v1, v3, s[14:15]
	v_add_u32_e32 v3, 1, v71
	v_cndmask_b32_e64 v4, v4, v72, s[14:15]
	s_waitcnt lgkmcnt(0)
	v_cmp_lt_i64_e64 s[16:17], v[7:8], v[5:6]
	v_cndmask_b32_e64 v3, v71, v3, s[14:15]
	v_cmp_ge_i32_e64 s[18:19], v4, v16
	v_cmp_lt_i32_e64 s[14:15], v3, v17
	s_or_b64 s[16:17], s[18:19], s[16:17]
	s_and_b64 s[14:15], s[14:15], s[16:17]
	v_cndmask_b32_e64 v4, v6, v8, s[14:15]
	v_cndmask_b32_e64 v3, v5, v7, s[14:15]
	v_mov_b32_e32 v5, v36
	s_barrier
	ds_write2_b64 v62, v[1:2], v[3:4] offset1:1
	s_waitcnt lgkmcnt(0)
	s_barrier
	s_and_saveexec_b64 s[16:17], s[4:5]
	s_cbranch_execz .LBB142_30
; %bb.27:                               ;   in Loop: Header=BB142_2 Depth=1
	s_mov_b64 s[18:19], 0
	v_mov_b32_e32 v5, v36
	v_mov_b32_e32 v1, v37
.LBB142_28:                             ;   Parent Loop BB142_2 Depth=1
                                        ; =>  This Inner Loop Header: Depth=2
	v_sub_u32_e32 v2, v1, v5
	v_lshrrev_b32_e32 v2, 1, v2
	v_add_u32_e32 v4, v2, v5
	v_not_b32_e32 v3, v4
	v_lshl_add_u32 v2, v4, 3, v66
	v_lshl_add_u32 v6, v3, 3, v55
	ds_read_b64 v[2:3], v2
	ds_read_b64 v[6:7], v6
	v_add_u32_e32 v8, 1, v4
	s_waitcnt lgkmcnt(0)
	v_cmp_lt_i64_e64 s[14:15], v[6:7], v[2:3]
	v_cndmask_b32_e64 v1, v1, v4, s[14:15]
	v_cndmask_b32_e64 v5, v8, v5, s[14:15]
	v_cmp_ge_i32_e64 s[14:15], v5, v1
	s_or_b64 s[18:19], s[14:15], s[18:19]
	s_andn2_b64 exec, exec, s[18:19]
	s_cbranch_execnz .LBB142_28
; %bb.29:                               ;   in Loop: Header=BB142_2 Depth=1
	s_or_b64 exec, exec, s[18:19]
.LBB142_30:                             ;   in Loop: Header=BB142_2 Depth=1
	s_or_b64 exec, exec, s[16:17]
	v_sub_u32_e32 v71, v54, v5
	v_lshl_add_u32 v7, v5, 3, v66
	v_lshlrev_b32_e32 v73, 3, v71
	ds_read_b64 v[1:2], v7
	ds_read_b64 v[3:4], v73
	v_add_u32_e32 v72, v5, v18
	v_cmp_le_i32_e64 s[18:19], v19, v72
	v_cmp_gt_i32_e64 s[14:15], v20, v71
                                        ; implicit-def: $vgpr5_vgpr6
	s_waitcnt lgkmcnt(0)
	v_cmp_lt_i64_e64 s[16:17], v[3:4], v[1:2]
	s_or_b64 s[16:17], s[18:19], s[16:17]
	s_and_b64 s[14:15], s[14:15], s[16:17]
	s_xor_b64 s[16:17], s[14:15], -1
	s_and_saveexec_b64 s[18:19], s[16:17]
	s_xor_b64 s[16:17], exec, s[18:19]
; %bb.31:                               ;   in Loop: Header=BB142_2 Depth=1
	ds_read_b64 v[5:6], v7 offset:8
                                        ; implicit-def: $vgpr73
; %bb.32:                               ;   in Loop: Header=BB142_2 Depth=1
	s_or_saveexec_b64 s[16:17], s[16:17]
	v_mov_b32_e32 v8, v4
	v_mov_b32_e32 v7, v3
	s_xor_b64 exec, exec, s[16:17]
	s_cbranch_execz .LBB142_34
; %bb.33:                               ;   in Loop: Header=BB142_2 Depth=1
	ds_read_b64 v[7:8], v73 offset:8
	s_waitcnt lgkmcnt(1)
	v_mov_b32_e32 v6, v2
	v_mov_b32_e32 v5, v1
.LBB142_34:                             ;   in Loop: Header=BB142_2 Depth=1
	s_or_b64 exec, exec, s[16:17]
	v_cndmask_b32_e64 v2, v2, v4, s[14:15]
	v_add_u32_e32 v4, 1, v72
	v_cndmask_b32_e64 v1, v1, v3, s[14:15]
	v_add_u32_e32 v3, 1, v71
	v_cndmask_b32_e64 v4, v4, v72, s[14:15]
	s_waitcnt lgkmcnt(0)
	v_cmp_lt_i64_e64 s[16:17], v[7:8], v[5:6]
	v_cndmask_b32_e64 v3, v71, v3, s[14:15]
	v_cmp_ge_i32_e64 s[18:19], v4, v19
	v_cmp_lt_i32_e64 s[14:15], v3, v20
	s_or_b64 s[16:17], s[18:19], s[16:17]
	s_and_b64 s[14:15], s[14:15], s[16:17]
	v_cndmask_b32_e64 v4, v6, v8, s[14:15]
	v_cndmask_b32_e64 v3, v5, v7, s[14:15]
	v_mov_b32_e32 v5, v38
	s_barrier
	ds_write2_b64 v62, v[1:2], v[3:4] offset1:1
	s_waitcnt lgkmcnt(0)
	s_barrier
	s_and_saveexec_b64 s[16:17], s[6:7]
	s_cbranch_execz .LBB142_38
; %bb.35:                               ;   in Loop: Header=BB142_2 Depth=1
	s_mov_b64 s[18:19], 0
	v_mov_b32_e32 v5, v38
	v_mov_b32_e32 v1, v39
.LBB142_36:                             ;   Parent Loop BB142_2 Depth=1
                                        ; =>  This Inner Loop Header: Depth=2
	v_sub_u32_e32 v2, v1, v5
	v_lshrrev_b32_e32 v2, 1, v2
	v_add_u32_e32 v4, v2, v5
	v_not_b32_e32 v3, v4
	v_lshl_add_u32 v2, v4, 3, v67
	v_lshl_add_u32 v6, v3, 3, v57
	ds_read_b64 v[2:3], v2
	ds_read_b64 v[6:7], v6
	v_add_u32_e32 v8, 1, v4
	s_waitcnt lgkmcnt(0)
	v_cmp_lt_i64_e64 s[14:15], v[6:7], v[2:3]
	v_cndmask_b32_e64 v1, v1, v4, s[14:15]
	v_cndmask_b32_e64 v5, v8, v5, s[14:15]
	v_cmp_ge_i32_e64 s[14:15], v5, v1
	s_or_b64 s[18:19], s[14:15], s[18:19]
	s_andn2_b64 exec, exec, s[18:19]
	s_cbranch_execnz .LBB142_36
; %bb.37:                               ;   in Loop: Header=BB142_2 Depth=1
	s_or_b64 exec, exec, s[18:19]
.LBB142_38:                             ;   in Loop: Header=BB142_2 Depth=1
	s_or_b64 exec, exec, s[16:17]
	v_sub_u32_e32 v71, v56, v5
	v_lshl_add_u32 v7, v5, 3, v67
	v_lshlrev_b32_e32 v73, 3, v71
	ds_read_b64 v[1:2], v7
	ds_read_b64 v[3:4], v73
	v_add_u32_e32 v72, v5, v21
	v_cmp_le_i32_e64 s[18:19], v22, v72
	v_cmp_gt_i32_e64 s[14:15], v23, v71
                                        ; implicit-def: $vgpr5_vgpr6
	s_waitcnt lgkmcnt(0)
	v_cmp_lt_i64_e64 s[16:17], v[3:4], v[1:2]
	s_or_b64 s[16:17], s[18:19], s[16:17]
	s_and_b64 s[14:15], s[14:15], s[16:17]
	s_xor_b64 s[16:17], s[14:15], -1
	s_and_saveexec_b64 s[18:19], s[16:17]
	s_xor_b64 s[16:17], exec, s[18:19]
; %bb.39:                               ;   in Loop: Header=BB142_2 Depth=1
	ds_read_b64 v[5:6], v7 offset:8
                                        ; implicit-def: $vgpr73
; %bb.40:                               ;   in Loop: Header=BB142_2 Depth=1
	s_or_saveexec_b64 s[16:17], s[16:17]
	v_mov_b32_e32 v8, v4
	v_mov_b32_e32 v7, v3
	s_xor_b64 exec, exec, s[16:17]
	s_cbranch_execz .LBB142_42
; %bb.41:                               ;   in Loop: Header=BB142_2 Depth=1
	ds_read_b64 v[7:8], v73 offset:8
	s_waitcnt lgkmcnt(1)
	v_mov_b32_e32 v6, v2
	v_mov_b32_e32 v5, v1
.LBB142_42:                             ;   in Loop: Header=BB142_2 Depth=1
	s_or_b64 exec, exec, s[16:17]
	v_cndmask_b32_e64 v2, v2, v4, s[14:15]
	v_add_u32_e32 v4, 1, v72
	v_cndmask_b32_e64 v1, v1, v3, s[14:15]
	v_add_u32_e32 v3, 1, v71
	v_cndmask_b32_e64 v4, v4, v72, s[14:15]
	s_waitcnt lgkmcnt(0)
	v_cmp_lt_i64_e64 s[16:17], v[7:8], v[5:6]
	v_cndmask_b32_e64 v3, v71, v3, s[14:15]
	v_cmp_ge_i32_e64 s[18:19], v4, v22
	v_cmp_lt_i32_e64 s[14:15], v3, v23
	s_or_b64 s[16:17], s[18:19], s[16:17]
	s_and_b64 s[14:15], s[14:15], s[16:17]
	v_cndmask_b32_e64 v4, v6, v8, s[14:15]
	v_cndmask_b32_e64 v3, v5, v7, s[14:15]
	v_mov_b32_e32 v5, v40
	s_barrier
	ds_write2_b64 v62, v[1:2], v[3:4] offset1:1
	s_waitcnt lgkmcnt(0)
	s_barrier
	s_and_saveexec_b64 s[16:17], s[8:9]
	s_cbranch_execz .LBB142_46
; %bb.43:                               ;   in Loop: Header=BB142_2 Depth=1
	s_mov_b64 s[18:19], 0
	v_mov_b32_e32 v5, v40
	v_mov_b32_e32 v1, v41
.LBB142_44:                             ;   Parent Loop BB142_2 Depth=1
                                        ; =>  This Inner Loop Header: Depth=2
	v_sub_u32_e32 v2, v1, v5
	v_lshrrev_b32_e32 v2, 1, v2
	v_add_u32_e32 v4, v2, v5
	v_not_b32_e32 v3, v4
	v_lshl_add_u32 v2, v4, 3, v68
	v_lshl_add_u32 v6, v3, 3, v59
	ds_read_b64 v[2:3], v2
	ds_read_b64 v[6:7], v6
	v_add_u32_e32 v8, 1, v4
	s_waitcnt lgkmcnt(0)
	v_cmp_lt_i64_e64 s[14:15], v[6:7], v[2:3]
	v_cndmask_b32_e64 v1, v1, v4, s[14:15]
	v_cndmask_b32_e64 v5, v8, v5, s[14:15]
	v_cmp_ge_i32_e64 s[14:15], v5, v1
	s_or_b64 s[18:19], s[14:15], s[18:19]
	s_andn2_b64 exec, exec, s[18:19]
	s_cbranch_execnz .LBB142_44
; %bb.45:                               ;   in Loop: Header=BB142_2 Depth=1
	s_or_b64 exec, exec, s[18:19]
.LBB142_46:                             ;   in Loop: Header=BB142_2 Depth=1
	s_or_b64 exec, exec, s[16:17]
	v_sub_u32_e32 v71, v58, v5
	v_lshl_add_u32 v7, v5, 3, v68
	v_lshlrev_b32_e32 v73, 3, v71
	ds_read_b64 v[1:2], v7
	ds_read_b64 v[3:4], v73
	v_add_u32_e32 v72, v5, v24
	v_cmp_le_i32_e64 s[18:19], v25, v72
	v_cmp_gt_i32_e64 s[14:15], v26, v71
                                        ; implicit-def: $vgpr5_vgpr6
	s_waitcnt lgkmcnt(0)
	v_cmp_lt_i64_e64 s[16:17], v[3:4], v[1:2]
	s_or_b64 s[16:17], s[18:19], s[16:17]
	s_and_b64 s[14:15], s[14:15], s[16:17]
	s_xor_b64 s[16:17], s[14:15], -1
	s_and_saveexec_b64 s[18:19], s[16:17]
	s_xor_b64 s[16:17], exec, s[18:19]
; %bb.47:                               ;   in Loop: Header=BB142_2 Depth=1
	ds_read_b64 v[5:6], v7 offset:8
                                        ; implicit-def: $vgpr73
; %bb.48:                               ;   in Loop: Header=BB142_2 Depth=1
	s_or_saveexec_b64 s[16:17], s[16:17]
	v_mov_b32_e32 v8, v4
	v_mov_b32_e32 v7, v3
	s_xor_b64 exec, exec, s[16:17]
	s_cbranch_execz .LBB142_50
; %bb.49:                               ;   in Loop: Header=BB142_2 Depth=1
	ds_read_b64 v[7:8], v73 offset:8
	s_waitcnt lgkmcnt(1)
	v_mov_b32_e32 v6, v2
	v_mov_b32_e32 v5, v1
.LBB142_50:                             ;   in Loop: Header=BB142_2 Depth=1
	s_or_b64 exec, exec, s[16:17]
	v_cndmask_b32_e64 v2, v2, v4, s[14:15]
	v_add_u32_e32 v4, 1, v72
	v_cndmask_b32_e64 v1, v1, v3, s[14:15]
	v_add_u32_e32 v3, 1, v71
	v_cndmask_b32_e64 v4, v4, v72, s[14:15]
	s_waitcnt lgkmcnt(0)
	v_cmp_lt_i64_e64 s[16:17], v[7:8], v[5:6]
	v_cndmask_b32_e64 v3, v71, v3, s[14:15]
	v_cmp_ge_i32_e64 s[18:19], v4, v25
	v_cmp_lt_i32_e64 s[14:15], v3, v26
	s_or_b64 s[16:17], s[18:19], s[16:17]
	s_and_b64 s[14:15], s[14:15], s[16:17]
	v_cndmask_b32_e64 v4, v6, v8, s[14:15]
	v_cndmask_b32_e64 v3, v5, v7, s[14:15]
	v_mov_b32_e32 v5, v42
	s_barrier
	ds_write2_b64 v62, v[1:2], v[3:4] offset1:1
	s_waitcnt lgkmcnt(0)
	s_barrier
	s_and_saveexec_b64 s[16:17], s[10:11]
	s_cbranch_execz .LBB142_54
; %bb.51:                               ;   in Loop: Header=BB142_2 Depth=1
	s_mov_b64 s[18:19], 0
	v_mov_b32_e32 v5, v42
	v_mov_b32_e32 v1, v43
.LBB142_52:                             ;   Parent Loop BB142_2 Depth=1
                                        ; =>  This Inner Loop Header: Depth=2
	v_sub_u32_e32 v2, v1, v5
	v_lshrrev_b32_e32 v2, 1, v2
	v_add_u32_e32 v4, v2, v5
	v_not_b32_e32 v3, v4
	v_lshl_add_u32 v2, v4, 3, v69
	v_lshl_add_u32 v6, v3, 3, v61
	ds_read_b64 v[2:3], v2
	ds_read_b64 v[6:7], v6
	v_add_u32_e32 v8, 1, v4
	s_waitcnt lgkmcnt(0)
	v_cmp_lt_i64_e64 s[14:15], v[6:7], v[2:3]
	v_cndmask_b32_e64 v1, v1, v4, s[14:15]
	v_cndmask_b32_e64 v5, v8, v5, s[14:15]
	v_cmp_ge_i32_e64 s[14:15], v5, v1
	s_or_b64 s[18:19], s[14:15], s[18:19]
	s_andn2_b64 exec, exec, s[18:19]
	s_cbranch_execnz .LBB142_52
; %bb.53:                               ;   in Loop: Header=BB142_2 Depth=1
	s_or_b64 exec, exec, s[18:19]
.LBB142_54:                             ;   in Loop: Header=BB142_2 Depth=1
	s_or_b64 exec, exec, s[16:17]
	v_sub_u32_e32 v71, v60, v5
	v_lshl_add_u32 v7, v5, 3, v69
	v_lshlrev_b32_e32 v73, 3, v71
	ds_read_b64 v[1:2], v7
	ds_read_b64 v[3:4], v73
	v_add_u32_e32 v72, v5, v27
	v_cmp_le_i32_e64 s[18:19], v28, v72
	v_cmp_gt_i32_e64 s[14:15], v29, v71
                                        ; implicit-def: $vgpr5_vgpr6
	s_waitcnt lgkmcnt(0)
	v_cmp_lt_i64_e64 s[16:17], v[3:4], v[1:2]
	s_or_b64 s[16:17], s[18:19], s[16:17]
	s_and_b64 s[14:15], s[14:15], s[16:17]
	s_xor_b64 s[16:17], s[14:15], -1
	s_and_saveexec_b64 s[18:19], s[16:17]
	s_xor_b64 s[16:17], exec, s[18:19]
; %bb.55:                               ;   in Loop: Header=BB142_2 Depth=1
	ds_read_b64 v[5:6], v7 offset:8
                                        ; implicit-def: $vgpr73
; %bb.56:                               ;   in Loop: Header=BB142_2 Depth=1
	s_or_saveexec_b64 s[16:17], s[16:17]
	v_mov_b32_e32 v8, v4
	v_mov_b32_e32 v7, v3
	s_xor_b64 exec, exec, s[16:17]
	s_cbranch_execz .LBB142_58
; %bb.57:                               ;   in Loop: Header=BB142_2 Depth=1
	ds_read_b64 v[7:8], v73 offset:8
	s_waitcnt lgkmcnt(1)
	v_mov_b32_e32 v6, v2
	v_mov_b32_e32 v5, v1
.LBB142_58:                             ;   in Loop: Header=BB142_2 Depth=1
	s_or_b64 exec, exec, s[16:17]
	v_cndmask_b32_e64 v2, v2, v4, s[14:15]
	v_add_u32_e32 v4, 1, v72
	v_cndmask_b32_e64 v1, v1, v3, s[14:15]
	v_add_u32_e32 v3, 1, v71
	v_cndmask_b32_e64 v4, v4, v72, s[14:15]
	s_waitcnt lgkmcnt(0)
	v_cmp_lt_i64_e64 s[16:17], v[7:8], v[5:6]
	v_cndmask_b32_e64 v3, v71, v3, s[14:15]
	v_cmp_ge_i32_e64 s[18:19], v4, v28
	v_cmp_lt_i32_e64 s[14:15], v3, v29
	s_or_b64 s[16:17], s[18:19], s[16:17]
	s_and_b64 s[14:15], s[14:15], s[16:17]
	v_cndmask_b32_e64 v4, v6, v8, s[14:15]
	v_cndmask_b32_e64 v3, v5, v7, s[14:15]
	v_mov_b32_e32 v71, v45
	s_barrier
	ds_write2_b64 v62, v[1:2], v[3:4] offset1:1
	s_waitcnt lgkmcnt(0)
	s_barrier
	s_and_saveexec_b64 s[16:17], s[12:13]
	s_cbranch_execz .LBB142_62
; %bb.59:                               ;   in Loop: Header=BB142_2 Depth=1
	s_mov_b64 s[18:19], 0
	v_mov_b32_e32 v71, v45
	v_mov_b32_e32 v1, v46
.LBB142_60:                             ;   Parent Loop BB142_2 Depth=1
                                        ; =>  This Inner Loop Header: Depth=2
	v_sub_u32_e32 v2, v1, v71
	v_lshrrev_b32_e32 v2, 1, v2
	v_add_u32_e32 v6, v2, v71
	v_not_b32_e32 v3, v6
	v_lshlrev_b32_e32 v2, 3, v6
	v_lshl_add_u32 v4, v3, 3, v70
	ds_read_b64 v[2:3], v2
	ds_read_b64 v[4:5], v4
	v_add_u32_e32 v7, 1, v6
	s_waitcnt lgkmcnt(0)
	v_cmp_lt_i64_e64 s[14:15], v[4:5], v[2:3]
	v_cndmask_b32_e64 v1, v1, v6, s[14:15]
	v_cndmask_b32_e64 v71, v7, v71, s[14:15]
	v_cmp_ge_i32_e64 s[14:15], v71, v1
	s_or_b64 s[18:19], s[14:15], s[18:19]
	s_andn2_b64 exec, exec, s[18:19]
	s_cbranch_execnz .LBB142_60
; %bb.61:                               ;   in Loop: Header=BB142_2 Depth=1
	s_or_b64 exec, exec, s[18:19]
.LBB142_62:                             ;   in Loop: Header=BB142_2 Depth=1
	s_or_b64 exec, exec, s[16:17]
	v_sub_u32_e32 v72, v47, v71
	v_lshlrev_b32_e32 v7, 3, v71
	v_lshlrev_b32_e32 v73, 3, v72
	ds_read_b64 v[1:2], v7
	ds_read_b64 v[3:4], v73
	v_cmp_le_i32_e64 s[18:19], v44, v71
	v_cmp_gt_i32_e64 s[14:15], s20, v72
                                        ; implicit-def: $vgpr5_vgpr6
	s_waitcnt lgkmcnt(0)
	v_cmp_lt_i64_e64 s[16:17], v[3:4], v[1:2]
	s_or_b64 s[16:17], s[18:19], s[16:17]
	s_and_b64 s[14:15], s[14:15], s[16:17]
	s_xor_b64 s[16:17], s[14:15], -1
	s_and_saveexec_b64 s[18:19], s[16:17]
	s_xor_b64 s[16:17], exec, s[18:19]
; %bb.63:                               ;   in Loop: Header=BB142_2 Depth=1
	ds_read_b64 v[5:6], v7 offset:8
	v_add_u32_e32 v71, 1, v71
                                        ; implicit-def: $vgpr73
; %bb.64:                               ;   in Loop: Header=BB142_2 Depth=1
	s_or_saveexec_b64 s[16:17], s[16:17]
	v_mov_b32_e32 v8, v4
	v_mov_b32_e32 v7, v3
	s_xor_b64 exec, exec, s[16:17]
	s_cbranch_execz .LBB142_1
; %bb.65:                               ;   in Loop: Header=BB142_2 Depth=1
	ds_read_b64 v[7:8], v73 offset:8
	s_waitcnt lgkmcnt(1)
	v_mov_b32_e32 v6, v2
	v_add_u32_e32 v72, 1, v72
	v_mov_b32_e32 v5, v1
	s_branch .LBB142_1
.LBB142_66:
	s_add_u32 s0, s22, s24
	s_addc_u32 s1, s23, s25
	v_lshlrev_b32_e32 v0, 3, v0
	global_store_dwordx2 v0, v[1:2], s[0:1]
	global_store_dwordx2 v0, v[3:4], s[0:1] offset:2048
	s_endpgm
	.section	.rodata,"a",@progbits
	.p2align	6, 0x0
	.amdhsa_kernel _Z16sort_keys_kernelIxLj256ELj2EN10test_utils4lessELj10EEvPKT_PS2_T2_
		.amdhsa_group_segment_fixed_size 4104
		.amdhsa_private_segment_fixed_size 0
		.amdhsa_kernarg_size 20
		.amdhsa_user_sgpr_count 6
		.amdhsa_user_sgpr_private_segment_buffer 1
		.amdhsa_user_sgpr_dispatch_ptr 0
		.amdhsa_user_sgpr_queue_ptr 0
		.amdhsa_user_sgpr_kernarg_segment_ptr 1
		.amdhsa_user_sgpr_dispatch_id 0
		.amdhsa_user_sgpr_flat_scratch_init 0
		.amdhsa_user_sgpr_private_segment_size 0
		.amdhsa_uses_dynamic_stack 0
		.amdhsa_system_sgpr_private_segment_wavefront_offset 0
		.amdhsa_system_sgpr_workgroup_id_x 1
		.amdhsa_system_sgpr_workgroup_id_y 0
		.amdhsa_system_sgpr_workgroup_id_z 0
		.amdhsa_system_sgpr_workgroup_info 0
		.amdhsa_system_vgpr_workitem_id 0
		.amdhsa_next_free_vgpr 74
		.amdhsa_next_free_sgpr 28
		.amdhsa_reserve_vcc 1
		.amdhsa_reserve_flat_scratch 0
		.amdhsa_float_round_mode_32 0
		.amdhsa_float_round_mode_16_64 0
		.amdhsa_float_denorm_mode_32 3
		.amdhsa_float_denorm_mode_16_64 3
		.amdhsa_dx10_clamp 1
		.amdhsa_ieee_mode 1
		.amdhsa_fp16_overflow 0
		.amdhsa_exception_fp_ieee_invalid_op 0
		.amdhsa_exception_fp_denorm_src 0
		.amdhsa_exception_fp_ieee_div_zero 0
		.amdhsa_exception_fp_ieee_overflow 0
		.amdhsa_exception_fp_ieee_underflow 0
		.amdhsa_exception_fp_ieee_inexact 0
		.amdhsa_exception_int_div_zero 0
	.end_amdhsa_kernel
	.section	.text._Z16sort_keys_kernelIxLj256ELj2EN10test_utils4lessELj10EEvPKT_PS2_T2_,"axG",@progbits,_Z16sort_keys_kernelIxLj256ELj2EN10test_utils4lessELj10EEvPKT_PS2_T2_,comdat
.Lfunc_end142:
	.size	_Z16sort_keys_kernelIxLj256ELj2EN10test_utils4lessELj10EEvPKT_PS2_T2_, .Lfunc_end142-_Z16sort_keys_kernelIxLj256ELj2EN10test_utils4lessELj10EEvPKT_PS2_T2_
                                        ; -- End function
	.set _Z16sort_keys_kernelIxLj256ELj2EN10test_utils4lessELj10EEvPKT_PS2_T2_.num_vgpr, 74
	.set _Z16sort_keys_kernelIxLj256ELj2EN10test_utils4lessELj10EEvPKT_PS2_T2_.num_agpr, 0
	.set _Z16sort_keys_kernelIxLj256ELj2EN10test_utils4lessELj10EEvPKT_PS2_T2_.numbered_sgpr, 28
	.set _Z16sort_keys_kernelIxLj256ELj2EN10test_utils4lessELj10EEvPKT_PS2_T2_.num_named_barrier, 0
	.set _Z16sort_keys_kernelIxLj256ELj2EN10test_utils4lessELj10EEvPKT_PS2_T2_.private_seg_size, 0
	.set _Z16sort_keys_kernelIxLj256ELj2EN10test_utils4lessELj10EEvPKT_PS2_T2_.uses_vcc, 1
	.set _Z16sort_keys_kernelIxLj256ELj2EN10test_utils4lessELj10EEvPKT_PS2_T2_.uses_flat_scratch, 0
	.set _Z16sort_keys_kernelIxLj256ELj2EN10test_utils4lessELj10EEvPKT_PS2_T2_.has_dyn_sized_stack, 0
	.set _Z16sort_keys_kernelIxLj256ELj2EN10test_utils4lessELj10EEvPKT_PS2_T2_.has_recursion, 0
	.set _Z16sort_keys_kernelIxLj256ELj2EN10test_utils4lessELj10EEvPKT_PS2_T2_.has_indirect_call, 0
	.section	.AMDGPU.csdata,"",@progbits
; Kernel info:
; codeLenInByte = 3788
; TotalNumSgprs: 32
; NumVgprs: 74
; ScratchSize: 0
; MemoryBound: 0
; FloatMode: 240
; IeeeMode: 1
; LDSByteSize: 4104 bytes/workgroup (compile time only)
; SGPRBlocks: 3
; VGPRBlocks: 18
; NumSGPRsForWavesPerEU: 32
; NumVGPRsForWavesPerEU: 74
; Occupancy: 3
; WaveLimiterHint : 1
; COMPUTE_PGM_RSRC2:SCRATCH_EN: 0
; COMPUTE_PGM_RSRC2:USER_SGPR: 6
; COMPUTE_PGM_RSRC2:TRAP_HANDLER: 0
; COMPUTE_PGM_RSRC2:TGID_X_EN: 1
; COMPUTE_PGM_RSRC2:TGID_Y_EN: 0
; COMPUTE_PGM_RSRC2:TGID_Z_EN: 0
; COMPUTE_PGM_RSRC2:TIDIG_COMP_CNT: 0
	.section	.text._Z17sort_pairs_kernelIxLj256ELj2EN10test_utils4lessELj10EEvPKT_PS2_T2_,"axG",@progbits,_Z17sort_pairs_kernelIxLj256ELj2EN10test_utils4lessELj10EEvPKT_PS2_T2_,comdat
	.protected	_Z17sort_pairs_kernelIxLj256ELj2EN10test_utils4lessELj10EEvPKT_PS2_T2_ ; -- Begin function _Z17sort_pairs_kernelIxLj256ELj2EN10test_utils4lessELj10EEvPKT_PS2_T2_
	.globl	_Z17sort_pairs_kernelIxLj256ELj2EN10test_utils4lessELj10EEvPKT_PS2_T2_
	.p2align	8
	.type	_Z17sort_pairs_kernelIxLj256ELj2EN10test_utils4lessELj10EEvPKT_PS2_T2_,@function
_Z17sort_pairs_kernelIxLj256ELj2EN10test_utils4lessELj10EEvPKT_PS2_T2_: ; @_Z17sort_pairs_kernelIxLj256ELj2EN10test_utils4lessELj10EEvPKT_PS2_T2_
; %bb.0:
	s_load_dwordx4 s[20:23], s[4:5], 0x0
	s_lshl_b32 s26, s6, 9
	s_mov_b32 s27, 0
	s_lshl_b64 s[24:25], s[26:27], 3
	v_lshlrev_b32_e32 v1, 3, v0
	s_waitcnt lgkmcnt(0)
	s_add_u32 s0, s20, s24
	s_addc_u32 s1, s21, s25
	global_load_dwordx2 v[5:6], v1, s[0:1]
	global_load_dwordx2 v[7:8], v1, s[0:1] offset:2048
	v_lshlrev_b32_e32 v9, 1, v0
	v_and_b32_e32 v19, 0x100, v9
	v_or_b32_e32 v32, 0x80, v19
	v_add_u32_e32 v33, 0x100, v19
	v_and_b32_e32 v13, 0x1fc, v9
	v_and_b32_e32 v65, 0xfe, v9
	v_sub_u32_e32 v46, v33, v32
	v_and_b32_e32 v14, 0x1f8, v9
	v_or_b32_e32 v20, 2, v13
	v_add_u32_e32 v21, 4, v13
	v_sub_u32_e32 v48, v65, v46
	v_cmp_ge_i32_e64 s[10:11], v65, v46
	v_and_b32_e32 v10, 2, v9
	v_and_b32_e32 v15, 0x1f0, v9
	v_or_b32_e32 v22, 4, v14
	v_add_u32_e32 v23, 8, v14
	v_sub_u32_e32 v1, v21, v20
	v_cndmask_b32_e64 v46, 0, v48, s[10:11]
	v_mov_b32_e32 v48, 0x100
	v_and_b32_e32 v11, 6, v9
	v_and_b32_e32 v12, 14, v9
	v_and_b32_e32 v16, 0x1e0, v9
	v_and_b32_e32 v59, 30, v9
	v_and_b32_e32 v17, 0x1c0, v9
	v_and_b32_e32 v61, 62, v9
	v_and_b32_e32 v18, 0x180, v9
	v_and_b32_e32 v63, 0x7e, v9
	v_or_b32_e32 v24, 8, v15
	v_add_u32_e32 v25, 16, v15
	v_sub_u32_e32 v2, v23, v22
	v_sub_u32_e32 v39, v10, v1
	v_cmp_ge_i32_e32 vcc, v10, v1
	v_sub_u32_e64 v49, v9, v48 clamp
	v_min_i32_e32 v50, 0x100, v9
	v_add_u32_e32 v51, 0x100, v9
	v_lshlrev_b32_e32 v9, 3, v10
	v_or_b32_e32 v26, 16, v16
	v_add_u32_e32 v27, 32, v16
	v_sub_u32_e32 v3, v25, v24
	v_sub_u32_e32 v40, v11, v2
	v_cndmask_b32_e32 v39, 0, v39, vcc
	v_cmp_ge_i32_e32 vcc, v11, v2
	v_lshl_add_u32 v53, v20, 3, v9
	v_lshlrev_b32_e32 v9, 3, v11
	v_or_b32_e32 v28, 32, v17
	v_add_u32_e32 v29, 64, v17
	v_or_b32_e32 v30, 64, v18
	v_add_u32_e32 v31, 0x80, v18
	v_sub_u32_e32 v4, v27, v26
	v_sub_u32_e32 v41, v12, v3
	v_cndmask_b32_e32 v40, 0, v40, vcc
	v_cmp_ge_i32_e32 vcc, v12, v3
	v_lshl_add_u32 v55, v22, 3, v9
	v_lshlrev_b32_e32 v9, 3, v12
	v_sub_u32_e32 v43, v29, v28
	v_sub_u32_e32 v44, v31, v30
	;; [unrolled: 1-line block ×4, first 2 shown]
	v_cndmask_b32_e32 v41, 0, v41, vcc
	v_cmp_ge_i32_e32 vcc, v59, v4
	v_lshl_add_u32 v57, v24, 3, v9
	v_lshlrev_b32_e32 v9, 3, v59
	v_sub_u32_e32 v38, v28, v17
	v_sub_u32_e32 v45, v61, v43
	;; [unrolled: 1-line block ×3, first 2 shown]
	v_min_i32_e32 v37, v59, v37
	v_cndmask_b32_e32 v42, 0, v42, vcc
	v_cmp_ge_i32_e32 vcc, v61, v43
	v_add_u32_e32 v58, v26, v59
	v_lshl_add_u32 v59, v26, 3, v9
	v_lshlrev_b32_e32 v9, 3, v61
	v_sub_u32_e32 v34, v20, v13
	v_sub_u32_e32 v35, v22, v14
	;; [unrolled: 1-line block ×3, first 2 shown]
	v_min_i32_e32 v38, v61, v38
	v_cndmask_b32_e32 v43, 0, v45, vcc
	v_sub_u32_e32 v45, v30, v18
	v_add_u32_e32 v60, v28, v61
	s_waitcnt vmcnt(1)
	v_add_co_u32_e64 v1, s[8:9], 1, v5
	v_addc_co_u32_e64 v2, s[8:9], 0, v6, s[8:9]
	s_waitcnt vmcnt(0)
	v_add_co_u32_e64 v3, s[8:9], 1, v7
	v_addc_co_u32_e64 v4, s[8:9], 0, v8, s[8:9]
	v_cmp_ge_i32_e64 s[8:9], v63, v44
	v_cndmask_b32_e64 v44, 0, v47, s[8:9]
	v_sub_u32_e32 v47, v32, v19
	v_lshl_add_u32 v61, v28, 3, v9
	v_lshlrev_b32_e32 v9, 3, v63
	v_min_i32_e32 v34, v10, v34
	v_min_i32_e32 v35, v11, v35
	;; [unrolled: 1-line block ×5, first 2 shown]
	v_add_u32_e32 v62, v30, v63
	v_lshl_add_u32 v63, v30, 3, v9
	v_lshlrev_b32_e32 v9, 3, v65
	v_lshlrev_b32_e32 v66, 4, v0
	v_cmp_lt_i32_e32 vcc, v39, v34
	v_cmp_lt_i32_e64 s[0:1], v40, v35
	v_cmp_lt_i32_e64 s[2:3], v41, v36
	;; [unrolled: 1-line block ×7, first 2 shown]
	v_add_u32_e32 v52, v20, v10
	v_add_u32_e32 v54, v22, v11
	;; [unrolled: 1-line block ×4, first 2 shown]
	v_lshl_add_u32 v65, v32, 3, v9
	s_movk_i32 s26, 0x200
	v_lshlrev_b32_e32 v67, 3, v13
	v_lshlrev_b32_e32 v68, 3, v14
	;; [unrolled: 1-line block ×7, first 2 shown]
	v_add_u32_e32 v74, 0x800, v66
	s_branch .LBB143_2
.LBB143_1:                              ;   in Loop: Header=BB143_2 Depth=1
	s_or_b64 exec, exec, s[16:17]
	s_waitcnt lgkmcnt(0)
	v_cmp_lt_i64_e64 s[18:19], v[11:12], v[9:10]
	v_cmp_ge_i32_e64 s[20:21], v77, v48
	v_cmp_gt_i32_e64 s[16:17], s26, v76
	s_or_b64 s[18:19], s[20:21], s[18:19]
	s_and_b64 s[16:17], s[16:17], s[18:19]
	v_cndmask_b32_e64 v6, v6, v8, s[14:15]
	v_cndmask_b32_e64 v8, v10, v12, s[16:17]
	;; [unrolled: 1-line block ×3, first 2 shown]
	s_barrier
	ds_write2_b64 v66, v[1:2], v[3:4] offset1:1
	v_lshlrev_b32_e32 v1, 3, v78
	v_lshlrev_b32_e32 v3, 3, v10
	s_waitcnt lgkmcnt(0)
	s_barrier
	ds_read_b64 v[1:2], v1
	ds_read_b64 v[3:4], v3
	s_add_i32 s27, s27, 1
	v_cndmask_b32_e64 v5, v5, v7, s[14:15]
	s_cmp_eq_u32 s27, 10
	v_cndmask_b32_e64 v7, v9, v11, s[16:17]
	s_cbranch_scc1 .LBB143_66
.LBB143_2:                              ; =>This Loop Header: Depth=1
                                        ;     Child Loop BB143_4 Depth 2
                                        ;     Child Loop BB143_12 Depth 2
	;; [unrolled: 1-line block ×8, first 2 shown]
	v_cmp_lt_i64_e64 s[14:15], v[7:8], v[5:6]
	v_cndmask_b32_e64 v10, v8, v6, s[14:15]
	v_cndmask_b32_e64 v9, v7, v5, s[14:15]
	;; [unrolled: 1-line block ×4, first 2 shown]
	s_waitcnt lgkmcnt(0)
	s_barrier
	ds_write2_b64 v66, v[5:6], v[9:10] offset1:1
	v_mov_b32_e32 v5, v39
	s_waitcnt lgkmcnt(0)
	s_barrier
	s_and_saveexec_b64 s[18:19], vcc
	s_cbranch_execz .LBB143_6
; %bb.3:                                ;   in Loop: Header=BB143_2 Depth=1
	s_mov_b64 s[20:21], 0
	v_mov_b32_e32 v5, v39
	v_mov_b32_e32 v6, v34
.LBB143_4:                              ;   Parent Loop BB143_2 Depth=1
                                        ; =>  This Inner Loop Header: Depth=2
	v_sub_u32_e32 v7, v6, v5
	v_lshrrev_b32_e32 v7, 1, v7
	v_add_u32_e32 v11, v7, v5
	v_not_b32_e32 v8, v11
	v_lshl_add_u32 v7, v11, 3, v67
	v_lshl_add_u32 v9, v8, 3, v53
	ds_read_b64 v[7:8], v7
	ds_read_b64 v[9:10], v9
	v_add_u32_e32 v12, 1, v11
	s_waitcnt lgkmcnt(0)
	v_cmp_lt_i64_e64 s[16:17], v[9:10], v[7:8]
	v_cndmask_b32_e64 v6, v6, v11, s[16:17]
	v_cndmask_b32_e64 v5, v12, v5, s[16:17]
	v_cmp_ge_i32_e64 s[16:17], v5, v6
	s_or_b64 s[20:21], s[16:17], s[20:21]
	s_andn2_b64 exec, exec, s[20:21]
	s_cbranch_execnz .LBB143_4
; %bb.5:                                ;   in Loop: Header=BB143_2 Depth=1
	s_or_b64 exec, exec, s[20:21]
.LBB143_6:                              ;   in Loop: Header=BB143_2 Depth=1
	s_or_b64 exec, exec, s[18:19]
	v_sub_u32_e32 v75, v52, v5
	v_lshl_add_u32 v11, v5, 3, v67
	v_lshlrev_b32_e32 v77, 3, v75
	ds_read_b64 v[7:8], v11
	ds_read_b64 v[9:10], v77
	v_add_u32_e32 v76, v5, v13
	v_cmp_le_i32_e64 s[20:21], v20, v76
	v_cmp_gt_i32_e64 s[16:17], v21, v75
                                        ; implicit-def: $vgpr5_vgpr6
	s_waitcnt lgkmcnt(0)
	v_cmp_lt_i64_e64 s[18:19], v[9:10], v[7:8]
	s_or_b64 s[18:19], s[20:21], s[18:19]
	s_and_b64 s[16:17], s[16:17], s[18:19]
	s_xor_b64 s[18:19], s[16:17], -1
	s_and_saveexec_b64 s[20:21], s[18:19]
	s_xor_b64 s[18:19], exec, s[20:21]
; %bb.7:                                ;   in Loop: Header=BB143_2 Depth=1
	ds_read_b64 v[5:6], v11 offset:8
                                        ; implicit-def: $vgpr77
; %bb.8:                                ;   in Loop: Header=BB143_2 Depth=1
	s_or_saveexec_b64 s[18:19], s[18:19]
	v_mov_b32_e32 v12, v10
	v_mov_b32_e32 v11, v9
	s_xor_b64 exec, exec, s[18:19]
	s_cbranch_execz .LBB143_10
; %bb.9:                                ;   in Loop: Header=BB143_2 Depth=1
	ds_read_b64 v[11:12], v77 offset:8
	s_waitcnt lgkmcnt(1)
	v_mov_b32_e32 v5, v7
	v_mov_b32_e32 v6, v8
.LBB143_10:                             ;   in Loop: Header=BB143_2 Depth=1
	s_or_b64 exec, exec, s[18:19]
	v_cndmask_b32_e64 v8, v8, v10, s[16:17]
	v_cndmask_b32_e64 v7, v7, v9, s[16:17]
	v_add_u32_e32 v9, 1, v75
	v_add_u32_e32 v10, 1, v76
	v_cndmask_b32_e64 v77, v75, v9, s[16:17]
	v_cndmask_b32_e64 v78, v10, v76, s[16:17]
	;; [unrolled: 1-line block ×3, first 2 shown]
	s_waitcnt lgkmcnt(0)
	v_cmp_lt_i64_e64 s[16:17], v[11:12], v[5:6]
	v_cmp_ge_i32_e64 s[18:19], v78, v20
	v_cndmask_b32_e64 v10, v4, v2, s[14:15]
	v_cndmask_b32_e64 v9, v3, v1, s[14:15]
	;; [unrolled: 1-line block ×4, first 2 shown]
	v_cmp_lt_i32_e64 s[14:15], v77, v21
	s_or_b64 s[16:17], s[18:19], s[16:17]
	s_and_b64 s[14:15], s[14:15], s[16:17]
	v_cndmask_b32_e64 v3, v78, v77, s[14:15]
	s_barrier
	ds_write2_b64 v66, v[1:2], v[9:10] offset1:1
	v_lshlrev_b32_e32 v1, 3, v75
	v_lshlrev_b32_e32 v3, 3, v3
	s_waitcnt lgkmcnt(0)
	s_barrier
	ds_read_b64 v[1:2], v1
	ds_read_b64 v[3:4], v3
	v_cndmask_b32_e64 v6, v6, v12, s[14:15]
	v_cndmask_b32_e64 v5, v5, v11, s[14:15]
	s_waitcnt lgkmcnt(0)
	s_barrier
	ds_write2_b64 v66, v[7:8], v[5:6] offset1:1
	v_mov_b32_e32 v7, v40
	s_waitcnt lgkmcnt(0)
	s_barrier
	s_and_saveexec_b64 s[16:17], s[0:1]
	s_cbranch_execz .LBB143_14
; %bb.11:                               ;   in Loop: Header=BB143_2 Depth=1
	s_mov_b64 s[18:19], 0
	v_mov_b32_e32 v7, v40
	v_mov_b32_e32 v5, v35
.LBB143_12:                             ;   Parent Loop BB143_2 Depth=1
                                        ; =>  This Inner Loop Header: Depth=2
	v_sub_u32_e32 v6, v5, v7
	v_lshrrev_b32_e32 v6, 1, v6
	v_add_u32_e32 v6, v6, v7
	v_not_b32_e32 v9, v6
	v_lshl_add_u32 v8, v6, 3, v68
	v_lshl_add_u32 v10, v9, 3, v55
	ds_read_b64 v[8:9], v8
	ds_read_b64 v[10:11], v10
	v_add_u32_e32 v12, 1, v6
	s_waitcnt lgkmcnt(0)
	v_cmp_lt_i64_e64 s[14:15], v[10:11], v[8:9]
	v_cndmask_b32_e64 v5, v5, v6, s[14:15]
	v_cndmask_b32_e64 v7, v12, v7, s[14:15]
	v_cmp_ge_i32_e64 s[14:15], v7, v5
	s_or_b64 s[18:19], s[14:15], s[18:19]
	s_andn2_b64 exec, exec, s[18:19]
	s_cbranch_execnz .LBB143_12
; %bb.13:                               ;   in Loop: Header=BB143_2 Depth=1
	s_or_b64 exec, exec, s[18:19]
.LBB143_14:                             ;   in Loop: Header=BB143_2 Depth=1
	s_or_b64 exec, exec, s[16:17]
	v_sub_u32_e32 v75, v54, v7
	v_lshl_add_u32 v11, v7, 3, v68
	v_lshlrev_b32_e32 v77, 3, v75
	ds_read_b64 v[5:6], v11
	ds_read_b64 v[9:10], v77
	v_add_u32_e32 v76, v7, v14
	v_cmp_le_i32_e64 s[18:19], v22, v76
	v_cmp_gt_i32_e64 s[14:15], v23, v75
                                        ; implicit-def: $vgpr7_vgpr8
	s_waitcnt lgkmcnt(0)
	v_cmp_lt_i64_e64 s[16:17], v[9:10], v[5:6]
	s_or_b64 s[16:17], s[18:19], s[16:17]
	s_and_b64 s[14:15], s[14:15], s[16:17]
	s_xor_b64 s[16:17], s[14:15], -1
	s_and_saveexec_b64 s[18:19], s[16:17]
	s_xor_b64 s[16:17], exec, s[18:19]
; %bb.15:                               ;   in Loop: Header=BB143_2 Depth=1
	ds_read_b64 v[7:8], v11 offset:8
                                        ; implicit-def: $vgpr77
; %bb.16:                               ;   in Loop: Header=BB143_2 Depth=1
	s_or_saveexec_b64 s[16:17], s[16:17]
	v_mov_b32_e32 v12, v10
	v_mov_b32_e32 v11, v9
	s_xor_b64 exec, exec, s[16:17]
	s_cbranch_execz .LBB143_18
; %bb.17:                               ;   in Loop: Header=BB143_2 Depth=1
	ds_read_b64 v[11:12], v77 offset:8
	s_waitcnt lgkmcnt(1)
	v_mov_b32_e32 v8, v6
	v_mov_b32_e32 v7, v5
.LBB143_18:                             ;   in Loop: Header=BB143_2 Depth=1
	s_or_b64 exec, exec, s[16:17]
	v_cndmask_b32_e64 v6, v6, v10, s[14:15]
	v_add_u32_e32 v10, 1, v76
	v_cndmask_b32_e64 v5, v5, v9, s[14:15]
	v_add_u32_e32 v9, 1, v75
	v_cndmask_b32_e64 v10, v10, v76, s[14:15]
	s_waitcnt lgkmcnt(0)
	v_cmp_lt_i64_e64 s[16:17], v[11:12], v[7:8]
	v_cndmask_b32_e64 v9, v75, v9, s[14:15]
	v_cmp_ge_i32_e64 s[18:19], v10, v22
	v_cndmask_b32_e64 v75, v76, v75, s[14:15]
	v_cmp_lt_i32_e64 s[14:15], v9, v23
	s_or_b64 s[16:17], s[18:19], s[16:17]
	s_and_b64 s[14:15], s[14:15], s[16:17]
	v_cndmask_b32_e64 v9, v10, v9, s[14:15]
	s_barrier
	ds_write2_b64 v66, v[1:2], v[3:4] offset1:1
	v_lshlrev_b32_e32 v1, 3, v75
	v_lshlrev_b32_e32 v3, 3, v9
	s_waitcnt lgkmcnt(0)
	s_barrier
	ds_read_b64 v[1:2], v1
	ds_read_b64 v[3:4], v3
	v_cndmask_b32_e64 v8, v8, v12, s[14:15]
	v_cndmask_b32_e64 v7, v7, v11, s[14:15]
	s_waitcnt lgkmcnt(0)
	s_barrier
	ds_write2_b64 v66, v[5:6], v[7:8] offset1:1
	v_mov_b32_e32 v7, v41
	s_waitcnt lgkmcnt(0)
	s_barrier
	s_and_saveexec_b64 s[16:17], s[2:3]
	s_cbranch_execz .LBB143_22
; %bb.19:                               ;   in Loop: Header=BB143_2 Depth=1
	s_mov_b64 s[18:19], 0
	v_mov_b32_e32 v7, v41
	v_mov_b32_e32 v5, v36
.LBB143_20:                             ;   Parent Loop BB143_2 Depth=1
                                        ; =>  This Inner Loop Header: Depth=2
	v_sub_u32_e32 v6, v5, v7
	v_lshrrev_b32_e32 v6, 1, v6
	v_add_u32_e32 v6, v6, v7
	v_not_b32_e32 v9, v6
	v_lshl_add_u32 v8, v6, 3, v69
	v_lshl_add_u32 v10, v9, 3, v57
	ds_read_b64 v[8:9], v8
	ds_read_b64 v[10:11], v10
	v_add_u32_e32 v12, 1, v6
	s_waitcnt lgkmcnt(0)
	v_cmp_lt_i64_e64 s[14:15], v[10:11], v[8:9]
	v_cndmask_b32_e64 v5, v5, v6, s[14:15]
	v_cndmask_b32_e64 v7, v12, v7, s[14:15]
	v_cmp_ge_i32_e64 s[14:15], v7, v5
	s_or_b64 s[18:19], s[14:15], s[18:19]
	s_andn2_b64 exec, exec, s[18:19]
	s_cbranch_execnz .LBB143_20
; %bb.21:                               ;   in Loop: Header=BB143_2 Depth=1
	s_or_b64 exec, exec, s[18:19]
.LBB143_22:                             ;   in Loop: Header=BB143_2 Depth=1
	s_or_b64 exec, exec, s[16:17]
	v_sub_u32_e32 v75, v56, v7
	v_lshl_add_u32 v11, v7, 3, v69
	v_lshlrev_b32_e32 v77, 3, v75
	ds_read_b64 v[5:6], v11
	ds_read_b64 v[9:10], v77
	v_add_u32_e32 v76, v7, v15
	v_cmp_le_i32_e64 s[18:19], v24, v76
	v_cmp_gt_i32_e64 s[14:15], v25, v75
                                        ; implicit-def: $vgpr7_vgpr8
	s_waitcnt lgkmcnt(0)
	v_cmp_lt_i64_e64 s[16:17], v[9:10], v[5:6]
	s_or_b64 s[16:17], s[18:19], s[16:17]
	s_and_b64 s[14:15], s[14:15], s[16:17]
	s_xor_b64 s[16:17], s[14:15], -1
	s_and_saveexec_b64 s[18:19], s[16:17]
	s_xor_b64 s[16:17], exec, s[18:19]
; %bb.23:                               ;   in Loop: Header=BB143_2 Depth=1
	ds_read_b64 v[7:8], v11 offset:8
                                        ; implicit-def: $vgpr77
; %bb.24:                               ;   in Loop: Header=BB143_2 Depth=1
	s_or_saveexec_b64 s[16:17], s[16:17]
	v_mov_b32_e32 v12, v10
	v_mov_b32_e32 v11, v9
	s_xor_b64 exec, exec, s[16:17]
	s_cbranch_execz .LBB143_26
; %bb.25:                               ;   in Loop: Header=BB143_2 Depth=1
	ds_read_b64 v[11:12], v77 offset:8
	s_waitcnt lgkmcnt(1)
	v_mov_b32_e32 v8, v6
	v_mov_b32_e32 v7, v5
.LBB143_26:                             ;   in Loop: Header=BB143_2 Depth=1
	s_or_b64 exec, exec, s[16:17]
	v_cndmask_b32_e64 v6, v6, v10, s[14:15]
	v_add_u32_e32 v10, 1, v76
	v_cndmask_b32_e64 v5, v5, v9, s[14:15]
	v_add_u32_e32 v9, 1, v75
	v_cndmask_b32_e64 v10, v10, v76, s[14:15]
	s_waitcnt lgkmcnt(0)
	v_cmp_lt_i64_e64 s[16:17], v[11:12], v[7:8]
	v_cndmask_b32_e64 v9, v75, v9, s[14:15]
	v_cmp_ge_i32_e64 s[18:19], v10, v24
	v_cndmask_b32_e64 v75, v76, v75, s[14:15]
	v_cmp_lt_i32_e64 s[14:15], v9, v25
	s_or_b64 s[16:17], s[18:19], s[16:17]
	s_and_b64 s[14:15], s[14:15], s[16:17]
	v_cndmask_b32_e64 v9, v10, v9, s[14:15]
	s_barrier
	ds_write2_b64 v66, v[1:2], v[3:4] offset1:1
	v_lshlrev_b32_e32 v1, 3, v75
	v_lshlrev_b32_e32 v3, 3, v9
	s_waitcnt lgkmcnt(0)
	s_barrier
	ds_read_b64 v[1:2], v1
	ds_read_b64 v[3:4], v3
	v_cndmask_b32_e64 v8, v8, v12, s[14:15]
	v_cndmask_b32_e64 v7, v7, v11, s[14:15]
	s_waitcnt lgkmcnt(0)
	s_barrier
	ds_write2_b64 v66, v[5:6], v[7:8] offset1:1
	v_mov_b32_e32 v7, v42
	s_waitcnt lgkmcnt(0)
	s_barrier
	s_and_saveexec_b64 s[16:17], s[4:5]
	s_cbranch_execz .LBB143_30
; %bb.27:                               ;   in Loop: Header=BB143_2 Depth=1
	s_mov_b64 s[18:19], 0
	v_mov_b32_e32 v7, v42
	v_mov_b32_e32 v5, v37
.LBB143_28:                             ;   Parent Loop BB143_2 Depth=1
                                        ; =>  This Inner Loop Header: Depth=2
	v_sub_u32_e32 v6, v5, v7
	v_lshrrev_b32_e32 v6, 1, v6
	v_add_u32_e32 v6, v6, v7
	v_not_b32_e32 v9, v6
	v_lshl_add_u32 v8, v6, 3, v70
	v_lshl_add_u32 v10, v9, 3, v59
	ds_read_b64 v[8:9], v8
	ds_read_b64 v[10:11], v10
	v_add_u32_e32 v12, 1, v6
	s_waitcnt lgkmcnt(0)
	v_cmp_lt_i64_e64 s[14:15], v[10:11], v[8:9]
	v_cndmask_b32_e64 v5, v5, v6, s[14:15]
	v_cndmask_b32_e64 v7, v12, v7, s[14:15]
	v_cmp_ge_i32_e64 s[14:15], v7, v5
	s_or_b64 s[18:19], s[14:15], s[18:19]
	s_andn2_b64 exec, exec, s[18:19]
	s_cbranch_execnz .LBB143_28
; %bb.29:                               ;   in Loop: Header=BB143_2 Depth=1
	s_or_b64 exec, exec, s[18:19]
.LBB143_30:                             ;   in Loop: Header=BB143_2 Depth=1
	s_or_b64 exec, exec, s[16:17]
	v_sub_u32_e32 v75, v58, v7
	v_lshl_add_u32 v11, v7, 3, v70
	v_lshlrev_b32_e32 v77, 3, v75
	ds_read_b64 v[5:6], v11
	ds_read_b64 v[9:10], v77
	v_add_u32_e32 v76, v7, v16
	v_cmp_le_i32_e64 s[18:19], v26, v76
	v_cmp_gt_i32_e64 s[14:15], v27, v75
                                        ; implicit-def: $vgpr7_vgpr8
	s_waitcnt lgkmcnt(0)
	v_cmp_lt_i64_e64 s[16:17], v[9:10], v[5:6]
	s_or_b64 s[16:17], s[18:19], s[16:17]
	s_and_b64 s[14:15], s[14:15], s[16:17]
	s_xor_b64 s[16:17], s[14:15], -1
	s_and_saveexec_b64 s[18:19], s[16:17]
	s_xor_b64 s[16:17], exec, s[18:19]
; %bb.31:                               ;   in Loop: Header=BB143_2 Depth=1
	ds_read_b64 v[7:8], v11 offset:8
                                        ; implicit-def: $vgpr77
; %bb.32:                               ;   in Loop: Header=BB143_2 Depth=1
	s_or_saveexec_b64 s[16:17], s[16:17]
	v_mov_b32_e32 v12, v10
	v_mov_b32_e32 v11, v9
	s_xor_b64 exec, exec, s[16:17]
	s_cbranch_execz .LBB143_34
; %bb.33:                               ;   in Loop: Header=BB143_2 Depth=1
	ds_read_b64 v[11:12], v77 offset:8
	s_waitcnt lgkmcnt(1)
	v_mov_b32_e32 v8, v6
	v_mov_b32_e32 v7, v5
.LBB143_34:                             ;   in Loop: Header=BB143_2 Depth=1
	s_or_b64 exec, exec, s[16:17]
	v_cndmask_b32_e64 v6, v6, v10, s[14:15]
	v_add_u32_e32 v10, 1, v76
	v_cndmask_b32_e64 v5, v5, v9, s[14:15]
	v_add_u32_e32 v9, 1, v75
	v_cndmask_b32_e64 v10, v10, v76, s[14:15]
	s_waitcnt lgkmcnt(0)
	v_cmp_lt_i64_e64 s[16:17], v[11:12], v[7:8]
	v_cndmask_b32_e64 v9, v75, v9, s[14:15]
	v_cmp_ge_i32_e64 s[18:19], v10, v26
	v_cndmask_b32_e64 v75, v76, v75, s[14:15]
	v_cmp_lt_i32_e64 s[14:15], v9, v27
	s_or_b64 s[16:17], s[18:19], s[16:17]
	s_and_b64 s[14:15], s[14:15], s[16:17]
	v_cndmask_b32_e64 v9, v10, v9, s[14:15]
	s_barrier
	ds_write2_b64 v66, v[1:2], v[3:4] offset1:1
	v_lshlrev_b32_e32 v1, 3, v75
	v_lshlrev_b32_e32 v3, 3, v9
	s_waitcnt lgkmcnt(0)
	s_barrier
	ds_read_b64 v[1:2], v1
	ds_read_b64 v[3:4], v3
	v_cndmask_b32_e64 v8, v8, v12, s[14:15]
	v_cndmask_b32_e64 v7, v7, v11, s[14:15]
	s_waitcnt lgkmcnt(0)
	s_barrier
	ds_write2_b64 v66, v[5:6], v[7:8] offset1:1
	v_mov_b32_e32 v7, v43
	s_waitcnt lgkmcnt(0)
	s_barrier
	s_and_saveexec_b64 s[16:17], s[6:7]
	s_cbranch_execz .LBB143_38
; %bb.35:                               ;   in Loop: Header=BB143_2 Depth=1
	s_mov_b64 s[18:19], 0
	v_mov_b32_e32 v7, v43
	v_mov_b32_e32 v5, v38
.LBB143_36:                             ;   Parent Loop BB143_2 Depth=1
                                        ; =>  This Inner Loop Header: Depth=2
	v_sub_u32_e32 v6, v5, v7
	v_lshrrev_b32_e32 v6, 1, v6
	v_add_u32_e32 v6, v6, v7
	v_not_b32_e32 v9, v6
	v_lshl_add_u32 v8, v6, 3, v71
	v_lshl_add_u32 v10, v9, 3, v61
	ds_read_b64 v[8:9], v8
	ds_read_b64 v[10:11], v10
	v_add_u32_e32 v12, 1, v6
	s_waitcnt lgkmcnt(0)
	v_cmp_lt_i64_e64 s[14:15], v[10:11], v[8:9]
	v_cndmask_b32_e64 v5, v5, v6, s[14:15]
	v_cndmask_b32_e64 v7, v12, v7, s[14:15]
	v_cmp_ge_i32_e64 s[14:15], v7, v5
	s_or_b64 s[18:19], s[14:15], s[18:19]
	s_andn2_b64 exec, exec, s[18:19]
	s_cbranch_execnz .LBB143_36
; %bb.37:                               ;   in Loop: Header=BB143_2 Depth=1
	s_or_b64 exec, exec, s[18:19]
.LBB143_38:                             ;   in Loop: Header=BB143_2 Depth=1
	s_or_b64 exec, exec, s[16:17]
	v_sub_u32_e32 v75, v60, v7
	v_lshl_add_u32 v11, v7, 3, v71
	v_lshlrev_b32_e32 v77, 3, v75
	ds_read_b64 v[5:6], v11
	ds_read_b64 v[9:10], v77
	v_add_u32_e32 v76, v7, v17
	v_cmp_le_i32_e64 s[18:19], v28, v76
	v_cmp_gt_i32_e64 s[14:15], v29, v75
                                        ; implicit-def: $vgpr7_vgpr8
	s_waitcnt lgkmcnt(0)
	v_cmp_lt_i64_e64 s[16:17], v[9:10], v[5:6]
	s_or_b64 s[16:17], s[18:19], s[16:17]
	s_and_b64 s[14:15], s[14:15], s[16:17]
	s_xor_b64 s[16:17], s[14:15], -1
	s_and_saveexec_b64 s[18:19], s[16:17]
	s_xor_b64 s[16:17], exec, s[18:19]
; %bb.39:                               ;   in Loop: Header=BB143_2 Depth=1
	ds_read_b64 v[7:8], v11 offset:8
                                        ; implicit-def: $vgpr77
; %bb.40:                               ;   in Loop: Header=BB143_2 Depth=1
	s_or_saveexec_b64 s[16:17], s[16:17]
	v_mov_b32_e32 v12, v10
	v_mov_b32_e32 v11, v9
	s_xor_b64 exec, exec, s[16:17]
	s_cbranch_execz .LBB143_42
; %bb.41:                               ;   in Loop: Header=BB143_2 Depth=1
	ds_read_b64 v[11:12], v77 offset:8
	s_waitcnt lgkmcnt(1)
	v_mov_b32_e32 v8, v6
	v_mov_b32_e32 v7, v5
.LBB143_42:                             ;   in Loop: Header=BB143_2 Depth=1
	s_or_b64 exec, exec, s[16:17]
	v_cndmask_b32_e64 v6, v6, v10, s[14:15]
	v_add_u32_e32 v10, 1, v76
	v_cndmask_b32_e64 v5, v5, v9, s[14:15]
	v_add_u32_e32 v9, 1, v75
	v_cndmask_b32_e64 v10, v10, v76, s[14:15]
	s_waitcnt lgkmcnt(0)
	v_cmp_lt_i64_e64 s[16:17], v[11:12], v[7:8]
	v_cndmask_b32_e64 v9, v75, v9, s[14:15]
	v_cmp_ge_i32_e64 s[18:19], v10, v28
	v_cndmask_b32_e64 v75, v76, v75, s[14:15]
	v_cmp_lt_i32_e64 s[14:15], v9, v29
	s_or_b64 s[16:17], s[18:19], s[16:17]
	s_and_b64 s[14:15], s[14:15], s[16:17]
	v_cndmask_b32_e64 v9, v10, v9, s[14:15]
	s_barrier
	ds_write2_b64 v66, v[1:2], v[3:4] offset1:1
	v_lshlrev_b32_e32 v1, 3, v75
	v_lshlrev_b32_e32 v3, 3, v9
	s_waitcnt lgkmcnt(0)
	s_barrier
	ds_read_b64 v[1:2], v1
	ds_read_b64 v[3:4], v3
	v_cndmask_b32_e64 v8, v8, v12, s[14:15]
	v_cndmask_b32_e64 v7, v7, v11, s[14:15]
	s_waitcnt lgkmcnt(0)
	s_barrier
	ds_write2_b64 v66, v[5:6], v[7:8] offset1:1
	v_mov_b32_e32 v7, v44
	s_waitcnt lgkmcnt(0)
	s_barrier
	s_and_saveexec_b64 s[16:17], s[8:9]
	s_cbranch_execz .LBB143_46
; %bb.43:                               ;   in Loop: Header=BB143_2 Depth=1
	s_mov_b64 s[18:19], 0
	v_mov_b32_e32 v7, v44
	v_mov_b32_e32 v5, v45
.LBB143_44:                             ;   Parent Loop BB143_2 Depth=1
                                        ; =>  This Inner Loop Header: Depth=2
	v_sub_u32_e32 v6, v5, v7
	v_lshrrev_b32_e32 v6, 1, v6
	v_add_u32_e32 v6, v6, v7
	v_not_b32_e32 v9, v6
	v_lshl_add_u32 v8, v6, 3, v72
	v_lshl_add_u32 v10, v9, 3, v63
	ds_read_b64 v[8:9], v8
	ds_read_b64 v[10:11], v10
	v_add_u32_e32 v12, 1, v6
	s_waitcnt lgkmcnt(0)
	v_cmp_lt_i64_e64 s[14:15], v[10:11], v[8:9]
	v_cndmask_b32_e64 v5, v5, v6, s[14:15]
	v_cndmask_b32_e64 v7, v12, v7, s[14:15]
	v_cmp_ge_i32_e64 s[14:15], v7, v5
	s_or_b64 s[18:19], s[14:15], s[18:19]
	s_andn2_b64 exec, exec, s[18:19]
	s_cbranch_execnz .LBB143_44
; %bb.45:                               ;   in Loop: Header=BB143_2 Depth=1
	s_or_b64 exec, exec, s[18:19]
.LBB143_46:                             ;   in Loop: Header=BB143_2 Depth=1
	s_or_b64 exec, exec, s[16:17]
	v_sub_u32_e32 v75, v62, v7
	v_lshl_add_u32 v11, v7, 3, v72
	v_lshlrev_b32_e32 v77, 3, v75
	ds_read_b64 v[5:6], v11
	ds_read_b64 v[9:10], v77
	v_add_u32_e32 v76, v7, v18
	v_cmp_le_i32_e64 s[18:19], v30, v76
	v_cmp_gt_i32_e64 s[14:15], v31, v75
                                        ; implicit-def: $vgpr7_vgpr8
	s_waitcnt lgkmcnt(0)
	v_cmp_lt_i64_e64 s[16:17], v[9:10], v[5:6]
	s_or_b64 s[16:17], s[18:19], s[16:17]
	s_and_b64 s[14:15], s[14:15], s[16:17]
	s_xor_b64 s[16:17], s[14:15], -1
	s_and_saveexec_b64 s[18:19], s[16:17]
	s_xor_b64 s[16:17], exec, s[18:19]
; %bb.47:                               ;   in Loop: Header=BB143_2 Depth=1
	ds_read_b64 v[7:8], v11 offset:8
                                        ; implicit-def: $vgpr77
; %bb.48:                               ;   in Loop: Header=BB143_2 Depth=1
	s_or_saveexec_b64 s[16:17], s[16:17]
	v_mov_b32_e32 v12, v10
	v_mov_b32_e32 v11, v9
	s_xor_b64 exec, exec, s[16:17]
	s_cbranch_execz .LBB143_50
; %bb.49:                               ;   in Loop: Header=BB143_2 Depth=1
	ds_read_b64 v[11:12], v77 offset:8
	s_waitcnt lgkmcnt(1)
	v_mov_b32_e32 v8, v6
	v_mov_b32_e32 v7, v5
.LBB143_50:                             ;   in Loop: Header=BB143_2 Depth=1
	s_or_b64 exec, exec, s[16:17]
	v_cndmask_b32_e64 v6, v6, v10, s[14:15]
	v_add_u32_e32 v10, 1, v76
	v_cndmask_b32_e64 v5, v5, v9, s[14:15]
	v_add_u32_e32 v9, 1, v75
	v_cndmask_b32_e64 v10, v10, v76, s[14:15]
	s_waitcnt lgkmcnt(0)
	v_cmp_lt_i64_e64 s[16:17], v[11:12], v[7:8]
	v_cndmask_b32_e64 v9, v75, v9, s[14:15]
	v_cmp_ge_i32_e64 s[18:19], v10, v30
	v_cndmask_b32_e64 v75, v76, v75, s[14:15]
	v_cmp_lt_i32_e64 s[14:15], v9, v31
	s_or_b64 s[16:17], s[18:19], s[16:17]
	s_and_b64 s[14:15], s[14:15], s[16:17]
	v_cndmask_b32_e64 v9, v10, v9, s[14:15]
	s_barrier
	ds_write2_b64 v66, v[1:2], v[3:4] offset1:1
	v_lshlrev_b32_e32 v1, 3, v75
	v_lshlrev_b32_e32 v3, 3, v9
	s_waitcnt lgkmcnt(0)
	s_barrier
	ds_read_b64 v[1:2], v1
	ds_read_b64 v[3:4], v3
	v_cndmask_b32_e64 v8, v8, v12, s[14:15]
	v_cndmask_b32_e64 v7, v7, v11, s[14:15]
	s_waitcnt lgkmcnt(0)
	s_barrier
	ds_write2_b64 v66, v[5:6], v[7:8] offset1:1
	v_mov_b32_e32 v7, v46
	s_waitcnt lgkmcnt(0)
	s_barrier
	s_and_saveexec_b64 s[16:17], s[10:11]
	s_cbranch_execz .LBB143_54
; %bb.51:                               ;   in Loop: Header=BB143_2 Depth=1
	s_mov_b64 s[18:19], 0
	v_mov_b32_e32 v7, v46
	v_mov_b32_e32 v5, v47
.LBB143_52:                             ;   Parent Loop BB143_2 Depth=1
                                        ; =>  This Inner Loop Header: Depth=2
	v_sub_u32_e32 v6, v5, v7
	v_lshrrev_b32_e32 v6, 1, v6
	v_add_u32_e32 v6, v6, v7
	v_not_b32_e32 v9, v6
	v_lshl_add_u32 v8, v6, 3, v73
	v_lshl_add_u32 v10, v9, 3, v65
	ds_read_b64 v[8:9], v8
	ds_read_b64 v[10:11], v10
	v_add_u32_e32 v12, 1, v6
	s_waitcnt lgkmcnt(0)
	v_cmp_lt_i64_e64 s[14:15], v[10:11], v[8:9]
	v_cndmask_b32_e64 v5, v5, v6, s[14:15]
	v_cndmask_b32_e64 v7, v12, v7, s[14:15]
	v_cmp_ge_i32_e64 s[14:15], v7, v5
	s_or_b64 s[18:19], s[14:15], s[18:19]
	s_andn2_b64 exec, exec, s[18:19]
	s_cbranch_execnz .LBB143_52
; %bb.53:                               ;   in Loop: Header=BB143_2 Depth=1
	s_or_b64 exec, exec, s[18:19]
.LBB143_54:                             ;   in Loop: Header=BB143_2 Depth=1
	s_or_b64 exec, exec, s[16:17]
	v_sub_u32_e32 v75, v64, v7
	v_lshl_add_u32 v11, v7, 3, v73
	v_lshlrev_b32_e32 v77, 3, v75
	ds_read_b64 v[5:6], v11
	ds_read_b64 v[9:10], v77
	v_add_u32_e32 v76, v7, v19
	v_cmp_le_i32_e64 s[18:19], v32, v76
	v_cmp_gt_i32_e64 s[14:15], v33, v75
                                        ; implicit-def: $vgpr7_vgpr8
	s_waitcnt lgkmcnt(0)
	v_cmp_lt_i64_e64 s[16:17], v[9:10], v[5:6]
	s_or_b64 s[16:17], s[18:19], s[16:17]
	s_and_b64 s[14:15], s[14:15], s[16:17]
	s_xor_b64 s[16:17], s[14:15], -1
	s_and_saveexec_b64 s[18:19], s[16:17]
	s_xor_b64 s[16:17], exec, s[18:19]
; %bb.55:                               ;   in Loop: Header=BB143_2 Depth=1
	ds_read_b64 v[7:8], v11 offset:8
                                        ; implicit-def: $vgpr77
; %bb.56:                               ;   in Loop: Header=BB143_2 Depth=1
	s_or_saveexec_b64 s[16:17], s[16:17]
	v_mov_b32_e32 v12, v10
	v_mov_b32_e32 v11, v9
	s_xor_b64 exec, exec, s[16:17]
	s_cbranch_execz .LBB143_58
; %bb.57:                               ;   in Loop: Header=BB143_2 Depth=1
	ds_read_b64 v[11:12], v77 offset:8
	s_waitcnt lgkmcnt(1)
	v_mov_b32_e32 v8, v6
	v_mov_b32_e32 v7, v5
.LBB143_58:                             ;   in Loop: Header=BB143_2 Depth=1
	s_or_b64 exec, exec, s[16:17]
	v_cndmask_b32_e64 v6, v6, v10, s[14:15]
	v_add_u32_e32 v10, 1, v76
	v_cndmask_b32_e64 v5, v5, v9, s[14:15]
	v_add_u32_e32 v9, 1, v75
	v_cndmask_b32_e64 v10, v10, v76, s[14:15]
	s_waitcnt lgkmcnt(0)
	v_cmp_lt_i64_e64 s[16:17], v[11:12], v[7:8]
	v_cndmask_b32_e64 v9, v75, v9, s[14:15]
	v_cmp_ge_i32_e64 s[18:19], v10, v32
	v_cndmask_b32_e64 v75, v76, v75, s[14:15]
	v_cmp_lt_i32_e64 s[14:15], v9, v33
	s_or_b64 s[16:17], s[18:19], s[16:17]
	s_and_b64 s[14:15], s[14:15], s[16:17]
	v_cndmask_b32_e64 v9, v10, v9, s[14:15]
	s_barrier
	ds_write2_b64 v66, v[1:2], v[3:4] offset1:1
	v_lshlrev_b32_e32 v1, 3, v75
	v_lshlrev_b32_e32 v3, 3, v9
	s_waitcnt lgkmcnt(0)
	s_barrier
	ds_read_b64 v[1:2], v1
	ds_read_b64 v[3:4], v3
	v_cndmask_b32_e64 v8, v8, v12, s[14:15]
	v_cndmask_b32_e64 v7, v7, v11, s[14:15]
	v_mov_b32_e32 v75, v49
	s_waitcnt lgkmcnt(0)
	s_barrier
	ds_write2_b64 v66, v[5:6], v[7:8] offset1:1
	s_waitcnt lgkmcnt(0)
	s_barrier
	s_and_saveexec_b64 s[16:17], s[12:13]
	s_cbranch_execz .LBB143_62
; %bb.59:                               ;   in Loop: Header=BB143_2 Depth=1
	s_mov_b64 s[18:19], 0
	v_mov_b32_e32 v75, v49
	v_mov_b32_e32 v5, v50
.LBB143_60:                             ;   Parent Loop BB143_2 Depth=1
                                        ; =>  This Inner Loop Header: Depth=2
	v_sub_u32_e32 v6, v5, v75
	v_lshrrev_b32_e32 v6, 1, v6
	v_add_u32_e32 v10, v6, v75
	v_not_b32_e32 v7, v10
	v_lshlrev_b32_e32 v6, 3, v10
	v_lshl_add_u32 v8, v7, 3, v74
	ds_read_b64 v[6:7], v6
	ds_read_b64 v[8:9], v8
	v_add_u32_e32 v11, 1, v10
	s_waitcnt lgkmcnt(0)
	v_cmp_lt_i64_e64 s[14:15], v[8:9], v[6:7]
	v_cndmask_b32_e64 v5, v5, v10, s[14:15]
	v_cndmask_b32_e64 v75, v11, v75, s[14:15]
	v_cmp_ge_i32_e64 s[14:15], v75, v5
	s_or_b64 s[18:19], s[14:15], s[18:19]
	s_andn2_b64 exec, exec, s[18:19]
	s_cbranch_execnz .LBB143_60
; %bb.61:                               ;   in Loop: Header=BB143_2 Depth=1
	s_or_b64 exec, exec, s[18:19]
.LBB143_62:                             ;   in Loop: Header=BB143_2 Depth=1
	s_or_b64 exec, exec, s[16:17]
	v_sub_u32_e32 v76, v51, v75
	v_lshlrev_b32_e32 v11, 3, v75
	v_lshlrev_b32_e32 v79, 3, v76
	ds_read_b64 v[5:6], v11
	ds_read_b64 v[7:8], v79
	v_cmp_le_i32_e64 s[18:19], v48, v75
	v_cmp_gt_i32_e64 s[14:15], s26, v76
                                        ; implicit-def: $vgpr9_vgpr10
                                        ; implicit-def: $vgpr77
	s_waitcnt lgkmcnt(0)
	v_cmp_lt_i64_e64 s[16:17], v[7:8], v[5:6]
	s_or_b64 s[16:17], s[18:19], s[16:17]
	s_and_b64 s[14:15], s[14:15], s[16:17]
	s_xor_b64 s[16:17], s[14:15], -1
	s_and_saveexec_b64 s[18:19], s[16:17]
	s_xor_b64 s[16:17], exec, s[18:19]
; %bb.63:                               ;   in Loop: Header=BB143_2 Depth=1
	ds_read_b64 v[9:10], v11 offset:8
	v_add_u32_e32 v77, 1, v75
                                        ; implicit-def: $vgpr79
; %bb.64:                               ;   in Loop: Header=BB143_2 Depth=1
	s_or_saveexec_b64 s[16:17], s[16:17]
	v_mov_b32_e32 v12, v8
	v_mov_b32_e32 v78, v75
	;; [unrolled: 1-line block ×3, first 2 shown]
	s_xor_b64 exec, exec, s[16:17]
	s_cbranch_execz .LBB143_1
; %bb.65:                               ;   in Loop: Header=BB143_2 Depth=1
	ds_read_b64 v[11:12], v79 offset:8
	s_waitcnt lgkmcnt(1)
	v_add_u32_e32 v9, 1, v76
	v_mov_b32_e32 v78, v76
	v_mov_b32_e32 v76, v9
	;; [unrolled: 1-line block ×5, first 2 shown]
	s_branch .LBB143_1
.LBB143_66:
	s_waitcnt lgkmcnt(1)
	v_add_co_u32_e32 v1, vcc, v5, v1
	v_addc_co_u32_e32 v2, vcc, v6, v2, vcc
	s_add_u32 s0, s22, s24
	s_waitcnt lgkmcnt(0)
	v_add_co_u32_e32 v3, vcc, v7, v3
	s_addc_u32 s1, s23, s25
	v_lshlrev_b32_e32 v0, 3, v0
	v_addc_co_u32_e32 v4, vcc, v8, v4, vcc
	global_store_dwordx2 v0, v[1:2], s[0:1]
	global_store_dwordx2 v0, v[3:4], s[0:1] offset:2048
	s_endpgm
	.section	.rodata,"a",@progbits
	.p2align	6, 0x0
	.amdhsa_kernel _Z17sort_pairs_kernelIxLj256ELj2EN10test_utils4lessELj10EEvPKT_PS2_T2_
		.amdhsa_group_segment_fixed_size 4104
		.amdhsa_private_segment_fixed_size 0
		.amdhsa_kernarg_size 20
		.amdhsa_user_sgpr_count 6
		.amdhsa_user_sgpr_private_segment_buffer 1
		.amdhsa_user_sgpr_dispatch_ptr 0
		.amdhsa_user_sgpr_queue_ptr 0
		.amdhsa_user_sgpr_kernarg_segment_ptr 1
		.amdhsa_user_sgpr_dispatch_id 0
		.amdhsa_user_sgpr_flat_scratch_init 0
		.amdhsa_user_sgpr_private_segment_size 0
		.amdhsa_uses_dynamic_stack 0
		.amdhsa_system_sgpr_private_segment_wavefront_offset 0
		.amdhsa_system_sgpr_workgroup_id_x 1
		.amdhsa_system_sgpr_workgroup_id_y 0
		.amdhsa_system_sgpr_workgroup_id_z 0
		.amdhsa_system_sgpr_workgroup_info 0
		.amdhsa_system_vgpr_workitem_id 0
		.amdhsa_next_free_vgpr 80
		.amdhsa_next_free_sgpr 28
		.amdhsa_reserve_vcc 1
		.amdhsa_reserve_flat_scratch 0
		.amdhsa_float_round_mode_32 0
		.amdhsa_float_round_mode_16_64 0
		.amdhsa_float_denorm_mode_32 3
		.amdhsa_float_denorm_mode_16_64 3
		.amdhsa_dx10_clamp 1
		.amdhsa_ieee_mode 1
		.amdhsa_fp16_overflow 0
		.amdhsa_exception_fp_ieee_invalid_op 0
		.amdhsa_exception_fp_denorm_src 0
		.amdhsa_exception_fp_ieee_div_zero 0
		.amdhsa_exception_fp_ieee_overflow 0
		.amdhsa_exception_fp_ieee_underflow 0
		.amdhsa_exception_fp_ieee_inexact 0
		.amdhsa_exception_int_div_zero 0
	.end_amdhsa_kernel
	.section	.text._Z17sort_pairs_kernelIxLj256ELj2EN10test_utils4lessELj10EEvPKT_PS2_T2_,"axG",@progbits,_Z17sort_pairs_kernelIxLj256ELj2EN10test_utils4lessELj10EEvPKT_PS2_T2_,comdat
.Lfunc_end143:
	.size	_Z17sort_pairs_kernelIxLj256ELj2EN10test_utils4lessELj10EEvPKT_PS2_T2_, .Lfunc_end143-_Z17sort_pairs_kernelIxLj256ELj2EN10test_utils4lessELj10EEvPKT_PS2_T2_
                                        ; -- End function
	.set _Z17sort_pairs_kernelIxLj256ELj2EN10test_utils4lessELj10EEvPKT_PS2_T2_.num_vgpr, 80
	.set _Z17sort_pairs_kernelIxLj256ELj2EN10test_utils4lessELj10EEvPKT_PS2_T2_.num_agpr, 0
	.set _Z17sort_pairs_kernelIxLj256ELj2EN10test_utils4lessELj10EEvPKT_PS2_T2_.numbered_sgpr, 28
	.set _Z17sort_pairs_kernelIxLj256ELj2EN10test_utils4lessELj10EEvPKT_PS2_T2_.num_named_barrier, 0
	.set _Z17sort_pairs_kernelIxLj256ELj2EN10test_utils4lessELj10EEvPKT_PS2_T2_.private_seg_size, 0
	.set _Z17sort_pairs_kernelIxLj256ELj2EN10test_utils4lessELj10EEvPKT_PS2_T2_.uses_vcc, 1
	.set _Z17sort_pairs_kernelIxLj256ELj2EN10test_utils4lessELj10EEvPKT_PS2_T2_.uses_flat_scratch, 0
	.set _Z17sort_pairs_kernelIxLj256ELj2EN10test_utils4lessELj10EEvPKT_PS2_T2_.has_dyn_sized_stack, 0
	.set _Z17sort_pairs_kernelIxLj256ELj2EN10test_utils4lessELj10EEvPKT_PS2_T2_.has_recursion, 0
	.set _Z17sort_pairs_kernelIxLj256ELj2EN10test_utils4lessELj10EEvPKT_PS2_T2_.has_indirect_call, 0
	.section	.AMDGPU.csdata,"",@progbits
; Kernel info:
; codeLenInByte = 4368
; TotalNumSgprs: 32
; NumVgprs: 80
; ScratchSize: 0
; MemoryBound: 0
; FloatMode: 240
; IeeeMode: 1
; LDSByteSize: 4104 bytes/workgroup (compile time only)
; SGPRBlocks: 3
; VGPRBlocks: 19
; NumSGPRsForWavesPerEU: 32
; NumVGPRsForWavesPerEU: 80
; Occupancy: 3
; WaveLimiterHint : 1
; COMPUTE_PGM_RSRC2:SCRATCH_EN: 0
; COMPUTE_PGM_RSRC2:USER_SGPR: 6
; COMPUTE_PGM_RSRC2:TRAP_HANDLER: 0
; COMPUTE_PGM_RSRC2:TGID_X_EN: 1
; COMPUTE_PGM_RSRC2:TGID_Y_EN: 0
; COMPUTE_PGM_RSRC2:TGID_Z_EN: 0
; COMPUTE_PGM_RSRC2:TIDIG_COMP_CNT: 0
	.section	.text._Z16sort_keys_kernelIxLj256ELj3EN10test_utils4lessELj10EEvPKT_PS2_T2_,"axG",@progbits,_Z16sort_keys_kernelIxLj256ELj3EN10test_utils4lessELj10EEvPKT_PS2_T2_,comdat
	.protected	_Z16sort_keys_kernelIxLj256ELj3EN10test_utils4lessELj10EEvPKT_PS2_T2_ ; -- Begin function _Z16sort_keys_kernelIxLj256ELj3EN10test_utils4lessELj10EEvPKT_PS2_T2_
	.globl	_Z16sort_keys_kernelIxLj256ELj3EN10test_utils4lessELj10EEvPKT_PS2_T2_
	.p2align	8
	.type	_Z16sort_keys_kernelIxLj256ELj3EN10test_utils4lessELj10EEvPKT_PS2_T2_,@function
_Z16sort_keys_kernelIxLj256ELj3EN10test_utils4lessELj10EEvPKT_PS2_T2_: ; @_Z16sort_keys_kernelIxLj256ELj3EN10test_utils4lessELj10EEvPKT_PS2_T2_
; %bb.0:
	v_and_b32_e32 v4, 0xfc, v0
	v_mul_u32_u24_e32 v12, 3, v4
	s_load_dwordx4 s[20:23], s[4:5], 0x0
	v_min_u32_e32 v4, 0x2f4, v12
	v_add_u32_e32 v16, 12, v4
	v_and_b32_e32 v4, 0xf8, v0
	v_mul_u32_u24_e32 v39, 3, v4
	s_mul_i32 s24, s6, 0x300
	s_mov_b32 s25, 0
	v_min_u32_e32 v4, 0x2e8, v39
	s_lshl_b64 s[26:27], s[24:25], 3
	v_add_u32_e32 v17, 24, v4
	v_and_b32_e32 v4, 0xf0, v0
	s_waitcnt lgkmcnt(0)
	s_add_u32 s0, s20, s26
	v_mul_u32_u24_e32 v45, 3, v4
	s_addc_u32 s1, s21, s27
	v_lshlrev_b32_e32 v9, 3, v0
	v_min_u32_e32 v4, 0x2d0, v45
	v_mov_b32_e32 v1, s1
	v_add_co_u32_e32 v2, vcc, s0, v9
	v_add_u32_e32 v19, 48, v4
	v_and_b32_e32 v4, 0xe0, v0
	v_addc_co_u32_e32 v1, vcc, 0, v1, vcc
	s_movk_i32 s2, 0x1000
	v_mul_u32_u24_e32 v51, 3, v4
	v_add_co_u32_e32 v7, vcc, s2, v2
	v_min_u32_e32 v4, 0x2a0, v51
	v_addc_co_u32_e32 v8, vcc, 0, v1, vcc
	v_and_b32_e32 v1, 0xfe, v0
	v_add_u32_e32 v21, 0x60, v4
	v_and_b32_e32 v4, 0xc0, v0
	v_mul_u32_u24_e32 v1, 3, v1
	v_and_b32_e32 v2, 1, v0
	v_mul_u32_u24_e32 v57, 3, v4
	v_cmp_eq_u32_e32 vcc, 1, v2
	v_min_u32_e32 v11, 0x2fd, v1
	v_min_u32_e32 v2, 0x2fa, v1
	;; [unrolled: 1-line block ×3, first 2 shown]
	v_add_u32_e32 v13, 3, v11
	v_add_u32_e32 v14, 6, v2
	;; [unrolled: 1-line block ×3, first 2 shown]
	v_and_b32_e32 v4, 0x80, v0
	v_cndmask_b32_e64 v10, 0, 3, vcc
	v_sub_u32_e32 v2, v14, v13
	v_mul_u32_u24_e32 v63, 3, v4
	v_sub_u32_e32 v3, v10, v2
	v_min_u32_e32 v4, 0x180, v63
	v_cmp_ge_i32_e32 vcc, v10, v2
	v_add_u32_e32 v25, 0x180, v4
	v_min_u32_e32 v27, 0x300, v1
	v_cndmask_b32_e32 v28, 0, v3, vcc
	global_load_dwordx2 v[1:2], v[7:8], off
	global_load_dwordx2 v[3:4], v9, s[0:1]
	global_load_dwordx2 v[5:6], v9, s[0:1] offset:2048
	v_min_u32_e32 v37, 0x2fa, v12
	v_and_b32_e32 v38, 3, v0
	v_add_u32_e32 v15, 6, v37
	v_mul_u32_u24_e32 v36, 3, v38
	v_sub_u32_e32 v34, v16, v15
	v_min_u32_e32 v43, 0x2f4, v39
	v_lshlrev_b32_e32 v7, 3, v10
	v_min_u32_e32 v33, 0x300, v12
	v_sub_u32_e32 v35, v36, v34
	v_and_b32_e32 v44, 7, v0
	v_add_u32_e32 v18, 12, v43
	v_lshl_add_u32 v30, v11, 3, v7
	v_cmp_ge_i32_e64 s[0:1], v36, v34
	v_sub_u32_e32 v7, v15, v33
	v_mul_u32_u24_e32 v42, 3, v44
	v_sub_u32_e32 v40, v17, v18
	v_min_u32_e32 v49, 0x2e8, v45
	v_cndmask_b32_e64 v34, 0, v35, s[0:1]
	v_min_i32_e32 v35, v36, v7
	v_lshlrev_b32_e32 v7, 3, v36
	v_min_u32_e32 v39, 0x300, v39
	v_sub_u32_e32 v41, v42, v40
	v_and_b32_e32 v50, 15, v0
	v_add_u32_e32 v20, 24, v49
	v_lshl_add_u32 v36, v37, 3, v7
	v_cmp_ge_i32_e64 s[2:3], v42, v40
	v_sub_u32_e32 v7, v18, v39
	v_mul_u32_u24_e32 v48, 3, v50
	v_sub_u32_e32 v46, v19, v20
	v_min_u32_e32 v55, 0x2d0, v51
	v_cndmask_b32_e64 v40, 0, v41, s[2:3]
	v_min_i32_e32 v41, v42, v7
	;; [unrolled: 13-line block ×4, first 2 shown]
	v_lshlrev_b32_e32 v7, 3, v54
	v_min_u32_e32 v57, 0x300, v57
	v_sub_u32_e32 v59, v60, v58
	v_and_b32_e32 v68, 0x7f, v0
	v_add_u32_e32 v26, 0xc0, v67
	v_lshl_add_u32 v54, v55, 3, v7
	v_cmp_ge_i32_e64 s[8:9], v60, v58
	v_sub_u32_e32 v7, v24, v57
	v_mul_u32_u24_e32 v66, 3, v68
	v_sub_u32_e32 v64, v25, v26
	v_cndmask_b32_e64 v58, 0, v59, s[8:9]
	v_min_i32_e32 v59, v60, v7
	v_lshlrev_b32_e32 v7, 3, v60
	v_min_u32_e32 v63, 0x300, v63
	v_sub_u32_e32 v65, v66, v64
	v_sub_u32_e32 v29, v13, v27
	v_lshl_add_u32 v60, v61, 3, v7
	v_cmp_ge_i32_e64 s[10:11], v66, v64
	v_sub_u32_e32 v7, v26, v63
	v_mov_b32_e32 v69, 0x180
	v_mul_u32_u24_e32 v70, 3, v0
	v_min_i32_e32 v29, v10, v29
	v_cndmask_b32_e64 v64, 0, v65, s[10:11]
	v_min_i32_e32 v65, v66, v7
	v_lshlrev_b32_e32 v7, 3, v66
	v_sub_u32_e64 v71, v70, v69 clamp
	v_min_i32_e32 v72, 0x180, v70
	s_movk_i32 s24, 0x300
	v_cmp_lt_i32_e32 vcc, v28, v29
	v_add_u32_e32 v31, v11, v10
	v_add_u32_e32 v32, v13, v10
	v_cmp_lt_i32_e64 s[0:1], v34, v35
	v_mad_u32_u24 v37, v38, 3, v37
	v_mad_u32_u24 v38, v38, 3, v15
	v_cmp_lt_i32_e64 s[2:3], v40, v41
	v_mad_u32_u24 v43, v44, 3, v43
	v_mad_u32_u24 v44, v44, 3, v18
	;; [unrolled: 3-line block ×5, first 2 shown]
	v_cmp_lt_i32_e64 s[10:11], v64, v65
	v_lshl_add_u32 v66, v67, 3, v7
	v_mad_u32_u24 v67, v68, 3, v67
	v_mad_u32_u24 v68, v68, 3, v26
	v_cmp_lt_i32_e64 s[12:13], v71, v72
	v_mul_u32_u24_e32 v73, 24, v0
	v_lshlrev_b32_e32 v74, 3, v27
	v_lshlrev_b32_e32 v75, 3, v33
	v_lshlrev_b32_e32 v76, 3, v39
	v_lshlrev_b32_e32 v77, 3, v45
	v_lshlrev_b32_e32 v78, 3, v51
	v_lshlrev_b32_e32 v79, 3, v57
	v_lshlrev_b32_e32 v80, 3, v63
	s_branch .LBB144_2
.LBB144_1:                              ;   in Loop: Header=BB144_2 Depth=1
	s_or_b64 exec, exec, s[18:19]
	v_cndmask_b32_e64 v6, v6, v8, s[16:17]
	v_cndmask_b32_e64 v5, v5, v7, s[16:17]
	s_waitcnt lgkmcnt(0)
	v_cmp_lt_i64_e64 s[16:17], v[11:12], v[9:10]
	v_cmp_ge_i32_e64 s[18:19], v82, v69
	v_cndmask_b32_e64 v4, v2, v4, s[14:15]
	v_cndmask_b32_e64 v3, v1, v3, s[14:15]
	v_cmp_gt_i32_e64 s[14:15], s24, v81
	s_or_b64 s[16:17], s[18:19], s[16:17]
	s_and_b64 s[14:15], s[14:15], s[16:17]
	s_add_i32 s25, s25, 1
	v_cndmask_b32_e64 v2, v10, v12, s[14:15]
	s_cmp_eq_u32 s25, 10
	v_cndmask_b32_e64 v1, v9, v11, s[14:15]
	s_cbranch_scc1 .LBB144_98
.LBB144_2:                              ; =>This Loop Header: Depth=1
                                        ;     Child Loop BB144_4 Depth 2
                                        ;     Child Loop BB144_16 Depth 2
	;; [unrolled: 1-line block ×8, first 2 shown]
	s_waitcnt vmcnt(0)
	v_cmp_lt_i64_e64 s[14:15], v[5:6], v[3:4]
	v_cndmask_b32_e64 v8, v4, v6, s[14:15]
	v_cndmask_b32_e64 v7, v3, v5, s[14:15]
	v_cndmask_b32_e64 v9, v6, v4, s[14:15]
	v_cndmask_b32_e64 v10, v5, v3, s[14:15]
	v_cmp_gt_i64_e64 s[14:15], v[5:6], v[3:4]
	s_barrier
	v_cndmask_b32_e64 v4, v4, v6, s[14:15]
	v_cndmask_b32_e64 v3, v3, v5, s[14:15]
	v_cmp_lt_i64_e64 s[14:15], v[1:2], v[3:4]
	v_cndmask_b32_e64 v6, v2, v4, s[14:15]
	v_cndmask_b32_e64 v5, v1, v3, s[14:15]
	;; [unrolled: 1-line block ×6, first 2 shown]
	v_cmp_lt_i64_e64 s[14:15], v[1:2], v[7:8]
	v_cndmask_b32_e64 v2, v9, v8, s[14:15]
	v_cndmask_b32_e64 v1, v10, v7, s[14:15]
	;; [unrolled: 1-line block ×4, first 2 shown]
	ds_write2_b64 v73, v[3:4], v[1:2] offset1:1
	ds_write_b64 v73, v[5:6] offset:16
	v_mov_b32_e32 v5, v28
	s_waitcnt lgkmcnt(0)
	s_barrier
	s_and_saveexec_b64 s[16:17], vcc
	s_cbranch_execz .LBB144_6
; %bb.3:                                ;   in Loop: Header=BB144_2 Depth=1
	s_mov_b64 s[18:19], 0
	v_mov_b32_e32 v5, v28
	v_mov_b32_e32 v1, v29
.LBB144_4:                              ;   Parent Loop BB144_2 Depth=1
                                        ; =>  This Inner Loop Header: Depth=2
	v_sub_u32_e32 v2, v1, v5
	v_lshrrev_b32_e32 v2, 1, v2
	v_add_u32_e32 v4, v2, v5
	v_not_b32_e32 v3, v4
	v_lshl_add_u32 v2, v4, 3, v74
	v_lshl_add_u32 v6, v3, 3, v30
	ds_read_b64 v[2:3], v2
	ds_read_b64 v[6:7], v6 offset:24
	v_add_u32_e32 v8, 1, v4
	s_waitcnt lgkmcnt(0)
	v_cmp_lt_i64_e64 s[14:15], v[6:7], v[2:3]
	v_cndmask_b32_e64 v1, v1, v4, s[14:15]
	v_cndmask_b32_e64 v5, v8, v5, s[14:15]
	v_cmp_ge_i32_e64 s[14:15], v5, v1
	s_or_b64 s[18:19], s[14:15], s[18:19]
	s_andn2_b64 exec, exec, s[18:19]
	s_cbranch_execnz .LBB144_4
; %bb.5:                                ;   in Loop: Header=BB144_2 Depth=1
	s_or_b64 exec, exec, s[18:19]
.LBB144_6:                              ;   in Loop: Header=BB144_2 Depth=1
	s_or_b64 exec, exec, s[16:17]
	v_lshl_add_u32 v7, v5, 3, v74
	v_sub_u32_e32 v1, v31, v5
	v_lshlrev_b32_e32 v11, 3, v1
	ds_read_b64 v[1:2], v7
	ds_read_b64 v[3:4], v11 offset:24
	v_add_u32_e32 v9, v5, v27
	v_sub_u32_e32 v10, v32, v5
	v_cmp_le_i32_e64 s[18:19], v13, v9
	v_cmp_gt_i32_e64 s[14:15], v14, v10
	s_waitcnt lgkmcnt(0)
	v_cmp_lt_i64_e64 s[16:17], v[3:4], v[1:2]
                                        ; implicit-def: $vgpr5_vgpr6
	s_or_b64 s[16:17], s[18:19], s[16:17]
	s_and_b64 s[14:15], s[14:15], s[16:17]
	s_xor_b64 s[16:17], s[14:15], -1
	s_and_saveexec_b64 s[18:19], s[16:17]
	s_xor_b64 s[16:17], exec, s[18:19]
; %bb.7:                                ;   in Loop: Header=BB144_2 Depth=1
	ds_read_b64 v[5:6], v7 offset:8
                                        ; implicit-def: $vgpr11
; %bb.8:                                ;   in Loop: Header=BB144_2 Depth=1
	s_or_saveexec_b64 s[16:17], s[16:17]
	v_mov_b32_e32 v8, v4
	v_mov_b32_e32 v7, v3
	s_xor_b64 exec, exec, s[16:17]
	s_cbranch_execz .LBB144_10
; %bb.9:                                ;   in Loop: Header=BB144_2 Depth=1
	ds_read_b64 v[7:8], v11 offset:32
	s_waitcnt lgkmcnt(1)
	v_mov_b32_e32 v6, v2
	v_mov_b32_e32 v5, v1
.LBB144_10:                             ;   in Loop: Header=BB144_2 Depth=1
	s_or_b64 exec, exec, s[16:17]
	v_add_u32_e32 v12, 1, v9
	v_add_u32_e32 v11, 1, v10
	v_cndmask_b32_e64 v82, v12, v9, s[14:15]
	s_waitcnt lgkmcnt(0)
	v_cmp_lt_i64_e64 s[18:19], v[7:8], v[5:6]
	v_cndmask_b32_e64 v81, v10, v11, s[14:15]
	v_cmp_ge_i32_e64 s[20:21], v82, v13
	v_cmp_lt_i32_e64 s[16:17], v81, v14
	s_or_b64 s[18:19], s[20:21], s[18:19]
	s_and_b64 s[16:17], s[16:17], s[18:19]
	s_xor_b64 s[18:19], s[16:17], -1
                                        ; implicit-def: $vgpr9_vgpr10
	s_and_saveexec_b64 s[20:21], s[18:19]
	s_xor_b64 s[18:19], exec, s[20:21]
; %bb.11:                               ;   in Loop: Header=BB144_2 Depth=1
	v_lshlrev_b32_e32 v9, 3, v82
	ds_read_b64 v[9:10], v9 offset:8
; %bb.12:                               ;   in Loop: Header=BB144_2 Depth=1
	s_or_saveexec_b64 s[18:19], s[18:19]
	v_mov_b32_e32 v12, v8
	v_mov_b32_e32 v11, v7
	s_xor_b64 exec, exec, s[18:19]
	s_cbranch_execz .LBB144_14
; %bb.13:                               ;   in Loop: Header=BB144_2 Depth=1
	s_waitcnt lgkmcnt(0)
	v_lshlrev_b32_e32 v9, 3, v81
	ds_read_b64 v[11:12], v9 offset:8
	v_mov_b32_e32 v10, v6
	v_mov_b32_e32 v9, v5
.LBB144_14:                             ;   in Loop: Header=BB144_2 Depth=1
	s_or_b64 exec, exec, s[18:19]
	v_cndmask_b32_e64 v6, v6, v8, s[16:17]
	v_cndmask_b32_e64 v5, v5, v7, s[16:17]
	v_add_u32_e32 v7, 1, v81
	v_add_u32_e32 v8, 1, v82
	v_cndmask_b32_e64 v7, v81, v7, s[16:17]
	v_cndmask_b32_e64 v8, v8, v82, s[16:17]
	s_waitcnt lgkmcnt(0)
	v_cmp_lt_i64_e64 s[16:17], v[11:12], v[9:10]
	v_cmp_ge_i32_e64 s[18:19], v8, v13
	v_cndmask_b32_e64 v2, v2, v4, s[14:15]
	v_cndmask_b32_e64 v1, v1, v3, s[14:15]
	v_cmp_lt_i32_e64 s[14:15], v7, v14
	s_or_b64 s[16:17], s[18:19], s[16:17]
	s_and_b64 s[14:15], s[14:15], s[16:17]
	v_cndmask_b32_e64 v4, v10, v12, s[14:15]
	v_cndmask_b32_e64 v3, v9, v11, s[14:15]
	s_barrier
	ds_write2_b64 v73, v[1:2], v[5:6] offset1:1
	ds_write_b64 v73, v[3:4] offset:16
	v_mov_b32_e32 v5, v34
	s_waitcnt lgkmcnt(0)
	s_barrier
	s_and_saveexec_b64 s[16:17], s[0:1]
	s_cbranch_execz .LBB144_18
; %bb.15:                               ;   in Loop: Header=BB144_2 Depth=1
	s_mov_b64 s[18:19], 0
	v_mov_b32_e32 v5, v34
	v_mov_b32_e32 v1, v35
.LBB144_16:                             ;   Parent Loop BB144_2 Depth=1
                                        ; =>  This Inner Loop Header: Depth=2
	v_sub_u32_e32 v2, v1, v5
	v_lshrrev_b32_e32 v2, 1, v2
	v_add_u32_e32 v4, v2, v5
	v_not_b32_e32 v3, v4
	v_lshl_add_u32 v2, v4, 3, v75
	v_lshl_add_u32 v6, v3, 3, v36
	ds_read_b64 v[2:3], v2
	ds_read_b64 v[6:7], v6 offset:48
	v_add_u32_e32 v8, 1, v4
	s_waitcnt lgkmcnt(0)
	v_cmp_lt_i64_e64 s[14:15], v[6:7], v[2:3]
	v_cndmask_b32_e64 v1, v1, v4, s[14:15]
	v_cndmask_b32_e64 v5, v8, v5, s[14:15]
	v_cmp_ge_i32_e64 s[14:15], v5, v1
	s_or_b64 s[18:19], s[14:15], s[18:19]
	s_andn2_b64 exec, exec, s[18:19]
	s_cbranch_execnz .LBB144_16
; %bb.17:                               ;   in Loop: Header=BB144_2 Depth=1
	s_or_b64 exec, exec, s[18:19]
.LBB144_18:                             ;   in Loop: Header=BB144_2 Depth=1
	s_or_b64 exec, exec, s[16:17]
	v_lshl_add_u32 v7, v5, 3, v75
	v_sub_u32_e32 v1, v37, v5
	v_lshlrev_b32_e32 v11, 3, v1
	ds_read_b64 v[1:2], v7
	ds_read_b64 v[3:4], v11 offset:48
	v_add_u32_e32 v9, v5, v33
	v_sub_u32_e32 v10, v38, v5
	v_cmp_le_i32_e64 s[18:19], v15, v9
	v_cmp_gt_i32_e64 s[14:15], v16, v10
	s_waitcnt lgkmcnt(0)
	v_cmp_lt_i64_e64 s[16:17], v[3:4], v[1:2]
                                        ; implicit-def: $vgpr5_vgpr6
	s_or_b64 s[16:17], s[18:19], s[16:17]
	s_and_b64 s[14:15], s[14:15], s[16:17]
	s_xor_b64 s[16:17], s[14:15], -1
	s_and_saveexec_b64 s[18:19], s[16:17]
	s_xor_b64 s[16:17], exec, s[18:19]
; %bb.19:                               ;   in Loop: Header=BB144_2 Depth=1
	ds_read_b64 v[5:6], v7 offset:8
                                        ; implicit-def: $vgpr11
; %bb.20:                               ;   in Loop: Header=BB144_2 Depth=1
	s_or_saveexec_b64 s[16:17], s[16:17]
	v_mov_b32_e32 v8, v4
	v_mov_b32_e32 v7, v3
	s_xor_b64 exec, exec, s[16:17]
	s_cbranch_execz .LBB144_22
; %bb.21:                               ;   in Loop: Header=BB144_2 Depth=1
	ds_read_b64 v[7:8], v11 offset:56
	s_waitcnt lgkmcnt(1)
	v_mov_b32_e32 v6, v2
	v_mov_b32_e32 v5, v1
.LBB144_22:                             ;   in Loop: Header=BB144_2 Depth=1
	s_or_b64 exec, exec, s[16:17]
	v_add_u32_e32 v12, 1, v9
	v_add_u32_e32 v11, 1, v10
	v_cndmask_b32_e64 v82, v12, v9, s[14:15]
	s_waitcnt lgkmcnt(0)
	v_cmp_lt_i64_e64 s[18:19], v[7:8], v[5:6]
	v_cndmask_b32_e64 v81, v10, v11, s[14:15]
	v_cmp_ge_i32_e64 s[20:21], v82, v15
	v_cmp_lt_i32_e64 s[16:17], v81, v16
	s_or_b64 s[18:19], s[20:21], s[18:19]
	s_and_b64 s[16:17], s[16:17], s[18:19]
	s_xor_b64 s[18:19], s[16:17], -1
                                        ; implicit-def: $vgpr9_vgpr10
	s_and_saveexec_b64 s[20:21], s[18:19]
	s_xor_b64 s[18:19], exec, s[20:21]
; %bb.23:                               ;   in Loop: Header=BB144_2 Depth=1
	v_lshlrev_b32_e32 v9, 3, v82
	ds_read_b64 v[9:10], v9 offset:8
; %bb.24:                               ;   in Loop: Header=BB144_2 Depth=1
	s_or_saveexec_b64 s[18:19], s[18:19]
	v_mov_b32_e32 v12, v8
	v_mov_b32_e32 v11, v7
	s_xor_b64 exec, exec, s[18:19]
	s_cbranch_execz .LBB144_26
; %bb.25:                               ;   in Loop: Header=BB144_2 Depth=1
	s_waitcnt lgkmcnt(0)
	v_lshlrev_b32_e32 v9, 3, v81
	ds_read_b64 v[11:12], v9 offset:8
	v_mov_b32_e32 v10, v6
	v_mov_b32_e32 v9, v5
.LBB144_26:                             ;   in Loop: Header=BB144_2 Depth=1
	s_or_b64 exec, exec, s[18:19]
	v_cndmask_b32_e64 v6, v6, v8, s[16:17]
	v_cndmask_b32_e64 v5, v5, v7, s[16:17]
	v_add_u32_e32 v7, 1, v81
	v_add_u32_e32 v8, 1, v82
	v_cndmask_b32_e64 v7, v81, v7, s[16:17]
	v_cndmask_b32_e64 v8, v8, v82, s[16:17]
	s_waitcnt lgkmcnt(0)
	v_cmp_lt_i64_e64 s[16:17], v[11:12], v[9:10]
	v_cmp_ge_i32_e64 s[18:19], v8, v15
	v_cndmask_b32_e64 v2, v2, v4, s[14:15]
	v_cndmask_b32_e64 v1, v1, v3, s[14:15]
	v_cmp_lt_i32_e64 s[14:15], v7, v16
	s_or_b64 s[16:17], s[18:19], s[16:17]
	s_and_b64 s[14:15], s[14:15], s[16:17]
	v_cndmask_b32_e64 v4, v10, v12, s[14:15]
	v_cndmask_b32_e64 v3, v9, v11, s[14:15]
	s_barrier
	ds_write2_b64 v73, v[1:2], v[5:6] offset1:1
	ds_write_b64 v73, v[3:4] offset:16
	v_mov_b32_e32 v5, v40
	s_waitcnt lgkmcnt(0)
	s_barrier
	s_and_saveexec_b64 s[16:17], s[2:3]
	s_cbranch_execz .LBB144_30
; %bb.27:                               ;   in Loop: Header=BB144_2 Depth=1
	s_mov_b64 s[18:19], 0
	v_mov_b32_e32 v5, v40
	v_mov_b32_e32 v1, v41
.LBB144_28:                             ;   Parent Loop BB144_2 Depth=1
                                        ; =>  This Inner Loop Header: Depth=2
	v_sub_u32_e32 v2, v1, v5
	v_lshrrev_b32_e32 v2, 1, v2
	v_add_u32_e32 v4, v2, v5
	v_not_b32_e32 v3, v4
	v_lshl_add_u32 v2, v4, 3, v76
	v_lshl_add_u32 v6, v3, 3, v42
	ds_read_b64 v[2:3], v2
	ds_read_b64 v[6:7], v6 offset:96
	v_add_u32_e32 v8, 1, v4
	s_waitcnt lgkmcnt(0)
	v_cmp_lt_i64_e64 s[14:15], v[6:7], v[2:3]
	v_cndmask_b32_e64 v1, v1, v4, s[14:15]
	v_cndmask_b32_e64 v5, v8, v5, s[14:15]
	v_cmp_ge_i32_e64 s[14:15], v5, v1
	s_or_b64 s[18:19], s[14:15], s[18:19]
	s_andn2_b64 exec, exec, s[18:19]
	s_cbranch_execnz .LBB144_28
; %bb.29:                               ;   in Loop: Header=BB144_2 Depth=1
	s_or_b64 exec, exec, s[18:19]
.LBB144_30:                             ;   in Loop: Header=BB144_2 Depth=1
	s_or_b64 exec, exec, s[16:17]
	v_lshl_add_u32 v7, v5, 3, v76
	v_sub_u32_e32 v1, v43, v5
	v_lshlrev_b32_e32 v11, 3, v1
	ds_read_b64 v[1:2], v7
	ds_read_b64 v[3:4], v11 offset:96
	v_add_u32_e32 v9, v5, v39
	v_sub_u32_e32 v10, v44, v5
	v_cmp_le_i32_e64 s[18:19], v18, v9
	v_cmp_gt_i32_e64 s[14:15], v17, v10
	s_waitcnt lgkmcnt(0)
	v_cmp_lt_i64_e64 s[16:17], v[3:4], v[1:2]
                                        ; implicit-def: $vgpr5_vgpr6
	s_or_b64 s[16:17], s[18:19], s[16:17]
	s_and_b64 s[14:15], s[14:15], s[16:17]
	s_xor_b64 s[16:17], s[14:15], -1
	s_and_saveexec_b64 s[18:19], s[16:17]
	s_xor_b64 s[16:17], exec, s[18:19]
; %bb.31:                               ;   in Loop: Header=BB144_2 Depth=1
	ds_read_b64 v[5:6], v7 offset:8
                                        ; implicit-def: $vgpr11
; %bb.32:                               ;   in Loop: Header=BB144_2 Depth=1
	s_or_saveexec_b64 s[16:17], s[16:17]
	v_mov_b32_e32 v8, v4
	v_mov_b32_e32 v7, v3
	s_xor_b64 exec, exec, s[16:17]
	s_cbranch_execz .LBB144_34
; %bb.33:                               ;   in Loop: Header=BB144_2 Depth=1
	ds_read_b64 v[7:8], v11 offset:104
	s_waitcnt lgkmcnt(1)
	v_mov_b32_e32 v6, v2
	v_mov_b32_e32 v5, v1
.LBB144_34:                             ;   in Loop: Header=BB144_2 Depth=1
	s_or_b64 exec, exec, s[16:17]
	v_add_u32_e32 v12, 1, v9
	v_add_u32_e32 v11, 1, v10
	v_cndmask_b32_e64 v82, v12, v9, s[14:15]
	s_waitcnt lgkmcnt(0)
	v_cmp_lt_i64_e64 s[18:19], v[7:8], v[5:6]
	v_cndmask_b32_e64 v81, v10, v11, s[14:15]
	v_cmp_ge_i32_e64 s[20:21], v82, v18
	v_cmp_lt_i32_e64 s[16:17], v81, v17
	s_or_b64 s[18:19], s[20:21], s[18:19]
	s_and_b64 s[16:17], s[16:17], s[18:19]
	s_xor_b64 s[18:19], s[16:17], -1
                                        ; implicit-def: $vgpr9_vgpr10
	s_and_saveexec_b64 s[20:21], s[18:19]
	s_xor_b64 s[18:19], exec, s[20:21]
; %bb.35:                               ;   in Loop: Header=BB144_2 Depth=1
	v_lshlrev_b32_e32 v9, 3, v82
	ds_read_b64 v[9:10], v9 offset:8
; %bb.36:                               ;   in Loop: Header=BB144_2 Depth=1
	s_or_saveexec_b64 s[18:19], s[18:19]
	v_mov_b32_e32 v12, v8
	v_mov_b32_e32 v11, v7
	s_xor_b64 exec, exec, s[18:19]
	s_cbranch_execz .LBB144_38
; %bb.37:                               ;   in Loop: Header=BB144_2 Depth=1
	s_waitcnt lgkmcnt(0)
	v_lshlrev_b32_e32 v9, 3, v81
	ds_read_b64 v[11:12], v9 offset:8
	v_mov_b32_e32 v10, v6
	v_mov_b32_e32 v9, v5
.LBB144_38:                             ;   in Loop: Header=BB144_2 Depth=1
	s_or_b64 exec, exec, s[18:19]
	v_cndmask_b32_e64 v6, v6, v8, s[16:17]
	v_cndmask_b32_e64 v5, v5, v7, s[16:17]
	v_add_u32_e32 v7, 1, v81
	v_add_u32_e32 v8, 1, v82
	v_cndmask_b32_e64 v7, v81, v7, s[16:17]
	v_cndmask_b32_e64 v8, v8, v82, s[16:17]
	s_waitcnt lgkmcnt(0)
	v_cmp_lt_i64_e64 s[16:17], v[11:12], v[9:10]
	v_cmp_ge_i32_e64 s[18:19], v8, v18
	v_cndmask_b32_e64 v2, v2, v4, s[14:15]
	v_cndmask_b32_e64 v1, v1, v3, s[14:15]
	v_cmp_lt_i32_e64 s[14:15], v7, v17
	s_or_b64 s[16:17], s[18:19], s[16:17]
	s_and_b64 s[14:15], s[14:15], s[16:17]
	v_cndmask_b32_e64 v4, v10, v12, s[14:15]
	v_cndmask_b32_e64 v3, v9, v11, s[14:15]
	s_barrier
	ds_write2_b64 v73, v[1:2], v[5:6] offset1:1
	ds_write_b64 v73, v[3:4] offset:16
	v_mov_b32_e32 v5, v46
	s_waitcnt lgkmcnt(0)
	s_barrier
	s_and_saveexec_b64 s[16:17], s[4:5]
	s_cbranch_execz .LBB144_42
; %bb.39:                               ;   in Loop: Header=BB144_2 Depth=1
	s_mov_b64 s[18:19], 0
	v_mov_b32_e32 v5, v46
	v_mov_b32_e32 v1, v47
.LBB144_40:                             ;   Parent Loop BB144_2 Depth=1
                                        ; =>  This Inner Loop Header: Depth=2
	v_sub_u32_e32 v2, v1, v5
	v_lshrrev_b32_e32 v2, 1, v2
	v_add_u32_e32 v4, v2, v5
	v_not_b32_e32 v3, v4
	v_lshl_add_u32 v2, v4, 3, v77
	v_lshl_add_u32 v6, v3, 3, v48
	ds_read_b64 v[2:3], v2
	ds_read_b64 v[6:7], v6 offset:192
	v_add_u32_e32 v8, 1, v4
	s_waitcnt lgkmcnt(0)
	v_cmp_lt_i64_e64 s[14:15], v[6:7], v[2:3]
	v_cndmask_b32_e64 v1, v1, v4, s[14:15]
	v_cndmask_b32_e64 v5, v8, v5, s[14:15]
	v_cmp_ge_i32_e64 s[14:15], v5, v1
	s_or_b64 s[18:19], s[14:15], s[18:19]
	s_andn2_b64 exec, exec, s[18:19]
	s_cbranch_execnz .LBB144_40
; %bb.41:                               ;   in Loop: Header=BB144_2 Depth=1
	s_or_b64 exec, exec, s[18:19]
.LBB144_42:                             ;   in Loop: Header=BB144_2 Depth=1
	s_or_b64 exec, exec, s[16:17]
	v_lshl_add_u32 v7, v5, 3, v77
	v_sub_u32_e32 v1, v49, v5
	v_lshlrev_b32_e32 v11, 3, v1
	ds_read_b64 v[1:2], v7
	ds_read_b64 v[3:4], v11 offset:192
	v_add_u32_e32 v9, v5, v45
	v_sub_u32_e32 v10, v50, v5
	v_cmp_le_i32_e64 s[18:19], v20, v9
	v_cmp_gt_i32_e64 s[14:15], v19, v10
	s_waitcnt lgkmcnt(0)
	v_cmp_lt_i64_e64 s[16:17], v[3:4], v[1:2]
                                        ; implicit-def: $vgpr5_vgpr6
	s_or_b64 s[16:17], s[18:19], s[16:17]
	s_and_b64 s[14:15], s[14:15], s[16:17]
	s_xor_b64 s[16:17], s[14:15], -1
	s_and_saveexec_b64 s[18:19], s[16:17]
	s_xor_b64 s[16:17], exec, s[18:19]
; %bb.43:                               ;   in Loop: Header=BB144_2 Depth=1
	ds_read_b64 v[5:6], v7 offset:8
                                        ; implicit-def: $vgpr11
; %bb.44:                               ;   in Loop: Header=BB144_2 Depth=1
	s_or_saveexec_b64 s[16:17], s[16:17]
	v_mov_b32_e32 v8, v4
	v_mov_b32_e32 v7, v3
	s_xor_b64 exec, exec, s[16:17]
	s_cbranch_execz .LBB144_46
; %bb.45:                               ;   in Loop: Header=BB144_2 Depth=1
	ds_read_b64 v[7:8], v11 offset:200
	s_waitcnt lgkmcnt(1)
	v_mov_b32_e32 v6, v2
	v_mov_b32_e32 v5, v1
.LBB144_46:                             ;   in Loop: Header=BB144_2 Depth=1
	s_or_b64 exec, exec, s[16:17]
	v_add_u32_e32 v12, 1, v9
	v_add_u32_e32 v11, 1, v10
	v_cndmask_b32_e64 v82, v12, v9, s[14:15]
	s_waitcnt lgkmcnt(0)
	v_cmp_lt_i64_e64 s[18:19], v[7:8], v[5:6]
	v_cndmask_b32_e64 v81, v10, v11, s[14:15]
	v_cmp_ge_i32_e64 s[20:21], v82, v20
	v_cmp_lt_i32_e64 s[16:17], v81, v19
	s_or_b64 s[18:19], s[20:21], s[18:19]
	s_and_b64 s[16:17], s[16:17], s[18:19]
	s_xor_b64 s[18:19], s[16:17], -1
                                        ; implicit-def: $vgpr9_vgpr10
	s_and_saveexec_b64 s[20:21], s[18:19]
	s_xor_b64 s[18:19], exec, s[20:21]
; %bb.47:                               ;   in Loop: Header=BB144_2 Depth=1
	v_lshlrev_b32_e32 v9, 3, v82
	ds_read_b64 v[9:10], v9 offset:8
; %bb.48:                               ;   in Loop: Header=BB144_2 Depth=1
	s_or_saveexec_b64 s[18:19], s[18:19]
	v_mov_b32_e32 v12, v8
	v_mov_b32_e32 v11, v7
	s_xor_b64 exec, exec, s[18:19]
	s_cbranch_execz .LBB144_50
; %bb.49:                               ;   in Loop: Header=BB144_2 Depth=1
	s_waitcnt lgkmcnt(0)
	v_lshlrev_b32_e32 v9, 3, v81
	ds_read_b64 v[11:12], v9 offset:8
	v_mov_b32_e32 v10, v6
	v_mov_b32_e32 v9, v5
.LBB144_50:                             ;   in Loop: Header=BB144_2 Depth=1
	s_or_b64 exec, exec, s[18:19]
	v_cndmask_b32_e64 v6, v6, v8, s[16:17]
	v_cndmask_b32_e64 v5, v5, v7, s[16:17]
	v_add_u32_e32 v7, 1, v81
	v_add_u32_e32 v8, 1, v82
	v_cndmask_b32_e64 v7, v81, v7, s[16:17]
	v_cndmask_b32_e64 v8, v8, v82, s[16:17]
	s_waitcnt lgkmcnt(0)
	v_cmp_lt_i64_e64 s[16:17], v[11:12], v[9:10]
	v_cmp_ge_i32_e64 s[18:19], v8, v20
	v_cndmask_b32_e64 v2, v2, v4, s[14:15]
	v_cndmask_b32_e64 v1, v1, v3, s[14:15]
	v_cmp_lt_i32_e64 s[14:15], v7, v19
	s_or_b64 s[16:17], s[18:19], s[16:17]
	s_and_b64 s[14:15], s[14:15], s[16:17]
	v_cndmask_b32_e64 v4, v10, v12, s[14:15]
	v_cndmask_b32_e64 v3, v9, v11, s[14:15]
	s_barrier
	ds_write2_b64 v73, v[1:2], v[5:6] offset1:1
	ds_write_b64 v73, v[3:4] offset:16
	v_mov_b32_e32 v5, v52
	s_waitcnt lgkmcnt(0)
	s_barrier
	s_and_saveexec_b64 s[16:17], s[6:7]
	s_cbranch_execz .LBB144_54
; %bb.51:                               ;   in Loop: Header=BB144_2 Depth=1
	s_mov_b64 s[18:19], 0
	v_mov_b32_e32 v5, v52
	v_mov_b32_e32 v1, v53
.LBB144_52:                             ;   Parent Loop BB144_2 Depth=1
                                        ; =>  This Inner Loop Header: Depth=2
	v_sub_u32_e32 v2, v1, v5
	v_lshrrev_b32_e32 v2, 1, v2
	v_add_u32_e32 v4, v2, v5
	v_not_b32_e32 v3, v4
	v_lshl_add_u32 v2, v4, 3, v78
	v_lshl_add_u32 v6, v3, 3, v54
	ds_read_b64 v[2:3], v2
	ds_read_b64 v[6:7], v6 offset:384
	v_add_u32_e32 v8, 1, v4
	s_waitcnt lgkmcnt(0)
	v_cmp_lt_i64_e64 s[14:15], v[6:7], v[2:3]
	v_cndmask_b32_e64 v1, v1, v4, s[14:15]
	v_cndmask_b32_e64 v5, v8, v5, s[14:15]
	v_cmp_ge_i32_e64 s[14:15], v5, v1
	s_or_b64 s[18:19], s[14:15], s[18:19]
	s_andn2_b64 exec, exec, s[18:19]
	s_cbranch_execnz .LBB144_52
; %bb.53:                               ;   in Loop: Header=BB144_2 Depth=1
	s_or_b64 exec, exec, s[18:19]
.LBB144_54:                             ;   in Loop: Header=BB144_2 Depth=1
	s_or_b64 exec, exec, s[16:17]
	v_lshl_add_u32 v7, v5, 3, v78
	v_sub_u32_e32 v1, v55, v5
	v_lshlrev_b32_e32 v11, 3, v1
	ds_read_b64 v[1:2], v7
	ds_read_b64 v[3:4], v11 offset:384
	v_add_u32_e32 v9, v5, v51
	v_sub_u32_e32 v10, v56, v5
	v_cmp_le_i32_e64 s[18:19], v22, v9
	v_cmp_gt_i32_e64 s[14:15], v21, v10
	s_waitcnt lgkmcnt(0)
	v_cmp_lt_i64_e64 s[16:17], v[3:4], v[1:2]
                                        ; implicit-def: $vgpr5_vgpr6
	s_or_b64 s[16:17], s[18:19], s[16:17]
	s_and_b64 s[14:15], s[14:15], s[16:17]
	s_xor_b64 s[16:17], s[14:15], -1
	s_and_saveexec_b64 s[18:19], s[16:17]
	s_xor_b64 s[16:17], exec, s[18:19]
; %bb.55:                               ;   in Loop: Header=BB144_2 Depth=1
	ds_read_b64 v[5:6], v7 offset:8
                                        ; implicit-def: $vgpr11
; %bb.56:                               ;   in Loop: Header=BB144_2 Depth=1
	s_or_saveexec_b64 s[16:17], s[16:17]
	v_mov_b32_e32 v8, v4
	v_mov_b32_e32 v7, v3
	s_xor_b64 exec, exec, s[16:17]
	s_cbranch_execz .LBB144_58
; %bb.57:                               ;   in Loop: Header=BB144_2 Depth=1
	ds_read_b64 v[7:8], v11 offset:392
	s_waitcnt lgkmcnt(1)
	v_mov_b32_e32 v6, v2
	v_mov_b32_e32 v5, v1
.LBB144_58:                             ;   in Loop: Header=BB144_2 Depth=1
	s_or_b64 exec, exec, s[16:17]
	v_add_u32_e32 v12, 1, v9
	v_add_u32_e32 v11, 1, v10
	v_cndmask_b32_e64 v82, v12, v9, s[14:15]
	s_waitcnt lgkmcnt(0)
	v_cmp_lt_i64_e64 s[18:19], v[7:8], v[5:6]
	v_cndmask_b32_e64 v81, v10, v11, s[14:15]
	v_cmp_ge_i32_e64 s[20:21], v82, v22
	v_cmp_lt_i32_e64 s[16:17], v81, v21
	s_or_b64 s[18:19], s[20:21], s[18:19]
	s_and_b64 s[16:17], s[16:17], s[18:19]
	s_xor_b64 s[18:19], s[16:17], -1
                                        ; implicit-def: $vgpr9_vgpr10
	s_and_saveexec_b64 s[20:21], s[18:19]
	s_xor_b64 s[18:19], exec, s[20:21]
; %bb.59:                               ;   in Loop: Header=BB144_2 Depth=1
	v_lshlrev_b32_e32 v9, 3, v82
	ds_read_b64 v[9:10], v9 offset:8
; %bb.60:                               ;   in Loop: Header=BB144_2 Depth=1
	s_or_saveexec_b64 s[18:19], s[18:19]
	v_mov_b32_e32 v12, v8
	v_mov_b32_e32 v11, v7
	s_xor_b64 exec, exec, s[18:19]
	s_cbranch_execz .LBB144_62
; %bb.61:                               ;   in Loop: Header=BB144_2 Depth=1
	s_waitcnt lgkmcnt(0)
	v_lshlrev_b32_e32 v9, 3, v81
	ds_read_b64 v[11:12], v9 offset:8
	v_mov_b32_e32 v10, v6
	v_mov_b32_e32 v9, v5
.LBB144_62:                             ;   in Loop: Header=BB144_2 Depth=1
	s_or_b64 exec, exec, s[18:19]
	v_cndmask_b32_e64 v6, v6, v8, s[16:17]
	v_cndmask_b32_e64 v5, v5, v7, s[16:17]
	v_add_u32_e32 v7, 1, v81
	v_add_u32_e32 v8, 1, v82
	v_cndmask_b32_e64 v7, v81, v7, s[16:17]
	v_cndmask_b32_e64 v8, v8, v82, s[16:17]
	s_waitcnt lgkmcnt(0)
	v_cmp_lt_i64_e64 s[16:17], v[11:12], v[9:10]
	v_cmp_ge_i32_e64 s[18:19], v8, v22
	v_cndmask_b32_e64 v2, v2, v4, s[14:15]
	v_cndmask_b32_e64 v1, v1, v3, s[14:15]
	v_cmp_lt_i32_e64 s[14:15], v7, v21
	s_or_b64 s[16:17], s[18:19], s[16:17]
	s_and_b64 s[14:15], s[14:15], s[16:17]
	v_cndmask_b32_e64 v4, v10, v12, s[14:15]
	v_cndmask_b32_e64 v3, v9, v11, s[14:15]
	s_barrier
	ds_write2_b64 v73, v[1:2], v[5:6] offset1:1
	ds_write_b64 v73, v[3:4] offset:16
	v_mov_b32_e32 v5, v58
	s_waitcnt lgkmcnt(0)
	s_barrier
	s_and_saveexec_b64 s[16:17], s[8:9]
	s_cbranch_execz .LBB144_66
; %bb.63:                               ;   in Loop: Header=BB144_2 Depth=1
	s_mov_b64 s[18:19], 0
	v_mov_b32_e32 v5, v58
	v_mov_b32_e32 v1, v59
.LBB144_64:                             ;   Parent Loop BB144_2 Depth=1
                                        ; =>  This Inner Loop Header: Depth=2
	v_sub_u32_e32 v2, v1, v5
	v_lshrrev_b32_e32 v2, 1, v2
	v_add_u32_e32 v4, v2, v5
	v_not_b32_e32 v3, v4
	v_lshl_add_u32 v2, v4, 3, v79
	v_lshl_add_u32 v6, v3, 3, v60
	ds_read_b64 v[2:3], v2
	ds_read_b64 v[6:7], v6 offset:768
	v_add_u32_e32 v8, 1, v4
	s_waitcnt lgkmcnt(0)
	v_cmp_lt_i64_e64 s[14:15], v[6:7], v[2:3]
	v_cndmask_b32_e64 v1, v1, v4, s[14:15]
	v_cndmask_b32_e64 v5, v8, v5, s[14:15]
	v_cmp_ge_i32_e64 s[14:15], v5, v1
	s_or_b64 s[18:19], s[14:15], s[18:19]
	s_andn2_b64 exec, exec, s[18:19]
	s_cbranch_execnz .LBB144_64
; %bb.65:                               ;   in Loop: Header=BB144_2 Depth=1
	s_or_b64 exec, exec, s[18:19]
.LBB144_66:                             ;   in Loop: Header=BB144_2 Depth=1
	s_or_b64 exec, exec, s[16:17]
	v_lshl_add_u32 v7, v5, 3, v79
	v_sub_u32_e32 v1, v61, v5
	v_lshlrev_b32_e32 v11, 3, v1
	ds_read_b64 v[1:2], v7
	ds_read_b64 v[3:4], v11 offset:768
	v_add_u32_e32 v9, v5, v57
	v_sub_u32_e32 v10, v62, v5
	v_cmp_le_i32_e64 s[18:19], v24, v9
	v_cmp_gt_i32_e64 s[14:15], v23, v10
	s_waitcnt lgkmcnt(0)
	v_cmp_lt_i64_e64 s[16:17], v[3:4], v[1:2]
                                        ; implicit-def: $vgpr5_vgpr6
	s_or_b64 s[16:17], s[18:19], s[16:17]
	s_and_b64 s[14:15], s[14:15], s[16:17]
	s_xor_b64 s[16:17], s[14:15], -1
	s_and_saveexec_b64 s[18:19], s[16:17]
	s_xor_b64 s[16:17], exec, s[18:19]
; %bb.67:                               ;   in Loop: Header=BB144_2 Depth=1
	ds_read_b64 v[5:6], v7 offset:8
                                        ; implicit-def: $vgpr11
; %bb.68:                               ;   in Loop: Header=BB144_2 Depth=1
	s_or_saveexec_b64 s[16:17], s[16:17]
	v_mov_b32_e32 v8, v4
	v_mov_b32_e32 v7, v3
	s_xor_b64 exec, exec, s[16:17]
	s_cbranch_execz .LBB144_70
; %bb.69:                               ;   in Loop: Header=BB144_2 Depth=1
	ds_read_b64 v[7:8], v11 offset:776
	s_waitcnt lgkmcnt(1)
	v_mov_b32_e32 v6, v2
	v_mov_b32_e32 v5, v1
.LBB144_70:                             ;   in Loop: Header=BB144_2 Depth=1
	s_or_b64 exec, exec, s[16:17]
	v_add_u32_e32 v12, 1, v9
	v_add_u32_e32 v11, 1, v10
	v_cndmask_b32_e64 v82, v12, v9, s[14:15]
	s_waitcnt lgkmcnt(0)
	v_cmp_lt_i64_e64 s[18:19], v[7:8], v[5:6]
	v_cndmask_b32_e64 v81, v10, v11, s[14:15]
	v_cmp_ge_i32_e64 s[20:21], v82, v24
	v_cmp_lt_i32_e64 s[16:17], v81, v23
	s_or_b64 s[18:19], s[20:21], s[18:19]
	s_and_b64 s[16:17], s[16:17], s[18:19]
	s_xor_b64 s[18:19], s[16:17], -1
                                        ; implicit-def: $vgpr9_vgpr10
	s_and_saveexec_b64 s[20:21], s[18:19]
	s_xor_b64 s[18:19], exec, s[20:21]
; %bb.71:                               ;   in Loop: Header=BB144_2 Depth=1
	v_lshlrev_b32_e32 v9, 3, v82
	ds_read_b64 v[9:10], v9 offset:8
; %bb.72:                               ;   in Loop: Header=BB144_2 Depth=1
	s_or_saveexec_b64 s[18:19], s[18:19]
	v_mov_b32_e32 v12, v8
	v_mov_b32_e32 v11, v7
	s_xor_b64 exec, exec, s[18:19]
	s_cbranch_execz .LBB144_74
; %bb.73:                               ;   in Loop: Header=BB144_2 Depth=1
	s_waitcnt lgkmcnt(0)
	v_lshlrev_b32_e32 v9, 3, v81
	ds_read_b64 v[11:12], v9 offset:8
	v_mov_b32_e32 v10, v6
	v_mov_b32_e32 v9, v5
.LBB144_74:                             ;   in Loop: Header=BB144_2 Depth=1
	s_or_b64 exec, exec, s[18:19]
	v_cndmask_b32_e64 v6, v6, v8, s[16:17]
	v_cndmask_b32_e64 v5, v5, v7, s[16:17]
	v_add_u32_e32 v7, 1, v81
	v_add_u32_e32 v8, 1, v82
	v_cndmask_b32_e64 v7, v81, v7, s[16:17]
	v_cndmask_b32_e64 v8, v8, v82, s[16:17]
	s_waitcnt lgkmcnt(0)
	v_cmp_lt_i64_e64 s[16:17], v[11:12], v[9:10]
	v_cmp_ge_i32_e64 s[18:19], v8, v24
	v_cndmask_b32_e64 v2, v2, v4, s[14:15]
	v_cndmask_b32_e64 v1, v1, v3, s[14:15]
	v_cmp_lt_i32_e64 s[14:15], v7, v23
	s_or_b64 s[16:17], s[18:19], s[16:17]
	s_and_b64 s[14:15], s[14:15], s[16:17]
	v_cndmask_b32_e64 v4, v10, v12, s[14:15]
	v_cndmask_b32_e64 v3, v9, v11, s[14:15]
	s_barrier
	ds_write2_b64 v73, v[1:2], v[5:6] offset1:1
	ds_write_b64 v73, v[3:4] offset:16
	v_mov_b32_e32 v5, v64
	s_waitcnt lgkmcnt(0)
	s_barrier
	s_and_saveexec_b64 s[16:17], s[10:11]
	s_cbranch_execz .LBB144_78
; %bb.75:                               ;   in Loop: Header=BB144_2 Depth=1
	s_mov_b64 s[18:19], 0
	v_mov_b32_e32 v5, v64
	v_mov_b32_e32 v1, v65
.LBB144_76:                             ;   Parent Loop BB144_2 Depth=1
                                        ; =>  This Inner Loop Header: Depth=2
	v_sub_u32_e32 v2, v1, v5
	v_lshrrev_b32_e32 v2, 1, v2
	v_add_u32_e32 v4, v2, v5
	v_not_b32_e32 v3, v4
	v_lshl_add_u32 v2, v4, 3, v80
	v_lshl_add_u32 v6, v3, 3, v66
	ds_read_b64 v[2:3], v2
	ds_read_b64 v[6:7], v6 offset:1536
	v_add_u32_e32 v8, 1, v4
	s_waitcnt lgkmcnt(0)
	v_cmp_lt_i64_e64 s[14:15], v[6:7], v[2:3]
	v_cndmask_b32_e64 v1, v1, v4, s[14:15]
	v_cndmask_b32_e64 v5, v8, v5, s[14:15]
	v_cmp_ge_i32_e64 s[14:15], v5, v1
	s_or_b64 s[18:19], s[14:15], s[18:19]
	s_andn2_b64 exec, exec, s[18:19]
	s_cbranch_execnz .LBB144_76
; %bb.77:                               ;   in Loop: Header=BB144_2 Depth=1
	s_or_b64 exec, exec, s[18:19]
.LBB144_78:                             ;   in Loop: Header=BB144_2 Depth=1
	s_or_b64 exec, exec, s[16:17]
	v_lshl_add_u32 v7, v5, 3, v80
	v_sub_u32_e32 v1, v67, v5
	v_lshlrev_b32_e32 v11, 3, v1
	ds_read_b64 v[1:2], v7
	ds_read_b64 v[3:4], v11 offset:1536
	v_add_u32_e32 v9, v5, v63
	v_sub_u32_e32 v10, v68, v5
	v_cmp_le_i32_e64 s[18:19], v26, v9
	v_cmp_gt_i32_e64 s[14:15], v25, v10
	s_waitcnt lgkmcnt(0)
	v_cmp_lt_i64_e64 s[16:17], v[3:4], v[1:2]
                                        ; implicit-def: $vgpr5_vgpr6
	s_or_b64 s[16:17], s[18:19], s[16:17]
	s_and_b64 s[14:15], s[14:15], s[16:17]
	s_xor_b64 s[16:17], s[14:15], -1
	s_and_saveexec_b64 s[18:19], s[16:17]
	s_xor_b64 s[16:17], exec, s[18:19]
; %bb.79:                               ;   in Loop: Header=BB144_2 Depth=1
	ds_read_b64 v[5:6], v7 offset:8
                                        ; implicit-def: $vgpr11
; %bb.80:                               ;   in Loop: Header=BB144_2 Depth=1
	s_or_saveexec_b64 s[16:17], s[16:17]
	v_mov_b32_e32 v8, v4
	v_mov_b32_e32 v7, v3
	s_xor_b64 exec, exec, s[16:17]
	s_cbranch_execz .LBB144_82
; %bb.81:                               ;   in Loop: Header=BB144_2 Depth=1
	ds_read_b64 v[7:8], v11 offset:1544
	s_waitcnt lgkmcnt(1)
	v_mov_b32_e32 v6, v2
	v_mov_b32_e32 v5, v1
.LBB144_82:                             ;   in Loop: Header=BB144_2 Depth=1
	s_or_b64 exec, exec, s[16:17]
	v_add_u32_e32 v12, 1, v9
	v_add_u32_e32 v11, 1, v10
	v_cndmask_b32_e64 v82, v12, v9, s[14:15]
	s_waitcnt lgkmcnt(0)
	v_cmp_lt_i64_e64 s[18:19], v[7:8], v[5:6]
	v_cndmask_b32_e64 v81, v10, v11, s[14:15]
	v_cmp_ge_i32_e64 s[20:21], v82, v26
	v_cmp_lt_i32_e64 s[16:17], v81, v25
	s_or_b64 s[18:19], s[20:21], s[18:19]
	s_and_b64 s[16:17], s[16:17], s[18:19]
	s_xor_b64 s[18:19], s[16:17], -1
                                        ; implicit-def: $vgpr9_vgpr10
	s_and_saveexec_b64 s[20:21], s[18:19]
	s_xor_b64 s[18:19], exec, s[20:21]
; %bb.83:                               ;   in Loop: Header=BB144_2 Depth=1
	v_lshlrev_b32_e32 v9, 3, v82
	ds_read_b64 v[9:10], v9 offset:8
; %bb.84:                               ;   in Loop: Header=BB144_2 Depth=1
	s_or_saveexec_b64 s[18:19], s[18:19]
	v_mov_b32_e32 v12, v8
	v_mov_b32_e32 v11, v7
	s_xor_b64 exec, exec, s[18:19]
	s_cbranch_execz .LBB144_86
; %bb.85:                               ;   in Loop: Header=BB144_2 Depth=1
	s_waitcnt lgkmcnt(0)
	v_lshlrev_b32_e32 v9, 3, v81
	ds_read_b64 v[11:12], v9 offset:8
	v_mov_b32_e32 v10, v6
	v_mov_b32_e32 v9, v5
.LBB144_86:                             ;   in Loop: Header=BB144_2 Depth=1
	s_or_b64 exec, exec, s[18:19]
	v_cndmask_b32_e64 v6, v6, v8, s[16:17]
	v_cndmask_b32_e64 v5, v5, v7, s[16:17]
	v_add_u32_e32 v7, 1, v81
	v_add_u32_e32 v8, 1, v82
	v_cndmask_b32_e64 v7, v81, v7, s[16:17]
	v_cndmask_b32_e64 v8, v8, v82, s[16:17]
	s_waitcnt lgkmcnt(0)
	v_cmp_lt_i64_e64 s[16:17], v[11:12], v[9:10]
	v_cmp_ge_i32_e64 s[18:19], v8, v26
	v_cndmask_b32_e64 v2, v2, v4, s[14:15]
	v_cndmask_b32_e64 v1, v1, v3, s[14:15]
	v_cmp_lt_i32_e64 s[14:15], v7, v25
	s_or_b64 s[16:17], s[18:19], s[16:17]
	s_and_b64 s[14:15], s[14:15], s[16:17]
	v_cndmask_b32_e64 v3, v9, v11, s[14:15]
	v_mov_b32_e32 v9, v71
	v_cndmask_b32_e64 v4, v10, v12, s[14:15]
	s_barrier
	ds_write2_b64 v73, v[1:2], v[5:6] offset1:1
	ds_write_b64 v73, v[3:4] offset:16
	s_waitcnt lgkmcnt(0)
	s_barrier
	s_and_saveexec_b64 s[16:17], s[12:13]
	s_cbranch_execz .LBB144_90
; %bb.87:                               ;   in Loop: Header=BB144_2 Depth=1
	s_mov_b64 s[18:19], 0
	v_mov_b32_e32 v9, v71
	v_mov_b32_e32 v1, v72
.LBB144_88:                             ;   Parent Loop BB144_2 Depth=1
                                        ; =>  This Inner Loop Header: Depth=2
	v_sub_u32_e32 v2, v1, v9
	v_lshrrev_b32_e32 v2, 1, v2
	v_add_u32_e32 v6, v2, v9
	v_lshlrev_b32_e32 v3, 3, v70
	v_not_b32_e32 v4, v6
	v_lshlrev_b32_e32 v2, 3, v6
	v_lshl_add_u32 v4, v4, 3, v3
	ds_read_b64 v[2:3], v2
	ds_read_b64 v[4:5], v4 offset:3072
	v_add_u32_e32 v7, 1, v6
	s_waitcnt lgkmcnt(0)
	v_cmp_lt_i64_e64 s[14:15], v[4:5], v[2:3]
	v_cndmask_b32_e64 v1, v1, v6, s[14:15]
	v_cndmask_b32_e64 v9, v7, v9, s[14:15]
	v_cmp_ge_i32_e64 s[14:15], v9, v1
	s_or_b64 s[18:19], s[14:15], s[18:19]
	s_andn2_b64 exec, exec, s[18:19]
	s_cbranch_execnz .LBB144_88
; %bb.89:                               ;   in Loop: Header=BB144_2 Depth=1
	s_or_b64 exec, exec, s[18:19]
.LBB144_90:                             ;   in Loop: Header=BB144_2 Depth=1
	s_or_b64 exec, exec, s[16:17]
	v_lshlrev_b32_e32 v7, 3, v9
	v_sub_u32_e32 v1, v70, v9
	v_lshlrev_b32_e32 v11, 3, v1
	ds_read_b64 v[1:2], v7
	ds_read_b64 v[3:4], v11 offset:3072
	v_mad_u32_u24 v5, v0, 3, v69
	v_sub_u32_e32 v10, v5, v9
	v_cmp_le_i32_e64 s[18:19], v69, v9
	v_cmp_gt_i32_e64 s[14:15], s24, v10
	s_waitcnt lgkmcnt(0)
	v_cmp_lt_i64_e64 s[16:17], v[3:4], v[1:2]
                                        ; implicit-def: $vgpr5_vgpr6
	s_or_b64 s[16:17], s[18:19], s[16:17]
	s_and_b64 s[14:15], s[14:15], s[16:17]
	s_xor_b64 s[16:17], s[14:15], -1
	s_and_saveexec_b64 s[18:19], s[16:17]
	s_xor_b64 s[16:17], exec, s[18:19]
; %bb.91:                               ;   in Loop: Header=BB144_2 Depth=1
	ds_read_b64 v[5:6], v7 offset:8
                                        ; implicit-def: $vgpr11
; %bb.92:                               ;   in Loop: Header=BB144_2 Depth=1
	s_or_saveexec_b64 s[16:17], s[16:17]
	v_mov_b32_e32 v8, v4
	v_mov_b32_e32 v7, v3
	s_xor_b64 exec, exec, s[16:17]
	s_cbranch_execz .LBB144_94
; %bb.93:                               ;   in Loop: Header=BB144_2 Depth=1
	ds_read_b64 v[7:8], v11 offset:3080
	s_waitcnt lgkmcnt(1)
	v_mov_b32_e32 v6, v2
	v_mov_b32_e32 v5, v1
.LBB144_94:                             ;   in Loop: Header=BB144_2 Depth=1
	s_or_b64 exec, exec, s[16:17]
	v_add_u32_e32 v12, 1, v9
	v_add_u32_e32 v11, 1, v10
	v_cndmask_b32_e64 v83, v12, v9, s[14:15]
	s_waitcnt lgkmcnt(0)
	v_cmp_lt_i64_e64 s[18:19], v[7:8], v[5:6]
	v_cndmask_b32_e64 v81, v10, v11, s[14:15]
	v_cmp_ge_i32_e64 s[20:21], v83, v69
	v_cmp_gt_i32_e64 s[16:17], s24, v81
	s_or_b64 s[18:19], s[20:21], s[18:19]
	s_and_b64 s[16:17], s[16:17], s[18:19]
	s_xor_b64 s[18:19], s[16:17], -1
                                        ; implicit-def: $vgpr9_vgpr10
                                        ; implicit-def: $vgpr82
	s_and_saveexec_b64 s[20:21], s[18:19]
	s_xor_b64 s[18:19], exec, s[20:21]
; %bb.95:                               ;   in Loop: Header=BB144_2 Depth=1
	v_lshlrev_b32_e32 v9, 3, v83
	ds_read_b64 v[9:10], v9 offset:8
	v_add_u32_e32 v82, 1, v83
                                        ; implicit-def: $vgpr83
; %bb.96:                               ;   in Loop: Header=BB144_2 Depth=1
	s_or_saveexec_b64 s[18:19], s[18:19]
	v_mov_b32_e32 v12, v8
	v_mov_b32_e32 v11, v7
	s_xor_b64 exec, exec, s[18:19]
	s_cbranch_execz .LBB144_1
; %bb.97:                               ;   in Loop: Header=BB144_2 Depth=1
	s_waitcnt lgkmcnt(0)
	v_lshlrev_b32_e32 v9, 3, v81
	ds_read_b64 v[11:12], v9 offset:8
	v_mov_b32_e32 v10, v6
	v_add_u32_e32 v81, 1, v81
	v_mov_b32_e32 v82, v83
	v_mov_b32_e32 v9, v5
	s_branch .LBB144_1
.LBB144_98:
	s_add_u32 s0, s22, s26
	s_addc_u32 s1, s23, s27
	v_lshlrev_b32_e32 v0, 3, v0
	v_mov_b32_e32 v7, s1
	v_add_co_u32_e32 v8, vcc, s0, v0
	v_addc_co_u32_e32 v7, vcc, 0, v7, vcc
	global_store_dwordx2 v0, v[3:4], s[0:1]
	global_store_dwordx2 v0, v[5:6], s[0:1] offset:2048
	v_add_co_u32_e32 v3, vcc, 0x1000, v8
	v_addc_co_u32_e32 v4, vcc, 0, v7, vcc
	global_store_dwordx2 v[3:4], v[1:2], off
	s_endpgm
	.section	.rodata,"a",@progbits
	.p2align	6, 0x0
	.amdhsa_kernel _Z16sort_keys_kernelIxLj256ELj3EN10test_utils4lessELj10EEvPKT_PS2_T2_
		.amdhsa_group_segment_fixed_size 6152
		.amdhsa_private_segment_fixed_size 0
		.amdhsa_kernarg_size 20
		.amdhsa_user_sgpr_count 6
		.amdhsa_user_sgpr_private_segment_buffer 1
		.amdhsa_user_sgpr_dispatch_ptr 0
		.amdhsa_user_sgpr_queue_ptr 0
		.amdhsa_user_sgpr_kernarg_segment_ptr 1
		.amdhsa_user_sgpr_dispatch_id 0
		.amdhsa_user_sgpr_flat_scratch_init 0
		.amdhsa_user_sgpr_private_segment_size 0
		.amdhsa_uses_dynamic_stack 0
		.amdhsa_system_sgpr_private_segment_wavefront_offset 0
		.amdhsa_system_sgpr_workgroup_id_x 1
		.amdhsa_system_sgpr_workgroup_id_y 0
		.amdhsa_system_sgpr_workgroup_id_z 0
		.amdhsa_system_sgpr_workgroup_info 0
		.amdhsa_system_vgpr_workitem_id 0
		.amdhsa_next_free_vgpr 84
		.amdhsa_next_free_sgpr 28
		.amdhsa_reserve_vcc 1
		.amdhsa_reserve_flat_scratch 0
		.amdhsa_float_round_mode_32 0
		.amdhsa_float_round_mode_16_64 0
		.amdhsa_float_denorm_mode_32 3
		.amdhsa_float_denorm_mode_16_64 3
		.amdhsa_dx10_clamp 1
		.amdhsa_ieee_mode 1
		.amdhsa_fp16_overflow 0
		.amdhsa_exception_fp_ieee_invalid_op 0
		.amdhsa_exception_fp_denorm_src 0
		.amdhsa_exception_fp_ieee_div_zero 0
		.amdhsa_exception_fp_ieee_overflow 0
		.amdhsa_exception_fp_ieee_underflow 0
		.amdhsa_exception_fp_ieee_inexact 0
		.amdhsa_exception_int_div_zero 0
	.end_amdhsa_kernel
	.section	.text._Z16sort_keys_kernelIxLj256ELj3EN10test_utils4lessELj10EEvPKT_PS2_T2_,"axG",@progbits,_Z16sort_keys_kernelIxLj256ELj3EN10test_utils4lessELj10EEvPKT_PS2_T2_,comdat
.Lfunc_end144:
	.size	_Z16sort_keys_kernelIxLj256ELj3EN10test_utils4lessELj10EEvPKT_PS2_T2_, .Lfunc_end144-_Z16sort_keys_kernelIxLj256ELj3EN10test_utils4lessELj10EEvPKT_PS2_T2_
                                        ; -- End function
	.set _Z16sort_keys_kernelIxLj256ELj3EN10test_utils4lessELj10EEvPKT_PS2_T2_.num_vgpr, 84
	.set _Z16sort_keys_kernelIxLj256ELj3EN10test_utils4lessELj10EEvPKT_PS2_T2_.num_agpr, 0
	.set _Z16sort_keys_kernelIxLj256ELj3EN10test_utils4lessELj10EEvPKT_PS2_T2_.numbered_sgpr, 28
	.set _Z16sort_keys_kernelIxLj256ELj3EN10test_utils4lessELj10EEvPKT_PS2_T2_.num_named_barrier, 0
	.set _Z16sort_keys_kernelIxLj256ELj3EN10test_utils4lessELj10EEvPKT_PS2_T2_.private_seg_size, 0
	.set _Z16sort_keys_kernelIxLj256ELj3EN10test_utils4lessELj10EEvPKT_PS2_T2_.uses_vcc, 1
	.set _Z16sort_keys_kernelIxLj256ELj3EN10test_utils4lessELj10EEvPKT_PS2_T2_.uses_flat_scratch, 0
	.set _Z16sort_keys_kernelIxLj256ELj3EN10test_utils4lessELj10EEvPKT_PS2_T2_.has_dyn_sized_stack, 0
	.set _Z16sort_keys_kernelIxLj256ELj3EN10test_utils4lessELj10EEvPKT_PS2_T2_.has_recursion, 0
	.set _Z16sort_keys_kernelIxLj256ELj3EN10test_utils4lessELj10EEvPKT_PS2_T2_.has_indirect_call, 0
	.section	.AMDGPU.csdata,"",@progbits
; Kernel info:
; codeLenInByte = 5568
; TotalNumSgprs: 32
; NumVgprs: 84
; ScratchSize: 0
; MemoryBound: 0
; FloatMode: 240
; IeeeMode: 1
; LDSByteSize: 6152 bytes/workgroup (compile time only)
; SGPRBlocks: 3
; VGPRBlocks: 20
; NumSGPRsForWavesPerEU: 32
; NumVGPRsForWavesPerEU: 84
; Occupancy: 3
; WaveLimiterHint : 1
; COMPUTE_PGM_RSRC2:SCRATCH_EN: 0
; COMPUTE_PGM_RSRC2:USER_SGPR: 6
; COMPUTE_PGM_RSRC2:TRAP_HANDLER: 0
; COMPUTE_PGM_RSRC2:TGID_X_EN: 1
; COMPUTE_PGM_RSRC2:TGID_Y_EN: 0
; COMPUTE_PGM_RSRC2:TGID_Z_EN: 0
; COMPUTE_PGM_RSRC2:TIDIG_COMP_CNT: 0
	.section	.text._Z17sort_pairs_kernelIxLj256ELj3EN10test_utils4lessELj10EEvPKT_PS2_T2_,"axG",@progbits,_Z17sort_pairs_kernelIxLj256ELj3EN10test_utils4lessELj10EEvPKT_PS2_T2_,comdat
	.protected	_Z17sort_pairs_kernelIxLj256ELj3EN10test_utils4lessELj10EEvPKT_PS2_T2_ ; -- Begin function _Z17sort_pairs_kernelIxLj256ELj3EN10test_utils4lessELj10EEvPKT_PS2_T2_
	.globl	_Z17sort_pairs_kernelIxLj256ELj3EN10test_utils4lessELj10EEvPKT_PS2_T2_
	.p2align	8
	.type	_Z17sort_pairs_kernelIxLj256ELj3EN10test_utils4lessELj10EEvPKT_PS2_T2_,@function
_Z17sort_pairs_kernelIxLj256ELj3EN10test_utils4lessELj10EEvPKT_PS2_T2_: ; @_Z17sort_pairs_kernelIxLj256ELj3EN10test_utils4lessELj10EEvPKT_PS2_T2_
; %bb.0:
	s_load_dwordx4 s[28:31], s[4:5], 0x0
	s_mul_i32 s36, s6, 0x300
	s_mov_b32 s37, 0
	s_lshl_b64 s[34:35], s[36:37], 3
	v_lshlrev_b32_e32 v1, 3, v0
	s_waitcnt lgkmcnt(0)
	s_add_u32 s0, s28, s34
	s_addc_u32 s1, s29, s35
	v_mov_b32_e32 v2, s1
	v_add_co_u32_e32 v3, vcc, s0, v1
	v_addc_co_u32_e32 v2, vcc, 0, v2, vcc
	s_movk_i32 s2, 0x1000
	global_load_dwordx2 v[7:8], v1, s[0:1]
	global_load_dwordx2 v[9:10], v1, s[0:1] offset:2048
	v_add_co_u32_e32 v1, vcc, s2, v3
	v_addc_co_u32_e32 v2, vcc, 0, v2, vcc
	global_load_dwordx2 v[11:12], v[1:2], off
	v_and_b32_e32 v1, 0xfe, v0
	v_mul_u32_u24_e32 v13, 3, v1
	v_and_b32_e32 v1, 1, v0
	v_cmp_eq_u32_e32 vcc, 1, v1
	v_min_u32_e32 v1, 0x2fa, v13
	v_add_u32_e32 v20, 6, v1
	v_and_b32_e32 v1, 0xfc, v0
	v_mul_u32_u24_e32 v18, 3, v1
	v_min_u32_e32 v1, 0x2f4, v18
	v_add_u32_e32 v22, 12, v1
	v_and_b32_e32 v1, 0xf8, v0
	v_mul_u32_u24_e32 v45, 3, v1
	v_min_u32_e32 v1, 0x2e8, v45
	v_min_u32_e32 v15, 0x2fd, v13
	v_add_u32_e32 v23, 24, v1
	v_and_b32_e32 v1, 0xf0, v0
	v_add_u32_e32 v19, 3, v15
	v_min_u32_e32 v43, 0x2fa, v18
	v_mul_u32_u24_e32 v51, 3, v1
	v_min_u32_e32 v33, 0x300, v13
	v_cndmask_b32_e64 v14, 0, 3, vcc
	v_and_b32_e32 v44, 3, v0
	v_add_u32_e32 v21, 6, v43
	v_min_u32_e32 v1, 0x2d0, v51
	v_sub_u32_e32 v13, v19, v33
	v_mul_u32_u24_e32 v42, 3, v44
	v_sub_u32_e32 v40, v22, v21
	v_min_u32_e32 v49, 0x2f4, v45
	v_add_u32_e32 v25, 48, v1
	v_and_b32_e32 v1, 0xe0, v0
	v_min_i32_e32 v35, v14, v13
	v_lshlrev_b32_e32 v13, 3, v14
	v_min_u32_e32 v39, 0x300, v18
	v_sub_u32_e32 v41, v42, v40
	v_and_b32_e32 v50, 7, v0
	v_add_u32_e32 v24, 12, v49
	v_mul_u32_u24_e32 v57, 3, v1
	v_lshl_add_u32 v36, v15, 3, v13
	v_cmp_ge_i32_e64 s[0:1], v42, v40
	v_sub_u32_e32 v13, v21, v39
	v_mul_u32_u24_e32 v48, 3, v50
	v_sub_u32_e32 v46, v23, v24
	v_min_u32_e32 v55, 0x2e8, v51
	v_min_u32_e32 v1, 0x2a0, v57
	v_cndmask_b32_e64 v40, 0, v41, s[0:1]
	v_min_i32_e32 v41, v42, v13
	v_lshlrev_b32_e32 v13, 3, v42
	v_min_u32_e32 v45, 0x300, v45
	v_sub_u32_e32 v47, v48, v46
	v_and_b32_e32 v56, 15, v0
	v_add_u32_e32 v26, 24, v55
	v_add_u32_e32 v27, 0x60, v1
	v_and_b32_e32 v1, 0xc0, v0
	v_lshl_add_u32 v42, v43, 3, v13
	v_cmp_ge_i32_e64 s[2:3], v48, v46
	v_sub_u32_e32 v13, v24, v45
	v_mul_u32_u24_e32 v54, 3, v56
	v_sub_u32_e32 v52, v25, v26
	v_min_u32_e32 v61, 0x2d0, v57
	v_mul_u32_u24_e32 v63, 3, v1
	v_cndmask_b32_e64 v46, 0, v47, s[2:3]
	v_min_i32_e32 v47, v48, v13
	v_lshlrev_b32_e32 v13, 3, v48
	v_min_u32_e32 v51, 0x300, v51
	v_sub_u32_e32 v53, v54, v52
	v_and_b32_e32 v62, 31, v0
	v_add_u32_e32 v28, 48, v61
	v_min_u32_e32 v1, 0x240, v63
	v_lshl_add_u32 v48, v49, 3, v13
	v_cmp_ge_i32_e64 s[4:5], v54, v52
	v_sub_u32_e32 v13, v26, v51
	v_mul_u32_u24_e32 v60, 3, v62
	v_sub_u32_e32 v58, v27, v28
	s_waitcnt vmcnt(2)
	v_add_co_u32_e32 v5, vcc, 1, v7
	v_add_u32_e32 v29, 0xc0, v1
	v_min_u32_e32 v67, 0x2a0, v63
	v_and_b32_e32 v1, 0x80, v0
	v_addc_co_u32_e32 v6, vcc, 0, v8, vcc
	v_cndmask_b32_e64 v52, 0, v53, s[4:5]
	v_min_i32_e32 v53, v54, v13
	v_lshlrev_b32_e32 v13, 3, v54
	v_min_u32_e32 v57, 0x300, v57
	v_sub_u32_e32 v59, v60, v58
	v_and_b32_e32 v68, 63, v0
	v_add_u32_e32 v30, 0x60, v67
	v_mul_u32_u24_e32 v69, 3, v1
	s_waitcnt vmcnt(1)
	v_add_co_u32_e32 v3, vcc, 1, v9
	v_lshl_add_u32 v54, v55, 3, v13
	v_cmp_ge_i32_e64 s[6:7], v60, v58
	v_sub_u32_e32 v13, v28, v57
	v_mul_u32_u24_e32 v66, 3, v68
	v_sub_u32_e32 v64, v29, v30
	v_min_u32_e32 v1, 0x180, v69
	v_min_u32_e32 v73, 0x240, v69
	v_addc_co_u32_e32 v4, vcc, 0, v10, vcc
	v_cndmask_b32_e64 v58, 0, v59, s[6:7]
	v_min_i32_e32 v59, v60, v13
	v_lshlrev_b32_e32 v13, 3, v60
	v_min_u32_e32 v63, 0x300, v63
	v_sub_u32_e32 v65, v66, v64
	v_add_u32_e32 v31, 0x180, v1
	v_and_b32_e32 v74, 0x7f, v0
	v_add_u32_e32 v32, 0xc0, v73
	s_waitcnt vmcnt(0)
	v_add_co_u32_e32 v1, vcc, 1, v11
	v_lshl_add_u32 v60, v61, 3, v13
	v_cmp_ge_i32_e64 s[8:9], v66, v64
	v_sub_u32_e32 v13, v30, v63
	v_sub_u32_e32 v16, v20, v19
	v_mul_u32_u24_e32 v72, 3, v74
	v_sub_u32_e32 v70, v31, v32
	v_addc_co_u32_e32 v2, vcc, 0, v12, vcc
	v_cndmask_b32_e64 v64, 0, v65, s[8:9]
	v_min_i32_e32 v65, v66, v13
	v_lshlrev_b32_e32 v13, 3, v66
	v_min_u32_e32 v69, 0x300, v69
	v_sub_u32_e32 v17, v14, v16
	v_sub_u32_e32 v71, v72, v70
	v_cmp_ge_i32_e32 vcc, v14, v16
	v_lshl_add_u32 v66, v67, 3, v13
	v_cmp_ge_i32_e64 s[10:11], v72, v70
	v_sub_u32_e32 v13, v32, v69
	v_mov_b32_e32 v75, 0x180
	v_mul_u32_u24_e32 v76, 3, v0
	v_cndmask_b32_e32 v34, 0, v17, vcc
	v_cndmask_b32_e64 v70, 0, v71, s[10:11]
	v_min_i32_e32 v71, v72, v13
	v_lshlrev_b32_e32 v13, 3, v72
	v_sub_u32_e64 v77, v76, v75 clamp
	v_min_i32_e32 v78, 0x180, v76
	s_movk_i32 s28, 0x300
	v_cmp_lt_i32_e32 vcc, v34, v35
	v_add_u32_e32 v37, v15, v14
	v_add_u32_e32 v38, v19, v14
	v_cmp_lt_i32_e64 s[0:1], v40, v41
	v_mad_u32_u24 v43, v44, 3, v43
	v_mad_u32_u24 v44, v44, 3, v21
	v_cmp_lt_i32_e64 s[2:3], v46, v47
	v_mad_u32_u24 v49, v50, 3, v49
	v_mad_u32_u24 v50, v50, 3, v24
	;; [unrolled: 3-line block ×5, first 2 shown]
	v_cmp_lt_i32_e64 s[10:11], v70, v71
	v_lshl_add_u32 v72, v73, 3, v13
	v_mad_u32_u24 v73, v74, 3, v73
	v_mad_u32_u24 v74, v74, 3, v32
	v_cmp_lt_i32_e64 s[12:13], v77, v78
	v_mul_u32_u24_e32 v79, 24, v0
	v_lshlrev_b32_e32 v80, 3, v33
	v_lshlrev_b32_e32 v81, 3, v39
	;; [unrolled: 1-line block ×7, first 2 shown]
	v_mad_u32_u24 v87, v0, 3, v75
	v_lshlrev_b32_e32 v88, 3, v76
	s_branch .LBB145_2
.LBB145_1:                              ;   in Loop: Header=BB145_2 Depth=1
	s_or_b64 exec, exec, s[18:19]
	s_waitcnt lgkmcnt(0)
	v_cmp_lt_i64_e64 s[18:19], v[17:18], v[15:16]
	v_cmp_ge_i32_e64 s[20:21], v93, v75
	v_cndmask_b32_e64 v8, v8, v14, s[14:15]
	v_cndmask_b32_e64 v7, v7, v13, s[14:15]
	;; [unrolled: 1-line block ×3, first 2 shown]
	v_cmp_gt_i32_e64 s[14:15], s28, v91
	s_or_b64 s[18:19], s[20:21], s[18:19]
	s_and_b64 s[14:15], s[14:15], s[18:19]
	v_cndmask_b32_e64 v14, v93, v91, s[14:15]
	s_barrier
	ds_write2_b64 v79, v[1:2], v[5:6] offset1:1
	ds_write_b64 v79, v[3:4] offset:16
	v_lshlrev_b32_e32 v1, 3, v13
	v_lshlrev_b32_e32 v2, 3, v92
	s_waitcnt lgkmcnt(0)
	s_barrier
	v_lshlrev_b32_e32 v13, 3, v14
	ds_read_b64 v[5:6], v1
	ds_read_b64 v[3:4], v2
	;; [unrolled: 1-line block ×3, first 2 shown]
	s_add_i32 s37, s37, 1
	v_cndmask_b32_e64 v10, v10, v12, s[16:17]
	v_cndmask_b32_e64 v12, v16, v18, s[14:15]
	;; [unrolled: 1-line block ×3, first 2 shown]
	s_cmp_eq_u32 s37, 10
	v_cndmask_b32_e64 v11, v15, v17, s[14:15]
	s_cbranch_scc1 .LBB145_98
.LBB145_2:                              ; =>This Loop Header: Depth=1
                                        ;     Child Loop BB145_4 Depth 2
                                        ;     Child Loop BB145_16 Depth 2
	;; [unrolled: 1-line block ×8, first 2 shown]
	v_cmp_gt_i64_e64 s[16:17], v[9:10], v[7:8]
	v_cmp_lt_i64_e64 s[14:15], v[9:10], v[7:8]
	v_cndmask_b32_e64 v16, v8, v10, s[16:17]
	v_cndmask_b32_e64 v15, v7, v9, s[16:17]
	v_cmp_lt_i64_e64 s[16:17], v[11:12], v[15:16]
	v_cndmask_b32_e64 v13, v7, v9, s[14:15]
	v_cndmask_b32_e64 v9, v9, v7, s[14:15]
	;; [unrolled: 1-line block ×7, first 2 shown]
	v_cmp_lt_i64_e64 s[18:19], v[9:10], v[13:14]
	v_cndmask_b32_e64 v7, v11, v15, s[16:17]
	v_cndmask_b32_e64 v11, v17, v12, s[16:17]
	;; [unrolled: 1-line block ×7, first 2 shown]
	s_waitcnt lgkmcnt(0)
	s_barrier
	ds_write2_b64 v79, v[9:10], v[11:12] offset1:1
	ds_write_b64 v79, v[7:8] offset:16
	v_mov_b32_e32 v11, v34
	s_waitcnt lgkmcnt(0)
	s_barrier
	s_and_saveexec_b64 s[22:23], vcc
	s_cbranch_execz .LBB145_6
; %bb.3:                                ;   in Loop: Header=BB145_2 Depth=1
	s_mov_b64 s[24:25], 0
	v_mov_b32_e32 v11, v34
	v_mov_b32_e32 v7, v35
.LBB145_4:                              ;   Parent Loop BB145_2 Depth=1
                                        ; =>  This Inner Loop Header: Depth=2
	v_sub_u32_e32 v8, v7, v11
	v_lshrrev_b32_e32 v8, 1, v8
	v_add_u32_e32 v10, v8, v11
	v_not_b32_e32 v9, v10
	v_lshl_add_u32 v8, v10, 3, v80
	v_lshl_add_u32 v12, v9, 3, v36
	ds_read_b64 v[8:9], v8
	ds_read_b64 v[12:13], v12 offset:24
	v_add_u32_e32 v14, 1, v10
	s_waitcnt lgkmcnt(0)
	v_cmp_lt_i64_e64 s[20:21], v[12:13], v[8:9]
	v_cndmask_b32_e64 v7, v7, v10, s[20:21]
	v_cndmask_b32_e64 v11, v14, v11, s[20:21]
	v_cmp_ge_i32_e64 s[20:21], v11, v7
	s_or_b64 s[24:25], s[20:21], s[24:25]
	s_andn2_b64 exec, exec, s[24:25]
	s_cbranch_execnz .LBB145_4
; %bb.5:                                ;   in Loop: Header=BB145_2 Depth=1
	s_or_b64 exec, exec, s[24:25]
.LBB145_6:                              ;   in Loop: Header=BB145_2 Depth=1
	s_or_b64 exec, exec, s[22:23]
	v_lshl_add_u32 v14, v11, 3, v80
	v_sub_u32_e32 v7, v37, v11
	v_lshlrev_b32_e32 v13, 3, v7
	ds_read_b64 v[7:8], v14
	ds_read_b64 v[9:10], v13 offset:24
	v_add_u32_e32 v89, v11, v33
	v_sub_u32_e32 v90, v38, v11
	v_cmp_le_i32_e64 s[24:25], v19, v89
	v_cmp_gt_i32_e64 s[20:21], v20, v90
	s_waitcnt lgkmcnt(0)
	v_cmp_lt_i64_e64 s[22:23], v[9:10], v[7:8]
                                        ; implicit-def: $vgpr11_vgpr12
	s_or_b64 s[22:23], s[24:25], s[22:23]
	s_and_b64 s[20:21], s[20:21], s[22:23]
	s_xor_b64 s[22:23], s[20:21], -1
	s_and_saveexec_b64 s[24:25], s[22:23]
	s_xor_b64 s[22:23], exec, s[24:25]
; %bb.7:                                ;   in Loop: Header=BB145_2 Depth=1
	ds_read_b64 v[11:12], v14 offset:8
                                        ; implicit-def: $vgpr13
; %bb.8:                                ;   in Loop: Header=BB145_2 Depth=1
	s_or_saveexec_b64 s[22:23], s[22:23]
	v_mov_b32_e32 v16, v10
	v_mov_b32_e32 v15, v9
	s_xor_b64 exec, exec, s[22:23]
	s_cbranch_execz .LBB145_10
; %bb.9:                                ;   in Loop: Header=BB145_2 Depth=1
	ds_read_b64 v[15:16], v13 offset:32
	s_waitcnt lgkmcnt(1)
	v_mov_b32_e32 v12, v8
	v_mov_b32_e32 v11, v7
.LBB145_10:                             ;   in Loop: Header=BB145_2 Depth=1
	s_or_b64 exec, exec, s[22:23]
	v_add_u32_e32 v14, 1, v89
	v_add_u32_e32 v13, 1, v90
	v_cndmask_b32_e64 v92, v14, v89, s[20:21]
	s_waitcnt lgkmcnt(0)
	v_cmp_lt_i64_e64 s[24:25], v[15:16], v[11:12]
	v_cndmask_b32_e64 v91, v90, v13, s[20:21]
	v_cmp_ge_i32_e64 s[26:27], v92, v19
	v_cmp_lt_i32_e64 s[22:23], v91, v20
	s_or_b64 s[24:25], s[26:27], s[24:25]
	s_and_b64 s[22:23], s[22:23], s[24:25]
	s_xor_b64 s[24:25], s[22:23], -1
                                        ; implicit-def: $vgpr13_vgpr14
	s_and_saveexec_b64 s[26:27], s[24:25]
	s_xor_b64 s[24:25], exec, s[26:27]
; %bb.11:                               ;   in Loop: Header=BB145_2 Depth=1
	v_lshlrev_b32_e32 v13, 3, v92
	ds_read_b64 v[13:14], v13 offset:8
; %bb.12:                               ;   in Loop: Header=BB145_2 Depth=1
	s_or_saveexec_b64 s[24:25], s[24:25]
	v_mov_b32_e32 v18, v16
	v_mov_b32_e32 v17, v15
	s_xor_b64 exec, exec, s[24:25]
	s_cbranch_execz .LBB145_14
; %bb.13:                               ;   in Loop: Header=BB145_2 Depth=1
	s_waitcnt lgkmcnt(0)
	v_lshlrev_b32_e32 v13, 3, v91
	ds_read_b64 v[17:18], v13 offset:8
	v_mov_b32_e32 v14, v12
	v_mov_b32_e32 v13, v11
.LBB145_14:                             ;   in Loop: Header=BB145_2 Depth=1
	s_or_b64 exec, exec, s[24:25]
	v_cndmask_b32_e64 v12, v12, v16, s[22:23]
	v_add_u32_e32 v16, 1, v92
	v_cndmask_b32_e64 v8, v8, v10, s[20:21]
	v_cndmask_b32_e64 v7, v7, v9, s[20:21]
	;; [unrolled: 1-line block ×7, first 2 shown]
	v_add_u32_e32 v15, 1, v91
	v_cndmask_b32_e64 v16, v16, v92, s[22:23]
	v_cndmask_b32_e64 v4, v2, v6, s[16:17]
	;; [unrolled: 1-line block ×5, first 2 shown]
	s_waitcnt lgkmcnt(0)
	v_cmp_lt_i64_e64 s[16:17], v[17:18], v[13:14]
	v_cndmask_b32_e64 v15, v91, v15, s[22:23]
	v_cndmask_b32_e64 v2, v6, v10, s[18:19]
	;; [unrolled: 1-line block ×5, first 2 shown]
	v_cmp_ge_i32_e64 s[18:19], v16, v19
	v_cmp_lt_i32_e64 s[14:15], v15, v20
	s_or_b64 s[16:17], s[18:19], s[16:17]
	s_and_b64 s[14:15], s[14:15], s[16:17]
	v_cndmask_b32_e64 v91, v92, v91, s[22:23]
	v_cndmask_b32_e64 v89, v89, v90, s[20:21]
	;; [unrolled: 1-line block ×4, first 2 shown]
	s_barrier
	ds_write2_b64 v79, v[5:6], v[1:2] offset1:1
	ds_write_b64 v79, v[3:4] offset:16
	v_lshlrev_b32_e32 v1, 3, v89
	v_lshlrev_b32_e32 v3, 3, v91
	;; [unrolled: 1-line block ×3, first 2 shown]
	s_waitcnt lgkmcnt(0)
	s_barrier
	ds_read_b64 v[1:2], v1
	ds_read_b64 v[5:6], v3
	;; [unrolled: 1-line block ×3, first 2 shown]
	v_cndmask_b32_e64 v10, v14, v18, s[14:15]
	s_waitcnt lgkmcnt(0)
	s_barrier
	ds_write2_b64 v79, v[7:8], v[11:12] offset1:1
	ds_write_b64 v79, v[9:10] offset:16
	v_mov_b32_e32 v11, v40
	s_waitcnt lgkmcnt(0)
	s_barrier
	s_and_saveexec_b64 s[16:17], s[0:1]
	s_cbranch_execz .LBB145_18
; %bb.15:                               ;   in Loop: Header=BB145_2 Depth=1
	s_mov_b64 s[18:19], 0
	v_mov_b32_e32 v11, v40
	v_mov_b32_e32 v7, v41
.LBB145_16:                             ;   Parent Loop BB145_2 Depth=1
                                        ; =>  This Inner Loop Header: Depth=2
	v_sub_u32_e32 v8, v7, v11
	v_lshrrev_b32_e32 v8, 1, v8
	v_add_u32_e32 v10, v8, v11
	v_not_b32_e32 v9, v10
	v_lshl_add_u32 v8, v10, 3, v81
	v_lshl_add_u32 v12, v9, 3, v42
	ds_read_b64 v[8:9], v8
	ds_read_b64 v[12:13], v12 offset:48
	v_add_u32_e32 v14, 1, v10
	s_waitcnt lgkmcnt(0)
	v_cmp_lt_i64_e64 s[14:15], v[12:13], v[8:9]
	v_cndmask_b32_e64 v7, v7, v10, s[14:15]
	v_cndmask_b32_e64 v11, v14, v11, s[14:15]
	v_cmp_ge_i32_e64 s[14:15], v11, v7
	s_or_b64 s[18:19], s[14:15], s[18:19]
	s_andn2_b64 exec, exec, s[18:19]
	s_cbranch_execnz .LBB145_16
; %bb.17:                               ;   in Loop: Header=BB145_2 Depth=1
	s_or_b64 exec, exec, s[18:19]
.LBB145_18:                             ;   in Loop: Header=BB145_2 Depth=1
	s_or_b64 exec, exec, s[16:17]
	v_lshl_add_u32 v13, v11, 3, v81
	v_sub_u32_e32 v7, v43, v11
	v_lshlrev_b32_e32 v15, 3, v7
	ds_read_b64 v[7:8], v13
	ds_read_b64 v[9:10], v15 offset:48
	v_add_u32_e32 v89, v11, v39
	v_sub_u32_e32 v90, v44, v11
	v_cmp_le_i32_e64 s[18:19], v21, v89
	v_cmp_gt_i32_e64 s[14:15], v22, v90
	s_waitcnt lgkmcnt(0)
	v_cmp_lt_i64_e64 s[16:17], v[9:10], v[7:8]
                                        ; implicit-def: $vgpr11_vgpr12
	s_or_b64 s[16:17], s[18:19], s[16:17]
	s_and_b64 s[14:15], s[14:15], s[16:17]
	s_xor_b64 s[16:17], s[14:15], -1
	s_and_saveexec_b64 s[18:19], s[16:17]
	s_xor_b64 s[16:17], exec, s[18:19]
; %bb.19:                               ;   in Loop: Header=BB145_2 Depth=1
	ds_read_b64 v[11:12], v13 offset:8
                                        ; implicit-def: $vgpr15
; %bb.20:                               ;   in Loop: Header=BB145_2 Depth=1
	s_or_saveexec_b64 s[16:17], s[16:17]
	v_mov_b32_e32 v14, v10
	v_mov_b32_e32 v13, v9
	s_xor_b64 exec, exec, s[16:17]
	s_cbranch_execz .LBB145_22
; %bb.21:                               ;   in Loop: Header=BB145_2 Depth=1
	ds_read_b64 v[13:14], v15 offset:56
	s_waitcnt lgkmcnt(1)
	v_mov_b32_e32 v12, v8
	v_mov_b32_e32 v11, v7
.LBB145_22:                             ;   in Loop: Header=BB145_2 Depth=1
	s_or_b64 exec, exec, s[16:17]
	v_add_u32_e32 v16, 1, v89
	v_add_u32_e32 v15, 1, v90
	v_cndmask_b32_e64 v92, v16, v89, s[14:15]
	s_waitcnt lgkmcnt(0)
	v_cmp_lt_i64_e64 s[18:19], v[13:14], v[11:12]
	v_cndmask_b32_e64 v91, v90, v15, s[14:15]
	v_cmp_ge_i32_e64 s[20:21], v92, v21
	v_cmp_lt_i32_e64 s[16:17], v91, v22
	s_or_b64 s[18:19], s[20:21], s[18:19]
	s_and_b64 s[16:17], s[16:17], s[18:19]
	s_xor_b64 s[18:19], s[16:17], -1
                                        ; implicit-def: $vgpr15_vgpr16
	s_and_saveexec_b64 s[20:21], s[18:19]
	s_xor_b64 s[18:19], exec, s[20:21]
; %bb.23:                               ;   in Loop: Header=BB145_2 Depth=1
	v_lshlrev_b32_e32 v15, 3, v92
	ds_read_b64 v[15:16], v15 offset:8
; %bb.24:                               ;   in Loop: Header=BB145_2 Depth=1
	s_or_saveexec_b64 s[18:19], s[18:19]
	v_mov_b32_e32 v18, v14
	v_mov_b32_e32 v17, v13
	s_xor_b64 exec, exec, s[18:19]
	s_cbranch_execz .LBB145_26
; %bb.25:                               ;   in Loop: Header=BB145_2 Depth=1
	s_waitcnt lgkmcnt(0)
	v_lshlrev_b32_e32 v15, 3, v91
	ds_read_b64 v[17:18], v15 offset:8
	v_mov_b32_e32 v16, v12
	v_mov_b32_e32 v15, v11
.LBB145_26:                             ;   in Loop: Header=BB145_2 Depth=1
	s_or_b64 exec, exec, s[18:19]
	v_cndmask_b32_e64 v12, v12, v14, s[16:17]
	v_cndmask_b32_e64 v11, v11, v13, s[16:17]
	v_add_u32_e32 v13, 1, v91
	v_add_u32_e32 v14, 1, v92
	v_cndmask_b32_e64 v13, v91, v13, s[16:17]
	v_cndmask_b32_e64 v14, v14, v92, s[16:17]
	;; [unrolled: 1-line block ×3, first 2 shown]
	s_waitcnt lgkmcnt(0)
	v_cmp_lt_i64_e64 s[16:17], v[17:18], v[15:16]
	v_cmp_ge_i32_e64 s[18:19], v14, v21
	v_cndmask_b32_e64 v8, v8, v10, s[14:15]
	v_cndmask_b32_e64 v7, v7, v9, s[14:15]
	;; [unrolled: 1-line block ×3, first 2 shown]
	v_cmp_lt_i32_e64 s[14:15], v13, v22
	s_or_b64 s[16:17], s[18:19], s[16:17]
	s_and_b64 s[14:15], s[14:15], s[16:17]
	v_cndmask_b32_e64 v13, v14, v13, s[14:15]
	s_barrier
	ds_write2_b64 v79, v[1:2], v[5:6] offset1:1
	ds_write_b64 v79, v[3:4] offset:16
	v_lshlrev_b32_e32 v1, 3, v89
	v_lshlrev_b32_e32 v3, 3, v91
	;; [unrolled: 1-line block ×3, first 2 shown]
	s_waitcnt lgkmcnt(0)
	s_barrier
	ds_read_b64 v[1:2], v1
	ds_read_b64 v[5:6], v3
	;; [unrolled: 1-line block ×3, first 2 shown]
	v_cndmask_b32_e64 v10, v16, v18, s[14:15]
	v_cndmask_b32_e64 v9, v15, v17, s[14:15]
	s_waitcnt lgkmcnt(0)
	s_barrier
	ds_write2_b64 v79, v[7:8], v[11:12] offset1:1
	ds_write_b64 v79, v[9:10] offset:16
	v_mov_b32_e32 v11, v46
	s_waitcnt lgkmcnt(0)
	s_barrier
	s_and_saveexec_b64 s[16:17], s[2:3]
	s_cbranch_execz .LBB145_30
; %bb.27:                               ;   in Loop: Header=BB145_2 Depth=1
	s_mov_b64 s[18:19], 0
	v_mov_b32_e32 v11, v46
	v_mov_b32_e32 v7, v47
.LBB145_28:                             ;   Parent Loop BB145_2 Depth=1
                                        ; =>  This Inner Loop Header: Depth=2
	v_sub_u32_e32 v8, v7, v11
	v_lshrrev_b32_e32 v8, 1, v8
	v_add_u32_e32 v10, v8, v11
	v_not_b32_e32 v9, v10
	v_lshl_add_u32 v8, v10, 3, v82
	v_lshl_add_u32 v12, v9, 3, v48
	ds_read_b64 v[8:9], v8
	ds_read_b64 v[12:13], v12 offset:96
	v_add_u32_e32 v14, 1, v10
	s_waitcnt lgkmcnt(0)
	v_cmp_lt_i64_e64 s[14:15], v[12:13], v[8:9]
	v_cndmask_b32_e64 v7, v7, v10, s[14:15]
	v_cndmask_b32_e64 v11, v14, v11, s[14:15]
	v_cmp_ge_i32_e64 s[14:15], v11, v7
	s_or_b64 s[18:19], s[14:15], s[18:19]
	s_andn2_b64 exec, exec, s[18:19]
	s_cbranch_execnz .LBB145_28
; %bb.29:                               ;   in Loop: Header=BB145_2 Depth=1
	s_or_b64 exec, exec, s[18:19]
.LBB145_30:                             ;   in Loop: Header=BB145_2 Depth=1
	s_or_b64 exec, exec, s[16:17]
	v_lshl_add_u32 v13, v11, 3, v82
	v_sub_u32_e32 v7, v49, v11
	v_lshlrev_b32_e32 v15, 3, v7
	ds_read_b64 v[7:8], v13
	ds_read_b64 v[9:10], v15 offset:96
	v_add_u32_e32 v89, v11, v45
	v_sub_u32_e32 v90, v50, v11
	v_cmp_le_i32_e64 s[18:19], v24, v89
	v_cmp_gt_i32_e64 s[14:15], v23, v90
	s_waitcnt lgkmcnt(0)
	v_cmp_lt_i64_e64 s[16:17], v[9:10], v[7:8]
                                        ; implicit-def: $vgpr11_vgpr12
	s_or_b64 s[16:17], s[18:19], s[16:17]
	s_and_b64 s[14:15], s[14:15], s[16:17]
	s_xor_b64 s[16:17], s[14:15], -1
	s_and_saveexec_b64 s[18:19], s[16:17]
	s_xor_b64 s[16:17], exec, s[18:19]
; %bb.31:                               ;   in Loop: Header=BB145_2 Depth=1
	ds_read_b64 v[11:12], v13 offset:8
                                        ; implicit-def: $vgpr15
; %bb.32:                               ;   in Loop: Header=BB145_2 Depth=1
	s_or_saveexec_b64 s[16:17], s[16:17]
	v_mov_b32_e32 v14, v10
	v_mov_b32_e32 v13, v9
	s_xor_b64 exec, exec, s[16:17]
	s_cbranch_execz .LBB145_34
; %bb.33:                               ;   in Loop: Header=BB145_2 Depth=1
	ds_read_b64 v[13:14], v15 offset:104
	s_waitcnt lgkmcnt(1)
	v_mov_b32_e32 v12, v8
	v_mov_b32_e32 v11, v7
.LBB145_34:                             ;   in Loop: Header=BB145_2 Depth=1
	s_or_b64 exec, exec, s[16:17]
	v_add_u32_e32 v16, 1, v89
	v_add_u32_e32 v15, 1, v90
	v_cndmask_b32_e64 v92, v16, v89, s[14:15]
	s_waitcnt lgkmcnt(0)
	v_cmp_lt_i64_e64 s[18:19], v[13:14], v[11:12]
	v_cndmask_b32_e64 v91, v90, v15, s[14:15]
	v_cmp_ge_i32_e64 s[20:21], v92, v24
	v_cmp_lt_i32_e64 s[16:17], v91, v23
	s_or_b64 s[18:19], s[20:21], s[18:19]
	s_and_b64 s[16:17], s[16:17], s[18:19]
	s_xor_b64 s[18:19], s[16:17], -1
                                        ; implicit-def: $vgpr15_vgpr16
	s_and_saveexec_b64 s[20:21], s[18:19]
	s_xor_b64 s[18:19], exec, s[20:21]
; %bb.35:                               ;   in Loop: Header=BB145_2 Depth=1
	v_lshlrev_b32_e32 v15, 3, v92
	ds_read_b64 v[15:16], v15 offset:8
; %bb.36:                               ;   in Loop: Header=BB145_2 Depth=1
	s_or_saveexec_b64 s[18:19], s[18:19]
	v_mov_b32_e32 v18, v14
	v_mov_b32_e32 v17, v13
	s_xor_b64 exec, exec, s[18:19]
	s_cbranch_execz .LBB145_38
; %bb.37:                               ;   in Loop: Header=BB145_2 Depth=1
	s_waitcnt lgkmcnt(0)
	v_lshlrev_b32_e32 v15, 3, v91
	ds_read_b64 v[17:18], v15 offset:8
	v_mov_b32_e32 v16, v12
	v_mov_b32_e32 v15, v11
.LBB145_38:                             ;   in Loop: Header=BB145_2 Depth=1
	s_or_b64 exec, exec, s[18:19]
	v_cndmask_b32_e64 v12, v12, v14, s[16:17]
	v_cndmask_b32_e64 v11, v11, v13, s[16:17]
	v_add_u32_e32 v13, 1, v91
	v_add_u32_e32 v14, 1, v92
	v_cndmask_b32_e64 v13, v91, v13, s[16:17]
	v_cndmask_b32_e64 v14, v14, v92, s[16:17]
	;; [unrolled: 1-line block ×3, first 2 shown]
	s_waitcnt lgkmcnt(0)
	v_cmp_lt_i64_e64 s[16:17], v[17:18], v[15:16]
	v_cmp_ge_i32_e64 s[18:19], v14, v24
	v_cndmask_b32_e64 v8, v8, v10, s[14:15]
	v_cndmask_b32_e64 v7, v7, v9, s[14:15]
	;; [unrolled: 1-line block ×3, first 2 shown]
	v_cmp_lt_i32_e64 s[14:15], v13, v23
	s_or_b64 s[16:17], s[18:19], s[16:17]
	s_and_b64 s[14:15], s[14:15], s[16:17]
	v_cndmask_b32_e64 v13, v14, v13, s[14:15]
	s_barrier
	ds_write2_b64 v79, v[1:2], v[5:6] offset1:1
	ds_write_b64 v79, v[3:4] offset:16
	v_lshlrev_b32_e32 v1, 3, v89
	v_lshlrev_b32_e32 v3, 3, v91
	;; [unrolled: 1-line block ×3, first 2 shown]
	s_waitcnt lgkmcnt(0)
	s_barrier
	ds_read_b64 v[1:2], v1
	ds_read_b64 v[5:6], v3
	ds_read_b64 v[3:4], v4
	v_cndmask_b32_e64 v10, v16, v18, s[14:15]
	v_cndmask_b32_e64 v9, v15, v17, s[14:15]
	s_waitcnt lgkmcnt(0)
	s_barrier
	ds_write2_b64 v79, v[7:8], v[11:12] offset1:1
	ds_write_b64 v79, v[9:10] offset:16
	v_mov_b32_e32 v11, v52
	s_waitcnt lgkmcnt(0)
	s_barrier
	s_and_saveexec_b64 s[16:17], s[4:5]
	s_cbranch_execz .LBB145_42
; %bb.39:                               ;   in Loop: Header=BB145_2 Depth=1
	s_mov_b64 s[18:19], 0
	v_mov_b32_e32 v11, v52
	v_mov_b32_e32 v7, v53
.LBB145_40:                             ;   Parent Loop BB145_2 Depth=1
                                        ; =>  This Inner Loop Header: Depth=2
	v_sub_u32_e32 v8, v7, v11
	v_lshrrev_b32_e32 v8, 1, v8
	v_add_u32_e32 v10, v8, v11
	v_not_b32_e32 v9, v10
	v_lshl_add_u32 v8, v10, 3, v83
	v_lshl_add_u32 v12, v9, 3, v54
	ds_read_b64 v[8:9], v8
	ds_read_b64 v[12:13], v12 offset:192
	v_add_u32_e32 v14, 1, v10
	s_waitcnt lgkmcnt(0)
	v_cmp_lt_i64_e64 s[14:15], v[12:13], v[8:9]
	v_cndmask_b32_e64 v7, v7, v10, s[14:15]
	v_cndmask_b32_e64 v11, v14, v11, s[14:15]
	v_cmp_ge_i32_e64 s[14:15], v11, v7
	s_or_b64 s[18:19], s[14:15], s[18:19]
	s_andn2_b64 exec, exec, s[18:19]
	s_cbranch_execnz .LBB145_40
; %bb.41:                               ;   in Loop: Header=BB145_2 Depth=1
	s_or_b64 exec, exec, s[18:19]
.LBB145_42:                             ;   in Loop: Header=BB145_2 Depth=1
	s_or_b64 exec, exec, s[16:17]
	v_lshl_add_u32 v13, v11, 3, v83
	v_sub_u32_e32 v7, v55, v11
	v_lshlrev_b32_e32 v15, 3, v7
	ds_read_b64 v[7:8], v13
	ds_read_b64 v[9:10], v15 offset:192
	v_add_u32_e32 v89, v11, v51
	v_sub_u32_e32 v90, v56, v11
	v_cmp_le_i32_e64 s[18:19], v26, v89
	v_cmp_gt_i32_e64 s[14:15], v25, v90
	s_waitcnt lgkmcnt(0)
	v_cmp_lt_i64_e64 s[16:17], v[9:10], v[7:8]
                                        ; implicit-def: $vgpr11_vgpr12
	s_or_b64 s[16:17], s[18:19], s[16:17]
	s_and_b64 s[14:15], s[14:15], s[16:17]
	s_xor_b64 s[16:17], s[14:15], -1
	s_and_saveexec_b64 s[18:19], s[16:17]
	s_xor_b64 s[16:17], exec, s[18:19]
; %bb.43:                               ;   in Loop: Header=BB145_2 Depth=1
	ds_read_b64 v[11:12], v13 offset:8
                                        ; implicit-def: $vgpr15
; %bb.44:                               ;   in Loop: Header=BB145_2 Depth=1
	s_or_saveexec_b64 s[16:17], s[16:17]
	v_mov_b32_e32 v14, v10
	v_mov_b32_e32 v13, v9
	s_xor_b64 exec, exec, s[16:17]
	s_cbranch_execz .LBB145_46
; %bb.45:                               ;   in Loop: Header=BB145_2 Depth=1
	ds_read_b64 v[13:14], v15 offset:200
	s_waitcnt lgkmcnt(1)
	v_mov_b32_e32 v12, v8
	v_mov_b32_e32 v11, v7
.LBB145_46:                             ;   in Loop: Header=BB145_2 Depth=1
	s_or_b64 exec, exec, s[16:17]
	v_add_u32_e32 v16, 1, v89
	v_add_u32_e32 v15, 1, v90
	v_cndmask_b32_e64 v92, v16, v89, s[14:15]
	s_waitcnt lgkmcnt(0)
	v_cmp_lt_i64_e64 s[18:19], v[13:14], v[11:12]
	v_cndmask_b32_e64 v91, v90, v15, s[14:15]
	v_cmp_ge_i32_e64 s[20:21], v92, v26
	v_cmp_lt_i32_e64 s[16:17], v91, v25
	s_or_b64 s[18:19], s[20:21], s[18:19]
	s_and_b64 s[16:17], s[16:17], s[18:19]
	s_xor_b64 s[18:19], s[16:17], -1
                                        ; implicit-def: $vgpr15_vgpr16
	s_and_saveexec_b64 s[20:21], s[18:19]
	s_xor_b64 s[18:19], exec, s[20:21]
; %bb.47:                               ;   in Loop: Header=BB145_2 Depth=1
	v_lshlrev_b32_e32 v15, 3, v92
	ds_read_b64 v[15:16], v15 offset:8
; %bb.48:                               ;   in Loop: Header=BB145_2 Depth=1
	s_or_saveexec_b64 s[18:19], s[18:19]
	v_mov_b32_e32 v18, v14
	v_mov_b32_e32 v17, v13
	s_xor_b64 exec, exec, s[18:19]
	s_cbranch_execz .LBB145_50
; %bb.49:                               ;   in Loop: Header=BB145_2 Depth=1
	s_waitcnt lgkmcnt(0)
	v_lshlrev_b32_e32 v15, 3, v91
	ds_read_b64 v[17:18], v15 offset:8
	v_mov_b32_e32 v16, v12
	v_mov_b32_e32 v15, v11
.LBB145_50:                             ;   in Loop: Header=BB145_2 Depth=1
	s_or_b64 exec, exec, s[18:19]
	v_cndmask_b32_e64 v12, v12, v14, s[16:17]
	v_cndmask_b32_e64 v11, v11, v13, s[16:17]
	v_add_u32_e32 v13, 1, v91
	v_add_u32_e32 v14, 1, v92
	v_cndmask_b32_e64 v13, v91, v13, s[16:17]
	v_cndmask_b32_e64 v14, v14, v92, s[16:17]
	;; [unrolled: 1-line block ×3, first 2 shown]
	s_waitcnt lgkmcnt(0)
	v_cmp_lt_i64_e64 s[16:17], v[17:18], v[15:16]
	v_cmp_ge_i32_e64 s[18:19], v14, v26
	v_cndmask_b32_e64 v8, v8, v10, s[14:15]
	v_cndmask_b32_e64 v7, v7, v9, s[14:15]
	;; [unrolled: 1-line block ×3, first 2 shown]
	v_cmp_lt_i32_e64 s[14:15], v13, v25
	s_or_b64 s[16:17], s[18:19], s[16:17]
	s_and_b64 s[14:15], s[14:15], s[16:17]
	v_cndmask_b32_e64 v13, v14, v13, s[14:15]
	s_barrier
	ds_write2_b64 v79, v[1:2], v[5:6] offset1:1
	ds_write_b64 v79, v[3:4] offset:16
	v_lshlrev_b32_e32 v1, 3, v89
	v_lshlrev_b32_e32 v3, 3, v91
	;; [unrolled: 1-line block ×3, first 2 shown]
	s_waitcnt lgkmcnt(0)
	s_barrier
	ds_read_b64 v[1:2], v1
	ds_read_b64 v[5:6], v3
	;; [unrolled: 1-line block ×3, first 2 shown]
	v_cndmask_b32_e64 v10, v16, v18, s[14:15]
	v_cndmask_b32_e64 v9, v15, v17, s[14:15]
	s_waitcnt lgkmcnt(0)
	s_barrier
	ds_write2_b64 v79, v[7:8], v[11:12] offset1:1
	ds_write_b64 v79, v[9:10] offset:16
	v_mov_b32_e32 v11, v58
	s_waitcnt lgkmcnt(0)
	s_barrier
	s_and_saveexec_b64 s[16:17], s[6:7]
	s_cbranch_execz .LBB145_54
; %bb.51:                               ;   in Loop: Header=BB145_2 Depth=1
	s_mov_b64 s[18:19], 0
	v_mov_b32_e32 v11, v58
	v_mov_b32_e32 v7, v59
.LBB145_52:                             ;   Parent Loop BB145_2 Depth=1
                                        ; =>  This Inner Loop Header: Depth=2
	v_sub_u32_e32 v8, v7, v11
	v_lshrrev_b32_e32 v8, 1, v8
	v_add_u32_e32 v10, v8, v11
	v_not_b32_e32 v9, v10
	v_lshl_add_u32 v8, v10, 3, v84
	v_lshl_add_u32 v12, v9, 3, v60
	ds_read_b64 v[8:9], v8
	ds_read_b64 v[12:13], v12 offset:384
	v_add_u32_e32 v14, 1, v10
	s_waitcnt lgkmcnt(0)
	v_cmp_lt_i64_e64 s[14:15], v[12:13], v[8:9]
	v_cndmask_b32_e64 v7, v7, v10, s[14:15]
	v_cndmask_b32_e64 v11, v14, v11, s[14:15]
	v_cmp_ge_i32_e64 s[14:15], v11, v7
	s_or_b64 s[18:19], s[14:15], s[18:19]
	s_andn2_b64 exec, exec, s[18:19]
	s_cbranch_execnz .LBB145_52
; %bb.53:                               ;   in Loop: Header=BB145_2 Depth=1
	s_or_b64 exec, exec, s[18:19]
.LBB145_54:                             ;   in Loop: Header=BB145_2 Depth=1
	s_or_b64 exec, exec, s[16:17]
	v_lshl_add_u32 v13, v11, 3, v84
	v_sub_u32_e32 v7, v61, v11
	v_lshlrev_b32_e32 v15, 3, v7
	ds_read_b64 v[7:8], v13
	ds_read_b64 v[9:10], v15 offset:384
	v_add_u32_e32 v89, v11, v57
	v_sub_u32_e32 v90, v62, v11
	v_cmp_le_i32_e64 s[18:19], v28, v89
	v_cmp_gt_i32_e64 s[14:15], v27, v90
	s_waitcnt lgkmcnt(0)
	v_cmp_lt_i64_e64 s[16:17], v[9:10], v[7:8]
                                        ; implicit-def: $vgpr11_vgpr12
	s_or_b64 s[16:17], s[18:19], s[16:17]
	s_and_b64 s[14:15], s[14:15], s[16:17]
	s_xor_b64 s[16:17], s[14:15], -1
	s_and_saveexec_b64 s[18:19], s[16:17]
	s_xor_b64 s[16:17], exec, s[18:19]
; %bb.55:                               ;   in Loop: Header=BB145_2 Depth=1
	ds_read_b64 v[11:12], v13 offset:8
                                        ; implicit-def: $vgpr15
; %bb.56:                               ;   in Loop: Header=BB145_2 Depth=1
	s_or_saveexec_b64 s[16:17], s[16:17]
	v_mov_b32_e32 v14, v10
	v_mov_b32_e32 v13, v9
	s_xor_b64 exec, exec, s[16:17]
	s_cbranch_execz .LBB145_58
; %bb.57:                               ;   in Loop: Header=BB145_2 Depth=1
	ds_read_b64 v[13:14], v15 offset:392
	s_waitcnt lgkmcnt(1)
	v_mov_b32_e32 v12, v8
	v_mov_b32_e32 v11, v7
.LBB145_58:                             ;   in Loop: Header=BB145_2 Depth=1
	s_or_b64 exec, exec, s[16:17]
	v_add_u32_e32 v16, 1, v89
	v_add_u32_e32 v15, 1, v90
	v_cndmask_b32_e64 v92, v16, v89, s[14:15]
	s_waitcnt lgkmcnt(0)
	v_cmp_lt_i64_e64 s[18:19], v[13:14], v[11:12]
	v_cndmask_b32_e64 v91, v90, v15, s[14:15]
	v_cmp_ge_i32_e64 s[20:21], v92, v28
	v_cmp_lt_i32_e64 s[16:17], v91, v27
	s_or_b64 s[18:19], s[20:21], s[18:19]
	s_and_b64 s[16:17], s[16:17], s[18:19]
	s_xor_b64 s[18:19], s[16:17], -1
                                        ; implicit-def: $vgpr15_vgpr16
	s_and_saveexec_b64 s[20:21], s[18:19]
	s_xor_b64 s[18:19], exec, s[20:21]
; %bb.59:                               ;   in Loop: Header=BB145_2 Depth=1
	v_lshlrev_b32_e32 v15, 3, v92
	ds_read_b64 v[15:16], v15 offset:8
; %bb.60:                               ;   in Loop: Header=BB145_2 Depth=1
	s_or_saveexec_b64 s[18:19], s[18:19]
	v_mov_b32_e32 v18, v14
	v_mov_b32_e32 v17, v13
	s_xor_b64 exec, exec, s[18:19]
	s_cbranch_execz .LBB145_62
; %bb.61:                               ;   in Loop: Header=BB145_2 Depth=1
	s_waitcnt lgkmcnt(0)
	v_lshlrev_b32_e32 v15, 3, v91
	ds_read_b64 v[17:18], v15 offset:8
	v_mov_b32_e32 v16, v12
	v_mov_b32_e32 v15, v11
.LBB145_62:                             ;   in Loop: Header=BB145_2 Depth=1
	s_or_b64 exec, exec, s[18:19]
	v_cndmask_b32_e64 v12, v12, v14, s[16:17]
	v_cndmask_b32_e64 v11, v11, v13, s[16:17]
	v_add_u32_e32 v13, 1, v91
	v_add_u32_e32 v14, 1, v92
	v_cndmask_b32_e64 v13, v91, v13, s[16:17]
	v_cndmask_b32_e64 v14, v14, v92, s[16:17]
	;; [unrolled: 1-line block ×3, first 2 shown]
	s_waitcnt lgkmcnt(0)
	v_cmp_lt_i64_e64 s[16:17], v[17:18], v[15:16]
	v_cmp_ge_i32_e64 s[18:19], v14, v28
	v_cndmask_b32_e64 v8, v8, v10, s[14:15]
	v_cndmask_b32_e64 v7, v7, v9, s[14:15]
	;; [unrolled: 1-line block ×3, first 2 shown]
	v_cmp_lt_i32_e64 s[14:15], v13, v27
	s_or_b64 s[16:17], s[18:19], s[16:17]
	s_and_b64 s[14:15], s[14:15], s[16:17]
	v_cndmask_b32_e64 v13, v14, v13, s[14:15]
	s_barrier
	ds_write2_b64 v79, v[1:2], v[5:6] offset1:1
	ds_write_b64 v79, v[3:4] offset:16
	v_lshlrev_b32_e32 v1, 3, v89
	v_lshlrev_b32_e32 v3, 3, v91
	v_lshlrev_b32_e32 v4, 3, v13
	s_waitcnt lgkmcnt(0)
	s_barrier
	ds_read_b64 v[1:2], v1
	ds_read_b64 v[5:6], v3
	;; [unrolled: 1-line block ×3, first 2 shown]
	v_cndmask_b32_e64 v10, v16, v18, s[14:15]
	v_cndmask_b32_e64 v9, v15, v17, s[14:15]
	s_waitcnt lgkmcnt(0)
	s_barrier
	ds_write2_b64 v79, v[7:8], v[11:12] offset1:1
	ds_write_b64 v79, v[9:10] offset:16
	v_mov_b32_e32 v11, v64
	s_waitcnt lgkmcnt(0)
	s_barrier
	s_and_saveexec_b64 s[16:17], s[8:9]
	s_cbranch_execz .LBB145_66
; %bb.63:                               ;   in Loop: Header=BB145_2 Depth=1
	s_mov_b64 s[18:19], 0
	v_mov_b32_e32 v11, v64
	v_mov_b32_e32 v7, v65
.LBB145_64:                             ;   Parent Loop BB145_2 Depth=1
                                        ; =>  This Inner Loop Header: Depth=2
	v_sub_u32_e32 v8, v7, v11
	v_lshrrev_b32_e32 v8, 1, v8
	v_add_u32_e32 v10, v8, v11
	v_not_b32_e32 v9, v10
	v_lshl_add_u32 v8, v10, 3, v85
	v_lshl_add_u32 v12, v9, 3, v66
	ds_read_b64 v[8:9], v8
	ds_read_b64 v[12:13], v12 offset:768
	v_add_u32_e32 v14, 1, v10
	s_waitcnt lgkmcnt(0)
	v_cmp_lt_i64_e64 s[14:15], v[12:13], v[8:9]
	v_cndmask_b32_e64 v7, v7, v10, s[14:15]
	v_cndmask_b32_e64 v11, v14, v11, s[14:15]
	v_cmp_ge_i32_e64 s[14:15], v11, v7
	s_or_b64 s[18:19], s[14:15], s[18:19]
	s_andn2_b64 exec, exec, s[18:19]
	s_cbranch_execnz .LBB145_64
; %bb.65:                               ;   in Loop: Header=BB145_2 Depth=1
	s_or_b64 exec, exec, s[18:19]
.LBB145_66:                             ;   in Loop: Header=BB145_2 Depth=1
	s_or_b64 exec, exec, s[16:17]
	v_lshl_add_u32 v13, v11, 3, v85
	v_sub_u32_e32 v7, v67, v11
	v_lshlrev_b32_e32 v15, 3, v7
	ds_read_b64 v[7:8], v13
	ds_read_b64 v[9:10], v15 offset:768
	v_add_u32_e32 v89, v11, v63
	v_sub_u32_e32 v90, v68, v11
	v_cmp_le_i32_e64 s[18:19], v30, v89
	v_cmp_gt_i32_e64 s[14:15], v29, v90
	s_waitcnt lgkmcnt(0)
	v_cmp_lt_i64_e64 s[16:17], v[9:10], v[7:8]
                                        ; implicit-def: $vgpr11_vgpr12
	s_or_b64 s[16:17], s[18:19], s[16:17]
	s_and_b64 s[14:15], s[14:15], s[16:17]
	s_xor_b64 s[16:17], s[14:15], -1
	s_and_saveexec_b64 s[18:19], s[16:17]
	s_xor_b64 s[16:17], exec, s[18:19]
; %bb.67:                               ;   in Loop: Header=BB145_2 Depth=1
	ds_read_b64 v[11:12], v13 offset:8
                                        ; implicit-def: $vgpr15
; %bb.68:                               ;   in Loop: Header=BB145_2 Depth=1
	s_or_saveexec_b64 s[16:17], s[16:17]
	v_mov_b32_e32 v14, v10
	v_mov_b32_e32 v13, v9
	s_xor_b64 exec, exec, s[16:17]
	s_cbranch_execz .LBB145_70
; %bb.69:                               ;   in Loop: Header=BB145_2 Depth=1
	ds_read_b64 v[13:14], v15 offset:776
	s_waitcnt lgkmcnt(1)
	v_mov_b32_e32 v12, v8
	v_mov_b32_e32 v11, v7
.LBB145_70:                             ;   in Loop: Header=BB145_2 Depth=1
	s_or_b64 exec, exec, s[16:17]
	v_add_u32_e32 v16, 1, v89
	v_add_u32_e32 v15, 1, v90
	v_cndmask_b32_e64 v92, v16, v89, s[14:15]
	s_waitcnt lgkmcnt(0)
	v_cmp_lt_i64_e64 s[18:19], v[13:14], v[11:12]
	v_cndmask_b32_e64 v91, v90, v15, s[14:15]
	v_cmp_ge_i32_e64 s[20:21], v92, v30
	v_cmp_lt_i32_e64 s[16:17], v91, v29
	s_or_b64 s[18:19], s[20:21], s[18:19]
	s_and_b64 s[16:17], s[16:17], s[18:19]
	s_xor_b64 s[18:19], s[16:17], -1
                                        ; implicit-def: $vgpr15_vgpr16
	s_and_saveexec_b64 s[20:21], s[18:19]
	s_xor_b64 s[18:19], exec, s[20:21]
; %bb.71:                               ;   in Loop: Header=BB145_2 Depth=1
	v_lshlrev_b32_e32 v15, 3, v92
	ds_read_b64 v[15:16], v15 offset:8
; %bb.72:                               ;   in Loop: Header=BB145_2 Depth=1
	s_or_saveexec_b64 s[18:19], s[18:19]
	v_mov_b32_e32 v18, v14
	v_mov_b32_e32 v17, v13
	s_xor_b64 exec, exec, s[18:19]
	s_cbranch_execz .LBB145_74
; %bb.73:                               ;   in Loop: Header=BB145_2 Depth=1
	s_waitcnt lgkmcnt(0)
	v_lshlrev_b32_e32 v15, 3, v91
	ds_read_b64 v[17:18], v15 offset:8
	v_mov_b32_e32 v16, v12
	v_mov_b32_e32 v15, v11
.LBB145_74:                             ;   in Loop: Header=BB145_2 Depth=1
	s_or_b64 exec, exec, s[18:19]
	v_cndmask_b32_e64 v12, v12, v14, s[16:17]
	v_cndmask_b32_e64 v11, v11, v13, s[16:17]
	v_add_u32_e32 v13, 1, v91
	v_add_u32_e32 v14, 1, v92
	v_cndmask_b32_e64 v13, v91, v13, s[16:17]
	v_cndmask_b32_e64 v14, v14, v92, s[16:17]
	;; [unrolled: 1-line block ×3, first 2 shown]
	s_waitcnt lgkmcnt(0)
	v_cmp_lt_i64_e64 s[16:17], v[17:18], v[15:16]
	v_cmp_ge_i32_e64 s[18:19], v14, v30
	v_cndmask_b32_e64 v8, v8, v10, s[14:15]
	v_cndmask_b32_e64 v7, v7, v9, s[14:15]
	;; [unrolled: 1-line block ×3, first 2 shown]
	v_cmp_lt_i32_e64 s[14:15], v13, v29
	s_or_b64 s[16:17], s[18:19], s[16:17]
	s_and_b64 s[14:15], s[14:15], s[16:17]
	v_cndmask_b32_e64 v13, v14, v13, s[14:15]
	s_barrier
	ds_write2_b64 v79, v[1:2], v[5:6] offset1:1
	ds_write_b64 v79, v[3:4] offset:16
	v_lshlrev_b32_e32 v1, 3, v89
	v_lshlrev_b32_e32 v3, 3, v91
	;; [unrolled: 1-line block ×3, first 2 shown]
	s_waitcnt lgkmcnt(0)
	s_barrier
	ds_read_b64 v[1:2], v1
	ds_read_b64 v[5:6], v3
	;; [unrolled: 1-line block ×3, first 2 shown]
	v_cndmask_b32_e64 v10, v16, v18, s[14:15]
	v_cndmask_b32_e64 v9, v15, v17, s[14:15]
	s_waitcnt lgkmcnt(0)
	s_barrier
	ds_write2_b64 v79, v[7:8], v[11:12] offset1:1
	ds_write_b64 v79, v[9:10] offset:16
	v_mov_b32_e32 v11, v70
	s_waitcnt lgkmcnt(0)
	s_barrier
	s_and_saveexec_b64 s[16:17], s[10:11]
	s_cbranch_execz .LBB145_78
; %bb.75:                               ;   in Loop: Header=BB145_2 Depth=1
	s_mov_b64 s[18:19], 0
	v_mov_b32_e32 v11, v70
	v_mov_b32_e32 v7, v71
.LBB145_76:                             ;   Parent Loop BB145_2 Depth=1
                                        ; =>  This Inner Loop Header: Depth=2
	v_sub_u32_e32 v8, v7, v11
	v_lshrrev_b32_e32 v8, 1, v8
	v_add_u32_e32 v10, v8, v11
	v_not_b32_e32 v9, v10
	v_lshl_add_u32 v8, v10, 3, v86
	v_lshl_add_u32 v12, v9, 3, v72
	ds_read_b64 v[8:9], v8
	ds_read_b64 v[12:13], v12 offset:1536
	v_add_u32_e32 v14, 1, v10
	s_waitcnt lgkmcnt(0)
	v_cmp_lt_i64_e64 s[14:15], v[12:13], v[8:9]
	v_cndmask_b32_e64 v7, v7, v10, s[14:15]
	v_cndmask_b32_e64 v11, v14, v11, s[14:15]
	v_cmp_ge_i32_e64 s[14:15], v11, v7
	s_or_b64 s[18:19], s[14:15], s[18:19]
	s_andn2_b64 exec, exec, s[18:19]
	s_cbranch_execnz .LBB145_76
; %bb.77:                               ;   in Loop: Header=BB145_2 Depth=1
	s_or_b64 exec, exec, s[18:19]
.LBB145_78:                             ;   in Loop: Header=BB145_2 Depth=1
	s_or_b64 exec, exec, s[16:17]
	v_lshl_add_u32 v13, v11, 3, v86
	v_sub_u32_e32 v7, v73, v11
	v_lshlrev_b32_e32 v15, 3, v7
	ds_read_b64 v[7:8], v13
	ds_read_b64 v[9:10], v15 offset:1536
	v_add_u32_e32 v89, v11, v69
	v_sub_u32_e32 v90, v74, v11
	v_cmp_le_i32_e64 s[18:19], v32, v89
	v_cmp_gt_i32_e64 s[14:15], v31, v90
	s_waitcnt lgkmcnt(0)
	v_cmp_lt_i64_e64 s[16:17], v[9:10], v[7:8]
                                        ; implicit-def: $vgpr11_vgpr12
	s_or_b64 s[16:17], s[18:19], s[16:17]
	s_and_b64 s[14:15], s[14:15], s[16:17]
	s_xor_b64 s[16:17], s[14:15], -1
	s_and_saveexec_b64 s[18:19], s[16:17]
	s_xor_b64 s[16:17], exec, s[18:19]
; %bb.79:                               ;   in Loop: Header=BB145_2 Depth=1
	ds_read_b64 v[11:12], v13 offset:8
                                        ; implicit-def: $vgpr15
; %bb.80:                               ;   in Loop: Header=BB145_2 Depth=1
	s_or_saveexec_b64 s[16:17], s[16:17]
	v_mov_b32_e32 v14, v10
	v_mov_b32_e32 v13, v9
	s_xor_b64 exec, exec, s[16:17]
	s_cbranch_execz .LBB145_82
; %bb.81:                               ;   in Loop: Header=BB145_2 Depth=1
	ds_read_b64 v[13:14], v15 offset:1544
	s_waitcnt lgkmcnt(1)
	v_mov_b32_e32 v12, v8
	v_mov_b32_e32 v11, v7
.LBB145_82:                             ;   in Loop: Header=BB145_2 Depth=1
	s_or_b64 exec, exec, s[16:17]
	v_add_u32_e32 v16, 1, v89
	v_add_u32_e32 v15, 1, v90
	v_cndmask_b32_e64 v92, v16, v89, s[14:15]
	s_waitcnt lgkmcnt(0)
	v_cmp_lt_i64_e64 s[18:19], v[13:14], v[11:12]
	v_cndmask_b32_e64 v91, v90, v15, s[14:15]
	v_cmp_ge_i32_e64 s[20:21], v92, v32
	v_cmp_lt_i32_e64 s[16:17], v91, v31
	s_or_b64 s[18:19], s[20:21], s[18:19]
	s_and_b64 s[16:17], s[16:17], s[18:19]
	s_xor_b64 s[18:19], s[16:17], -1
                                        ; implicit-def: $vgpr15_vgpr16
	s_and_saveexec_b64 s[20:21], s[18:19]
	s_xor_b64 s[18:19], exec, s[20:21]
; %bb.83:                               ;   in Loop: Header=BB145_2 Depth=1
	v_lshlrev_b32_e32 v15, 3, v92
	ds_read_b64 v[15:16], v15 offset:8
; %bb.84:                               ;   in Loop: Header=BB145_2 Depth=1
	s_or_saveexec_b64 s[18:19], s[18:19]
	v_mov_b32_e32 v18, v14
	v_mov_b32_e32 v17, v13
	s_xor_b64 exec, exec, s[18:19]
	s_cbranch_execz .LBB145_86
; %bb.85:                               ;   in Loop: Header=BB145_2 Depth=1
	s_waitcnt lgkmcnt(0)
	v_lshlrev_b32_e32 v15, 3, v91
	ds_read_b64 v[17:18], v15 offset:8
	v_mov_b32_e32 v16, v12
	v_mov_b32_e32 v15, v11
.LBB145_86:                             ;   in Loop: Header=BB145_2 Depth=1
	s_or_b64 exec, exec, s[18:19]
	v_cndmask_b32_e64 v12, v12, v14, s[16:17]
	v_cndmask_b32_e64 v11, v11, v13, s[16:17]
	v_add_u32_e32 v13, 1, v91
	v_add_u32_e32 v14, 1, v92
	v_cndmask_b32_e64 v13, v91, v13, s[16:17]
	v_cndmask_b32_e64 v14, v14, v92, s[16:17]
	;; [unrolled: 1-line block ×3, first 2 shown]
	s_waitcnt lgkmcnt(0)
	v_cmp_lt_i64_e64 s[16:17], v[17:18], v[15:16]
	v_cmp_ge_i32_e64 s[18:19], v14, v32
	v_cndmask_b32_e64 v8, v8, v10, s[14:15]
	v_cndmask_b32_e64 v7, v7, v9, s[14:15]
	;; [unrolled: 1-line block ×3, first 2 shown]
	v_cmp_lt_i32_e64 s[14:15], v13, v31
	s_or_b64 s[16:17], s[18:19], s[16:17]
	s_and_b64 s[14:15], s[14:15], s[16:17]
	v_cndmask_b32_e64 v13, v14, v13, s[14:15]
	s_barrier
	ds_write2_b64 v79, v[1:2], v[5:6] offset1:1
	ds_write_b64 v79, v[3:4] offset:16
	v_lshlrev_b32_e32 v1, 3, v89
	v_lshlrev_b32_e32 v3, 3, v91
	;; [unrolled: 1-line block ×3, first 2 shown]
	s_waitcnt lgkmcnt(0)
	s_barrier
	ds_read_b64 v[1:2], v1
	ds_read_b64 v[5:6], v3
	;; [unrolled: 1-line block ×3, first 2 shown]
	v_mov_b32_e32 v89, v77
	v_cndmask_b32_e64 v10, v16, v18, s[14:15]
	v_cndmask_b32_e64 v9, v15, v17, s[14:15]
	s_waitcnt lgkmcnt(0)
	s_barrier
	ds_write2_b64 v79, v[7:8], v[11:12] offset1:1
	ds_write_b64 v79, v[9:10] offset:16
	s_waitcnt lgkmcnt(0)
	s_barrier
	s_and_saveexec_b64 s[16:17], s[12:13]
	s_cbranch_execz .LBB145_90
; %bb.87:                               ;   in Loop: Header=BB145_2 Depth=1
	s_mov_b64 s[18:19], 0
	v_mov_b32_e32 v89, v77
	v_mov_b32_e32 v7, v78
.LBB145_88:                             ;   Parent Loop BB145_2 Depth=1
                                        ; =>  This Inner Loop Header: Depth=2
	v_sub_u32_e32 v8, v7, v89
	v_lshrrev_b32_e32 v8, 1, v8
	v_add_u32_e32 v12, v8, v89
	v_not_b32_e32 v9, v12
	v_lshlrev_b32_e32 v8, 3, v12
	v_lshl_add_u32 v10, v9, 3, v88
	ds_read_b64 v[8:9], v8
	ds_read_b64 v[10:11], v10 offset:3072
	v_add_u32_e32 v13, 1, v12
	s_waitcnt lgkmcnt(0)
	v_cmp_lt_i64_e64 s[14:15], v[10:11], v[8:9]
	v_cndmask_b32_e64 v7, v7, v12, s[14:15]
	v_cndmask_b32_e64 v89, v13, v89, s[14:15]
	v_cmp_ge_i32_e64 s[14:15], v89, v7
	s_or_b64 s[18:19], s[14:15], s[18:19]
	s_andn2_b64 exec, exec, s[18:19]
	s_cbranch_execnz .LBB145_88
; %bb.89:                               ;   in Loop: Header=BB145_2 Depth=1
	s_or_b64 exec, exec, s[18:19]
.LBB145_90:                             ;   in Loop: Header=BB145_2 Depth=1
	s_or_b64 exec, exec, s[16:17]
	v_lshlrev_b32_e32 v11, 3, v89
	v_sub_u32_e32 v7, v76, v89
	v_lshlrev_b32_e32 v15, 3, v7
	ds_read_b64 v[7:8], v11
	ds_read_b64 v[13:14], v15 offset:3072
	v_sub_u32_e32 v90, v87, v89
	v_cmp_le_i32_e64 s[18:19], v75, v89
	v_cmp_gt_i32_e64 s[14:15], s28, v90
                                        ; implicit-def: $vgpr9_vgpr10
	s_waitcnt lgkmcnt(0)
	v_cmp_lt_i64_e64 s[16:17], v[13:14], v[7:8]
	s_or_b64 s[16:17], s[18:19], s[16:17]
	s_and_b64 s[14:15], s[14:15], s[16:17]
	s_xor_b64 s[16:17], s[14:15], -1
	s_and_saveexec_b64 s[18:19], s[16:17]
	s_xor_b64 s[16:17], exec, s[18:19]
; %bb.91:                               ;   in Loop: Header=BB145_2 Depth=1
	ds_read_b64 v[9:10], v11 offset:8
                                        ; implicit-def: $vgpr15
; %bb.92:                               ;   in Loop: Header=BB145_2 Depth=1
	s_or_saveexec_b64 s[16:17], s[16:17]
	v_mov_b32_e32 v11, v13
	v_mov_b32_e32 v12, v14
	s_xor_b64 exec, exec, s[16:17]
	s_cbranch_execz .LBB145_94
; %bb.93:                               ;   in Loop: Header=BB145_2 Depth=1
	ds_read_b64 v[11:12], v15 offset:3080
	s_waitcnt lgkmcnt(1)
	v_mov_b32_e32 v10, v8
	v_mov_b32_e32 v9, v7
.LBB145_94:                             ;   in Loop: Header=BB145_2 Depth=1
	s_or_b64 exec, exec, s[16:17]
	v_add_u32_e32 v16, 1, v89
	v_add_u32_e32 v15, 1, v90
	v_cndmask_b32_e64 v94, v16, v89, s[14:15]
	s_waitcnt lgkmcnt(0)
	v_cmp_lt_i64_e64 s[18:19], v[11:12], v[9:10]
	v_cndmask_b32_e64 v91, v90, v15, s[14:15]
	v_cmp_ge_i32_e64 s[20:21], v94, v75
	v_cmp_gt_i32_e64 s[16:17], s28, v91
	s_or_b64 s[18:19], s[20:21], s[18:19]
	s_and_b64 s[16:17], s[16:17], s[18:19]
	s_xor_b64 s[18:19], s[16:17], -1
                                        ; implicit-def: $vgpr15_vgpr16
                                        ; implicit-def: $vgpr93
	s_and_saveexec_b64 s[20:21], s[18:19]
	s_xor_b64 s[18:19], exec, s[20:21]
; %bb.95:                               ;   in Loop: Header=BB145_2 Depth=1
	v_lshlrev_b32_e32 v15, 3, v94
	ds_read_b64 v[15:16], v15 offset:8
	v_add_u32_e32 v93, 1, v94
; %bb.96:                               ;   in Loop: Header=BB145_2 Depth=1
	s_or_saveexec_b64 s[18:19], s[18:19]
	v_mov_b32_e32 v18, v12
	v_mov_b32_e32 v92, v94
	;; [unrolled: 1-line block ×3, first 2 shown]
	s_xor_b64 exec, exec, s[18:19]
	s_cbranch_execz .LBB145_1
; %bb.97:                               ;   in Loop: Header=BB145_2 Depth=1
	s_waitcnt lgkmcnt(0)
	v_lshlrev_b32_e32 v16, 3, v91
	ds_read_b64 v[17:18], v16 offset:8
	v_add_u32_e32 v15, 1, v91
	v_mov_b32_e32 v92, v91
	v_mov_b32_e32 v91, v15
	;; [unrolled: 1-line block ×5, first 2 shown]
	s_branch .LBB145_1
.LBB145_98:
	s_waitcnt lgkmcnt(2)
	v_add_co_u32_e32 v5, vcc, v7, v5
	v_addc_co_u32_e32 v6, vcc, v8, v6, vcc
	s_waitcnt lgkmcnt(1)
	v_add_co_u32_e32 v3, vcc, v9, v3
	v_addc_co_u32_e32 v4, vcc, v10, v4, vcc
	s_waitcnt lgkmcnt(0)
	v_add_co_u32_e32 v1, vcc, v11, v1
	s_add_u32 s0, s30, s34
	v_addc_co_u32_e32 v2, vcc, v12, v2, vcc
	s_addc_u32 s1, s31, s35
	v_lshlrev_b32_e32 v0, 3, v0
	v_mov_b32_e32 v7, s1
	v_add_co_u32_e32 v8, vcc, s0, v0
	v_addc_co_u32_e32 v7, vcc, 0, v7, vcc
	global_store_dwordx2 v0, v[5:6], s[0:1]
	global_store_dwordx2 v0, v[3:4], s[0:1] offset:2048
	v_add_co_u32_e32 v3, vcc, 0x1000, v8
	v_addc_co_u32_e32 v4, vcc, 0, v7, vcc
	global_store_dwordx2 v[3:4], v[1:2], off
	s_endpgm
	.section	.rodata,"a",@progbits
	.p2align	6, 0x0
	.amdhsa_kernel _Z17sort_pairs_kernelIxLj256ELj3EN10test_utils4lessELj10EEvPKT_PS2_T2_
		.amdhsa_group_segment_fixed_size 6152
		.amdhsa_private_segment_fixed_size 0
		.amdhsa_kernarg_size 20
		.amdhsa_user_sgpr_count 6
		.amdhsa_user_sgpr_private_segment_buffer 1
		.amdhsa_user_sgpr_dispatch_ptr 0
		.amdhsa_user_sgpr_queue_ptr 0
		.amdhsa_user_sgpr_kernarg_segment_ptr 1
		.amdhsa_user_sgpr_dispatch_id 0
		.amdhsa_user_sgpr_flat_scratch_init 0
		.amdhsa_user_sgpr_private_segment_size 0
		.amdhsa_uses_dynamic_stack 0
		.amdhsa_system_sgpr_private_segment_wavefront_offset 0
		.amdhsa_system_sgpr_workgroup_id_x 1
		.amdhsa_system_sgpr_workgroup_id_y 0
		.amdhsa_system_sgpr_workgroup_id_z 0
		.amdhsa_system_sgpr_workgroup_info 0
		.amdhsa_system_vgpr_workitem_id 0
		.amdhsa_next_free_vgpr 95
		.amdhsa_next_free_sgpr 38
		.amdhsa_reserve_vcc 1
		.amdhsa_reserve_flat_scratch 0
		.amdhsa_float_round_mode_32 0
		.amdhsa_float_round_mode_16_64 0
		.amdhsa_float_denorm_mode_32 3
		.amdhsa_float_denorm_mode_16_64 3
		.amdhsa_dx10_clamp 1
		.amdhsa_ieee_mode 1
		.amdhsa_fp16_overflow 0
		.amdhsa_exception_fp_ieee_invalid_op 0
		.amdhsa_exception_fp_denorm_src 0
		.amdhsa_exception_fp_ieee_div_zero 0
		.amdhsa_exception_fp_ieee_overflow 0
		.amdhsa_exception_fp_ieee_underflow 0
		.amdhsa_exception_fp_ieee_inexact 0
		.amdhsa_exception_int_div_zero 0
	.end_amdhsa_kernel
	.section	.text._Z17sort_pairs_kernelIxLj256ELj3EN10test_utils4lessELj10EEvPKT_PS2_T2_,"axG",@progbits,_Z17sort_pairs_kernelIxLj256ELj3EN10test_utils4lessELj10EEvPKT_PS2_T2_,comdat
.Lfunc_end145:
	.size	_Z17sort_pairs_kernelIxLj256ELj3EN10test_utils4lessELj10EEvPKT_PS2_T2_, .Lfunc_end145-_Z17sort_pairs_kernelIxLj256ELj3EN10test_utils4lessELj10EEvPKT_PS2_T2_
                                        ; -- End function
	.set _Z17sort_pairs_kernelIxLj256ELj3EN10test_utils4lessELj10EEvPKT_PS2_T2_.num_vgpr, 95
	.set _Z17sort_pairs_kernelIxLj256ELj3EN10test_utils4lessELj10EEvPKT_PS2_T2_.num_agpr, 0
	.set _Z17sort_pairs_kernelIxLj256ELj3EN10test_utils4lessELj10EEvPKT_PS2_T2_.numbered_sgpr, 38
	.set _Z17sort_pairs_kernelIxLj256ELj3EN10test_utils4lessELj10EEvPKT_PS2_T2_.num_named_barrier, 0
	.set _Z17sort_pairs_kernelIxLj256ELj3EN10test_utils4lessELj10EEvPKT_PS2_T2_.private_seg_size, 0
	.set _Z17sort_pairs_kernelIxLj256ELj3EN10test_utils4lessELj10EEvPKT_PS2_T2_.uses_vcc, 1
	.set _Z17sort_pairs_kernelIxLj256ELj3EN10test_utils4lessELj10EEvPKT_PS2_T2_.uses_flat_scratch, 0
	.set _Z17sort_pairs_kernelIxLj256ELj3EN10test_utils4lessELj10EEvPKT_PS2_T2_.has_dyn_sized_stack, 0
	.set _Z17sort_pairs_kernelIxLj256ELj3EN10test_utils4lessELj10EEvPKT_PS2_T2_.has_recursion, 0
	.set _Z17sort_pairs_kernelIxLj256ELj3EN10test_utils4lessELj10EEvPKT_PS2_T2_.has_indirect_call, 0
	.section	.AMDGPU.csdata,"",@progbits
; Kernel info:
; codeLenInByte = 6472
; TotalNumSgprs: 42
; NumVgprs: 95
; ScratchSize: 0
; MemoryBound: 0
; FloatMode: 240
; IeeeMode: 1
; LDSByteSize: 6152 bytes/workgroup (compile time only)
; SGPRBlocks: 5
; VGPRBlocks: 23
; NumSGPRsForWavesPerEU: 42
; NumVGPRsForWavesPerEU: 95
; Occupancy: 2
; WaveLimiterHint : 1
; COMPUTE_PGM_RSRC2:SCRATCH_EN: 0
; COMPUTE_PGM_RSRC2:USER_SGPR: 6
; COMPUTE_PGM_RSRC2:TRAP_HANDLER: 0
; COMPUTE_PGM_RSRC2:TGID_X_EN: 1
; COMPUTE_PGM_RSRC2:TGID_Y_EN: 0
; COMPUTE_PGM_RSRC2:TGID_Z_EN: 0
; COMPUTE_PGM_RSRC2:TIDIG_COMP_CNT: 0
	.section	.text._Z16sort_keys_kernelIxLj256ELj4EN10test_utils4lessELj10EEvPKT_PS2_T2_,"axG",@progbits,_Z16sort_keys_kernelIxLj256ELj4EN10test_utils4lessELj10EEvPKT_PS2_T2_,comdat
	.protected	_Z16sort_keys_kernelIxLj256ELj4EN10test_utils4lessELj10EEvPKT_PS2_T2_ ; -- Begin function _Z16sort_keys_kernelIxLj256ELj4EN10test_utils4lessELj10EEvPKT_PS2_T2_
	.globl	_Z16sort_keys_kernelIxLj256ELj4EN10test_utils4lessELj10EEvPKT_PS2_T2_
	.p2align	8
	.type	_Z16sort_keys_kernelIxLj256ELj4EN10test_utils4lessELj10EEvPKT_PS2_T2_,@function
_Z16sort_keys_kernelIxLj256ELj4EN10test_utils4lessELj10EEvPKT_PS2_T2_: ; @_Z16sort_keys_kernelIxLj256ELj4EN10test_utils4lessELj10EEvPKT_PS2_T2_
; %bb.0:
	s_load_dwordx4 s[24:27], s[4:5], 0x0
	s_lshl_b32 s28, s6, 10
	s_mov_b32 s29, 0
	s_lshl_b64 s[30:31], s[28:29], 3
	v_lshlrev_b32_e32 v11, 3, v0
	s_waitcnt lgkmcnt(0)
	s_add_u32 s0, s24, s30
	s_addc_u32 s1, s25, s31
	v_mov_b32_e32 v1, s1
	v_add_co_u32_e32 v2, vcc, s0, v11
	v_addc_co_u32_e32 v1, vcc, 0, v1, vcc
	s_movk_i32 s2, 0x1000
	v_add_co_u32_e32 v9, vcc, s2, v2
	v_addc_co_u32_e32 v10, vcc, 0, v1, vcc
	global_load_dwordx2 v[1:2], v[9:10], off
	global_load_dwordx2 v[3:4], v[9:10], off offset:2048
	global_load_dwordx2 v[5:6], v11, s[0:1]
	global_load_dwordx2 v[7:8], v11, s[0:1] offset:2048
	v_lshlrev_b32_e32 v12, 2, v0
	v_and_b32_e32 v34, 0x200, v12
	v_or_b32_e32 v35, 0x100, v34
	v_add_u32_e32 v36, 0x200, v34
	v_and_b32_e32 v19, 0x3f0, v12
	v_and_b32_e32 v71, 0x1fc, v12
	v_sub_u32_e32 v9, v36, v35
	v_or_b32_e32 v20, 8, v19
	v_add_u32_e32 v21, 16, v19
	v_sub_u32_e32 v10, v71, v9
	v_and_b32_e32 v37, 0x3f8, v12
	v_and_b32_e32 v11, 4, v12
	v_cmp_ge_i32_e64 s[10:11], v71, v9
	v_sub_u32_e32 v9, v35, v34
	v_and_b32_e32 v13, 12, v12
	v_sub_u32_e32 v14, v21, v20
	v_and_b32_e32 v22, 0x3e0, v12
	v_and_b32_e32 v25, 0x3c0, v12
	v_or_b32_e32 v38, 4, v37
	v_min_i32_e32 v53, v71, v9
	v_lshlrev_b32_e32 v9, 3, v11
	v_sub_u32_e32 v15, v13, v14
	v_and_b32_e32 v16, 28, v12
	v_or_b32_e32 v23, 16, v22
	v_or_b32_e32 v26, 32, v25
	v_add_u32_e32 v27, 64, v25
	v_and_b32_e32 v28, 0x380, v12
	v_cmp_ge_i32_e64 s[0:1], v13, v14
	v_sub_u32_e32 v14, v20, v19
	v_lshl_add_u32 v59, v38, 3, v9
	v_lshlrev_b32_e32 v9, 3, v13
	v_and_b32_e32 v65, 60, v12
	v_sub_u32_e32 v46, v27, v26
	v_or_b32_e32 v29, 64, v28
	v_add_u32_e32 v30, 0x80, v28
	v_and_b32_e32 v31, 0x300, v12
	v_add_u32_e32 v39, 8, v37
	v_min_i32_e32 v43, v13, v14
	v_sub_u32_e32 v14, v23, v22
	v_lshl_add_u32 v61, v20, 3, v9
	v_lshlrev_b32_e32 v9, 3, v16
	v_add_u32_e32 v24, 32, v22
	v_sub_u32_e32 v47, v65, v46
	v_and_b32_e32 v67, 0x7c, v12
	v_sub_u32_e32 v48, v30, v29
	v_or_b32_e32 v32, 0x80, v31
	v_add_u32_e32 v33, 0x100, v31
	v_sub_u32_e32 v40, v39, v38
	v_min_i32_e32 v45, v16, v14
	v_cmp_ge_i32_e64 s[4:5], v65, v46
	v_sub_u32_e32 v14, v26, v25
	v_lshl_add_u32 v63, v23, 3, v9
	v_lshlrev_b32_e32 v9, 3, v65
	v_sub_u32_e32 v17, v24, v23
	v_sub_u32_e32 v49, v67, v48
	v_and_b32_e32 v69, 0xfc, v12
	v_sub_u32_e32 v50, v33, v32
	v_sub_u32_e32 v41, v11, v40
	v_cmp_ge_i32_e32 vcc, v11, v40
	v_cndmask_b32_e64 v46, 0, v47, s[4:5]
	v_min_i32_e32 v47, v65, v14
	v_cmp_ge_i32_e64 s[6:7], v67, v48
	v_sub_u32_e32 v14, v29, v28
	v_add_u32_e32 v64, v26, v65
	v_lshl_add_u32 v65, v26, 3, v9
	v_lshlrev_b32_e32 v9, 3, v67
	v_sub_u32_e32 v18, v16, v17
	v_sub_u32_e32 v51, v69, v50
	v_cndmask_b32_e32 v40, 0, v41, vcc
	v_sub_u32_e32 v41, v38, v37
	v_cmp_ge_i32_e64 s[2:3], v16, v17
	v_cndmask_b32_e64 v48, 0, v49, s[6:7]
	v_min_i32_e32 v49, v67, v14
	v_cmp_ge_i32_e64 s[8:9], v69, v50
	v_sub_u32_e32 v14, v32, v31
	v_mov_b32_e32 v54, 0x200
	v_add_u32_e32 v66, v29, v67
	v_lshl_add_u32 v67, v29, 3, v9
	v_lshlrev_b32_e32 v9, 3, v69
	v_min_i32_e32 v41, v11, v41
	v_cndmask_b32_e64 v42, 0, v15, s[0:1]
	v_cndmask_b32_e64 v44, 0, v18, s[2:3]
	;; [unrolled: 1-line block ×3, first 2 shown]
	v_min_i32_e32 v51, v69, v14
	v_cndmask_b32_e64 v52, 0, v10, s[10:11]
	v_sub_u32_e64 v55, v12, v54 clamp
	v_min_i32_e32 v56, 0x200, v12
	v_add_u32_e32 v68, v32, v69
	v_lshl_add_u32 v69, v32, 3, v9
	v_lshlrev_b32_e32 v9, 3, v71
	v_lshlrev_b32_e32 v72, 5, v0
	v_cmp_lt_i32_e32 vcc, v40, v41
	v_cmp_lt_i32_e64 s[0:1], v42, v43
	v_cmp_lt_i32_e64 s[2:3], v44, v45
	;; [unrolled: 1-line block ×7, first 2 shown]
	v_add_u32_e32 v57, 0x200, v12
	v_add_u32_e32 v58, v38, v11
	;; [unrolled: 1-line block ×5, first 2 shown]
	v_lshl_add_u32 v71, v35, 3, v9
	s_movk_i32 s24, 0x400
	v_lshlrev_b32_e32 v73, 3, v37
	v_lshlrev_b32_e32 v74, 3, v19
	;; [unrolled: 1-line block ×7, first 2 shown]
	v_add_u32_e32 v80, 0x1000, v72
	s_branch .LBB146_2
.LBB146_1:                              ;   in Loop: Header=BB146_2 Depth=1
	s_or_b64 exec, exec, s[20:21]
	v_cndmask_b32_e64 v8, v8, v10, s[16:17]
	v_cndmask_b32_e64 v7, v7, v9, s[16:17]
	s_waitcnt lgkmcnt(0)
	v_cmp_lt_i64_e64 s[16:17], v[17:18], v[15:16]
	v_cndmask_b32_e64 v6, v2, v4, s[14:15]
	v_cndmask_b32_e64 v5, v1, v3, s[14:15]
	;; [unrolled: 1-line block ×4, first 2 shown]
	v_cmp_ge_i32_e64 s[18:19], v82, v54
	v_cmp_gt_i32_e64 s[14:15], s24, v81
	s_or_b64 s[16:17], s[18:19], s[16:17]
	s_and_b64 s[14:15], s[14:15], s[16:17]
	s_add_i32 s29, s29, 1
	v_cndmask_b32_e64 v4, v16, v18, s[14:15]
	s_cmp_eq_u32 s29, 10
	v_cndmask_b32_e64 v3, v15, v17, s[14:15]
	s_cbranch_scc1 .LBB146_130
.LBB146_2:                              ; =>This Loop Header: Depth=1
                                        ;     Child Loop BB146_4 Depth 2
                                        ;     Child Loop BB146_20 Depth 2
	;; [unrolled: 1-line block ×8, first 2 shown]
	s_waitcnt vmcnt(0)
	v_cmp_lt_i64_e64 s[14:15], v[7:8], v[5:6]
	v_cndmask_b32_e64 v10, v6, v8, s[14:15]
	v_cndmask_b32_e64 v9, v5, v7, s[14:15]
	v_cndmask_b32_e64 v11, v7, v5, s[14:15]
	v_cndmask_b32_e64 v12, v8, v6, s[14:15]
	v_cmp_gt_i64_e64 s[14:15], v[7:8], v[5:6]
	s_barrier
	v_cndmask_b32_e64 v6, v6, v8, s[14:15]
	v_cndmask_b32_e64 v5, v5, v7, s[14:15]
	v_cmp_lt_i64_e64 s[14:15], v[3:4], v[1:2]
	v_cndmask_b32_e64 v8, v2, v4, s[14:15]
	v_cndmask_b32_e64 v7, v1, v3, s[14:15]
	;; [unrolled: 1-line block ×4, first 2 shown]
	v_cmp_gt_i64_e64 s[14:15], v[3:4], v[1:2]
	v_cmp_gt_i64_e64 s[16:17], v[7:8], v[5:6]
	v_cndmask_b32_e64 v2, v2, v4, s[14:15]
	v_cndmask_b32_e64 v1, v1, v3, s[14:15]
	v_cmp_lt_i64_e64 s[14:15], v[7:8], v[5:6]
	v_cndmask_b32_e64 v17, v5, v7, s[16:17]
	v_cndmask_b32_e64 v15, v8, v6, s[14:15]
	;; [unrolled: 1-line block ×7, first 2 shown]
	v_cmp_lt_i64_e64 s[14:15], v[7:8], v[9:10]
	v_cndmask_b32_e64 v18, v6, v8, s[16:17]
	v_cndmask_b32_e64 v4, v10, v82, s[14:15]
	v_cndmask_b32_e64 v3, v9, v81, s[14:15]
	v_cndmask_b32_e64 v11, v11, v9, s[14:15]
	v_cndmask_b32_e64 v12, v12, v10, s[14:15]
	v_cndmask_b32_e64 v8, v82, v10, s[14:15]
	v_cndmask_b32_e64 v7, v81, v9, s[14:15]
	v_cmp_gt_i64_e64 s[14:15], v[5:6], v[1:2]
	v_cndmask_b32_e64 v9, v16, v1, s[14:15]
	v_cndmask_b32_e64 v10, v15, v2, s[14:15]
	;; [unrolled: 1-line block ×6, first 2 shown]
	v_cmp_lt_i64_e64 s[14:15], v[1:2], v[7:8]
	v_cndmask_b32_e64 v2, v12, v2, s[14:15]
	v_cndmask_b32_e64 v1, v11, v1, s[14:15]
	;; [unrolled: 1-line block ×4, first 2 shown]
	ds_write2_b64 v72, v[3:4], v[1:2] offset1:1
	ds_write2_b64 v72, v[7:8], v[5:6] offset0:2 offset1:3
	v_mov_b32_e32 v5, v40
	s_waitcnt lgkmcnt(0)
	s_barrier
	s_and_saveexec_b64 s[16:17], vcc
	s_cbranch_execz .LBB146_6
; %bb.3:                                ;   in Loop: Header=BB146_2 Depth=1
	s_mov_b64 s[18:19], 0
	v_mov_b32_e32 v5, v40
	v_mov_b32_e32 v1, v41
.LBB146_4:                              ;   Parent Loop BB146_2 Depth=1
                                        ; =>  This Inner Loop Header: Depth=2
	v_sub_u32_e32 v2, v1, v5
	v_lshrrev_b32_e32 v2, 1, v2
	v_add_u32_e32 v4, v2, v5
	v_not_b32_e32 v3, v4
	v_lshl_add_u32 v2, v4, 3, v73
	v_lshl_add_u32 v6, v3, 3, v59
	ds_read_b64 v[2:3], v2
	ds_read_b64 v[6:7], v6
	v_add_u32_e32 v8, 1, v4
	s_waitcnt lgkmcnt(0)
	v_cmp_lt_i64_e64 s[14:15], v[6:7], v[2:3]
	v_cndmask_b32_e64 v1, v1, v4, s[14:15]
	v_cndmask_b32_e64 v5, v8, v5, s[14:15]
	v_cmp_ge_i32_e64 s[14:15], v5, v1
	s_or_b64 s[18:19], s[14:15], s[18:19]
	s_andn2_b64 exec, exec, s[18:19]
	s_cbranch_execnz .LBB146_4
; %bb.5:                                ;   in Loop: Header=BB146_2 Depth=1
	s_or_b64 exec, exec, s[18:19]
.LBB146_6:                              ;   in Loop: Header=BB146_2 Depth=1
	s_or_b64 exec, exec, s[16:17]
	v_sub_u32_e32 v9, v58, v5
	v_lshl_add_u32 v7, v5, 3, v73
	v_lshlrev_b32_e32 v11, 3, v9
	ds_read_b64 v[1:2], v7
	ds_read_b64 v[3:4], v11
	v_add_u32_e32 v10, v5, v37
	v_cmp_le_i32_e64 s[18:19], v38, v10
	v_cmp_gt_i32_e64 s[14:15], v39, v9
                                        ; implicit-def: $vgpr5_vgpr6
	s_waitcnt lgkmcnt(0)
	v_cmp_lt_i64_e64 s[16:17], v[3:4], v[1:2]
	s_or_b64 s[16:17], s[18:19], s[16:17]
	s_and_b64 s[14:15], s[14:15], s[16:17]
	s_xor_b64 s[16:17], s[14:15], -1
	s_and_saveexec_b64 s[18:19], s[16:17]
	s_xor_b64 s[16:17], exec, s[18:19]
; %bb.7:                                ;   in Loop: Header=BB146_2 Depth=1
	ds_read_b64 v[5:6], v7 offset:8
                                        ; implicit-def: $vgpr11
; %bb.8:                                ;   in Loop: Header=BB146_2 Depth=1
	s_or_saveexec_b64 s[16:17], s[16:17]
	v_mov_b32_e32 v8, v4
	v_mov_b32_e32 v7, v3
	s_xor_b64 exec, exec, s[16:17]
	s_cbranch_execz .LBB146_10
; %bb.9:                                ;   in Loop: Header=BB146_2 Depth=1
	ds_read_b64 v[7:8], v11 offset:8
	s_waitcnt lgkmcnt(1)
	v_mov_b32_e32 v6, v2
	v_mov_b32_e32 v5, v1
.LBB146_10:                             ;   in Loop: Header=BB146_2 Depth=1
	s_or_b64 exec, exec, s[16:17]
	v_add_u32_e32 v12, 1, v10
	v_add_u32_e32 v11, 1, v9
	v_cndmask_b32_e64 v14, v12, v10, s[14:15]
	s_waitcnt lgkmcnt(0)
	v_cmp_lt_i64_e64 s[18:19], v[7:8], v[5:6]
	v_cndmask_b32_e64 v13, v9, v11, s[14:15]
	v_cmp_ge_i32_e64 s[20:21], v14, v38
	v_cmp_lt_i32_e64 s[16:17], v13, v39
	s_or_b64 s[18:19], s[20:21], s[18:19]
	s_and_b64 s[16:17], s[16:17], s[18:19]
	s_xor_b64 s[18:19], s[16:17], -1
                                        ; implicit-def: $vgpr9_vgpr10
	s_and_saveexec_b64 s[20:21], s[18:19]
	s_xor_b64 s[18:19], exec, s[20:21]
; %bb.11:                               ;   in Loop: Header=BB146_2 Depth=1
	v_lshlrev_b32_e32 v9, 3, v14
	ds_read_b64 v[9:10], v9 offset:8
; %bb.12:                               ;   in Loop: Header=BB146_2 Depth=1
	s_or_saveexec_b64 s[18:19], s[18:19]
	v_mov_b32_e32 v12, v8
	v_mov_b32_e32 v11, v7
	s_xor_b64 exec, exec, s[18:19]
	s_cbranch_execz .LBB146_14
; %bb.13:                               ;   in Loop: Header=BB146_2 Depth=1
	s_waitcnt lgkmcnt(0)
	v_lshlrev_b32_e32 v9, 3, v13
	ds_read_b64 v[11:12], v9 offset:8
	v_mov_b32_e32 v10, v6
	v_mov_b32_e32 v9, v5
.LBB146_14:                             ;   in Loop: Header=BB146_2 Depth=1
	s_or_b64 exec, exec, s[18:19]
	v_add_u32_e32 v16, 1, v14
	v_add_u32_e32 v15, 1, v13
	v_cndmask_b32_e64 v18, v16, v14, s[16:17]
	s_waitcnt lgkmcnt(0)
	v_cmp_lt_i64_e64 s[20:21], v[11:12], v[9:10]
	v_cndmask_b32_e64 v17, v13, v15, s[16:17]
	v_cmp_ge_i32_e64 s[22:23], v18, v38
	v_cmp_lt_i32_e64 s[18:19], v17, v39
	s_or_b64 s[20:21], s[22:23], s[20:21]
	s_and_b64 s[18:19], s[18:19], s[20:21]
	s_xor_b64 s[20:21], s[18:19], -1
                                        ; implicit-def: $vgpr13_vgpr14
	s_and_saveexec_b64 s[22:23], s[20:21]
	s_xor_b64 s[20:21], exec, s[22:23]
; %bb.15:                               ;   in Loop: Header=BB146_2 Depth=1
	v_lshlrev_b32_e32 v13, 3, v18
	ds_read_b64 v[13:14], v13 offset:8
; %bb.16:                               ;   in Loop: Header=BB146_2 Depth=1
	s_or_saveexec_b64 s[20:21], s[20:21]
	v_mov_b32_e32 v16, v12
	v_mov_b32_e32 v15, v11
	s_xor_b64 exec, exec, s[20:21]
	s_cbranch_execz .LBB146_18
; %bb.17:                               ;   in Loop: Header=BB146_2 Depth=1
	s_waitcnt lgkmcnt(0)
	v_lshlrev_b32_e32 v13, 3, v17
	ds_read_b64 v[15:16], v13 offset:8
	v_mov_b32_e32 v14, v10
	v_mov_b32_e32 v13, v9
.LBB146_18:                             ;   in Loop: Header=BB146_2 Depth=1
	s_or_b64 exec, exec, s[20:21]
	v_cndmask_b32_e64 v10, v10, v12, s[18:19]
	v_add_u32_e32 v12, 1, v18
	v_cndmask_b32_e64 v9, v9, v11, s[18:19]
	v_add_u32_e32 v11, 1, v17
	v_cndmask_b32_e64 v12, v12, v18, s[18:19]
	v_cndmask_b32_e64 v6, v6, v8, s[16:17]
	v_cndmask_b32_e64 v5, v5, v7, s[16:17]
	s_waitcnt lgkmcnt(0)
	v_cmp_lt_i64_e64 s[16:17], v[15:16], v[13:14]
	v_cndmask_b32_e64 v11, v17, v11, s[18:19]
	v_cmp_ge_i32_e64 s[18:19], v12, v38
	v_cndmask_b32_e64 v2, v2, v4, s[14:15]
	v_cndmask_b32_e64 v1, v1, v3, s[14:15]
	v_cmp_lt_i32_e64 s[14:15], v11, v39
	s_or_b64 s[16:17], s[18:19], s[16:17]
	s_and_b64 s[14:15], s[14:15], s[16:17]
	v_cndmask_b32_e64 v4, v14, v16, s[14:15]
	v_cndmask_b32_e64 v3, v13, v15, s[14:15]
	s_barrier
	ds_write2_b64 v72, v[1:2], v[5:6] offset1:1
	ds_write2_b64 v72, v[9:10], v[3:4] offset0:2 offset1:3
	v_mov_b32_e32 v5, v42
	s_waitcnt lgkmcnt(0)
	s_barrier
	s_and_saveexec_b64 s[16:17], s[0:1]
	s_cbranch_execz .LBB146_22
; %bb.19:                               ;   in Loop: Header=BB146_2 Depth=1
	s_mov_b64 s[18:19], 0
	v_mov_b32_e32 v5, v42
	v_mov_b32_e32 v1, v43
.LBB146_20:                             ;   Parent Loop BB146_2 Depth=1
                                        ; =>  This Inner Loop Header: Depth=2
	v_sub_u32_e32 v2, v1, v5
	v_lshrrev_b32_e32 v2, 1, v2
	v_add_u32_e32 v4, v2, v5
	v_not_b32_e32 v3, v4
	v_lshl_add_u32 v2, v4, 3, v74
	v_lshl_add_u32 v6, v3, 3, v61
	ds_read_b64 v[2:3], v2
	ds_read_b64 v[6:7], v6
	v_add_u32_e32 v8, 1, v4
	s_waitcnt lgkmcnt(0)
	v_cmp_lt_i64_e64 s[14:15], v[6:7], v[2:3]
	v_cndmask_b32_e64 v1, v1, v4, s[14:15]
	v_cndmask_b32_e64 v5, v8, v5, s[14:15]
	v_cmp_ge_i32_e64 s[14:15], v5, v1
	s_or_b64 s[18:19], s[14:15], s[18:19]
	s_andn2_b64 exec, exec, s[18:19]
	s_cbranch_execnz .LBB146_20
; %bb.21:                               ;   in Loop: Header=BB146_2 Depth=1
	s_or_b64 exec, exec, s[18:19]
.LBB146_22:                             ;   in Loop: Header=BB146_2 Depth=1
	s_or_b64 exec, exec, s[16:17]
	v_sub_u32_e32 v9, v60, v5
	v_lshl_add_u32 v7, v5, 3, v74
	v_lshlrev_b32_e32 v11, 3, v9
	ds_read_b64 v[1:2], v7
	ds_read_b64 v[3:4], v11
	v_add_u32_e32 v10, v5, v19
	v_cmp_le_i32_e64 s[18:19], v20, v10
	v_cmp_gt_i32_e64 s[14:15], v21, v9
                                        ; implicit-def: $vgpr5_vgpr6
	s_waitcnt lgkmcnt(0)
	v_cmp_lt_i64_e64 s[16:17], v[3:4], v[1:2]
	s_or_b64 s[16:17], s[18:19], s[16:17]
	s_and_b64 s[14:15], s[14:15], s[16:17]
	s_xor_b64 s[16:17], s[14:15], -1
	s_and_saveexec_b64 s[18:19], s[16:17]
	s_xor_b64 s[16:17], exec, s[18:19]
; %bb.23:                               ;   in Loop: Header=BB146_2 Depth=1
	ds_read_b64 v[5:6], v7 offset:8
                                        ; implicit-def: $vgpr11
; %bb.24:                               ;   in Loop: Header=BB146_2 Depth=1
	s_or_saveexec_b64 s[16:17], s[16:17]
	v_mov_b32_e32 v8, v4
	v_mov_b32_e32 v7, v3
	s_xor_b64 exec, exec, s[16:17]
	s_cbranch_execz .LBB146_26
; %bb.25:                               ;   in Loop: Header=BB146_2 Depth=1
	ds_read_b64 v[7:8], v11 offset:8
	s_waitcnt lgkmcnt(1)
	v_mov_b32_e32 v6, v2
	v_mov_b32_e32 v5, v1
.LBB146_26:                             ;   in Loop: Header=BB146_2 Depth=1
	s_or_b64 exec, exec, s[16:17]
	v_add_u32_e32 v12, 1, v10
	v_add_u32_e32 v11, 1, v9
	v_cndmask_b32_e64 v14, v12, v10, s[14:15]
	s_waitcnt lgkmcnt(0)
	v_cmp_lt_i64_e64 s[18:19], v[7:8], v[5:6]
	v_cndmask_b32_e64 v13, v9, v11, s[14:15]
	v_cmp_ge_i32_e64 s[20:21], v14, v20
	v_cmp_lt_i32_e64 s[16:17], v13, v21
	s_or_b64 s[18:19], s[20:21], s[18:19]
	s_and_b64 s[16:17], s[16:17], s[18:19]
	s_xor_b64 s[18:19], s[16:17], -1
                                        ; implicit-def: $vgpr9_vgpr10
	s_and_saveexec_b64 s[20:21], s[18:19]
	s_xor_b64 s[18:19], exec, s[20:21]
; %bb.27:                               ;   in Loop: Header=BB146_2 Depth=1
	v_lshlrev_b32_e32 v9, 3, v14
	ds_read_b64 v[9:10], v9 offset:8
; %bb.28:                               ;   in Loop: Header=BB146_2 Depth=1
	s_or_saveexec_b64 s[18:19], s[18:19]
	v_mov_b32_e32 v12, v8
	v_mov_b32_e32 v11, v7
	s_xor_b64 exec, exec, s[18:19]
	s_cbranch_execz .LBB146_30
; %bb.29:                               ;   in Loop: Header=BB146_2 Depth=1
	s_waitcnt lgkmcnt(0)
	v_lshlrev_b32_e32 v9, 3, v13
	ds_read_b64 v[11:12], v9 offset:8
	v_mov_b32_e32 v10, v6
	v_mov_b32_e32 v9, v5
.LBB146_30:                             ;   in Loop: Header=BB146_2 Depth=1
	s_or_b64 exec, exec, s[18:19]
	v_add_u32_e32 v16, 1, v14
	v_add_u32_e32 v15, 1, v13
	v_cndmask_b32_e64 v18, v16, v14, s[16:17]
	s_waitcnt lgkmcnt(0)
	v_cmp_lt_i64_e64 s[20:21], v[11:12], v[9:10]
	v_cndmask_b32_e64 v17, v13, v15, s[16:17]
	v_cmp_ge_i32_e64 s[22:23], v18, v20
	v_cmp_lt_i32_e64 s[18:19], v17, v21
	s_or_b64 s[20:21], s[22:23], s[20:21]
	s_and_b64 s[18:19], s[18:19], s[20:21]
	s_xor_b64 s[20:21], s[18:19], -1
                                        ; implicit-def: $vgpr13_vgpr14
	s_and_saveexec_b64 s[22:23], s[20:21]
	s_xor_b64 s[20:21], exec, s[22:23]
; %bb.31:                               ;   in Loop: Header=BB146_2 Depth=1
	v_lshlrev_b32_e32 v13, 3, v18
	ds_read_b64 v[13:14], v13 offset:8
; %bb.32:                               ;   in Loop: Header=BB146_2 Depth=1
	s_or_saveexec_b64 s[20:21], s[20:21]
	v_mov_b32_e32 v16, v12
	v_mov_b32_e32 v15, v11
	s_xor_b64 exec, exec, s[20:21]
	s_cbranch_execz .LBB146_34
; %bb.33:                               ;   in Loop: Header=BB146_2 Depth=1
	s_waitcnt lgkmcnt(0)
	v_lshlrev_b32_e32 v13, 3, v17
	ds_read_b64 v[15:16], v13 offset:8
	v_mov_b32_e32 v14, v10
	v_mov_b32_e32 v13, v9
.LBB146_34:                             ;   in Loop: Header=BB146_2 Depth=1
	s_or_b64 exec, exec, s[20:21]
	v_cndmask_b32_e64 v10, v10, v12, s[18:19]
	v_add_u32_e32 v12, 1, v18
	v_cndmask_b32_e64 v9, v9, v11, s[18:19]
	v_add_u32_e32 v11, 1, v17
	v_cndmask_b32_e64 v12, v12, v18, s[18:19]
	v_cndmask_b32_e64 v6, v6, v8, s[16:17]
	;; [unrolled: 1-line block ×3, first 2 shown]
	s_waitcnt lgkmcnt(0)
	v_cmp_lt_i64_e64 s[16:17], v[15:16], v[13:14]
	v_cndmask_b32_e64 v11, v17, v11, s[18:19]
	v_cmp_ge_i32_e64 s[18:19], v12, v20
	v_cndmask_b32_e64 v2, v2, v4, s[14:15]
	v_cndmask_b32_e64 v1, v1, v3, s[14:15]
	v_cmp_lt_i32_e64 s[14:15], v11, v21
	s_or_b64 s[16:17], s[18:19], s[16:17]
	s_and_b64 s[14:15], s[14:15], s[16:17]
	v_cndmask_b32_e64 v4, v14, v16, s[14:15]
	v_cndmask_b32_e64 v3, v13, v15, s[14:15]
	s_barrier
	ds_write2_b64 v72, v[1:2], v[5:6] offset1:1
	ds_write2_b64 v72, v[9:10], v[3:4] offset0:2 offset1:3
	v_mov_b32_e32 v5, v44
	s_waitcnt lgkmcnt(0)
	s_barrier
	s_and_saveexec_b64 s[16:17], s[2:3]
	s_cbranch_execz .LBB146_38
; %bb.35:                               ;   in Loop: Header=BB146_2 Depth=1
	s_mov_b64 s[18:19], 0
	v_mov_b32_e32 v5, v44
	v_mov_b32_e32 v1, v45
.LBB146_36:                             ;   Parent Loop BB146_2 Depth=1
                                        ; =>  This Inner Loop Header: Depth=2
	v_sub_u32_e32 v2, v1, v5
	v_lshrrev_b32_e32 v2, 1, v2
	v_add_u32_e32 v4, v2, v5
	v_not_b32_e32 v3, v4
	v_lshl_add_u32 v2, v4, 3, v75
	v_lshl_add_u32 v6, v3, 3, v63
	ds_read_b64 v[2:3], v2
	ds_read_b64 v[6:7], v6
	v_add_u32_e32 v8, 1, v4
	s_waitcnt lgkmcnt(0)
	v_cmp_lt_i64_e64 s[14:15], v[6:7], v[2:3]
	v_cndmask_b32_e64 v1, v1, v4, s[14:15]
	v_cndmask_b32_e64 v5, v8, v5, s[14:15]
	v_cmp_ge_i32_e64 s[14:15], v5, v1
	s_or_b64 s[18:19], s[14:15], s[18:19]
	s_andn2_b64 exec, exec, s[18:19]
	s_cbranch_execnz .LBB146_36
; %bb.37:                               ;   in Loop: Header=BB146_2 Depth=1
	s_or_b64 exec, exec, s[18:19]
.LBB146_38:                             ;   in Loop: Header=BB146_2 Depth=1
	s_or_b64 exec, exec, s[16:17]
	v_sub_u32_e32 v9, v62, v5
	v_lshl_add_u32 v7, v5, 3, v75
	v_lshlrev_b32_e32 v11, 3, v9
	ds_read_b64 v[1:2], v7
	ds_read_b64 v[3:4], v11
	v_add_u32_e32 v10, v5, v22
	v_cmp_le_i32_e64 s[18:19], v23, v10
	v_cmp_gt_i32_e64 s[14:15], v24, v9
                                        ; implicit-def: $vgpr5_vgpr6
	s_waitcnt lgkmcnt(0)
	v_cmp_lt_i64_e64 s[16:17], v[3:4], v[1:2]
	s_or_b64 s[16:17], s[18:19], s[16:17]
	s_and_b64 s[14:15], s[14:15], s[16:17]
	s_xor_b64 s[16:17], s[14:15], -1
	s_and_saveexec_b64 s[18:19], s[16:17]
	s_xor_b64 s[16:17], exec, s[18:19]
; %bb.39:                               ;   in Loop: Header=BB146_2 Depth=1
	ds_read_b64 v[5:6], v7 offset:8
                                        ; implicit-def: $vgpr11
; %bb.40:                               ;   in Loop: Header=BB146_2 Depth=1
	s_or_saveexec_b64 s[16:17], s[16:17]
	v_mov_b32_e32 v8, v4
	v_mov_b32_e32 v7, v3
	s_xor_b64 exec, exec, s[16:17]
	s_cbranch_execz .LBB146_42
; %bb.41:                               ;   in Loop: Header=BB146_2 Depth=1
	ds_read_b64 v[7:8], v11 offset:8
	s_waitcnt lgkmcnt(1)
	v_mov_b32_e32 v6, v2
	v_mov_b32_e32 v5, v1
.LBB146_42:                             ;   in Loop: Header=BB146_2 Depth=1
	s_or_b64 exec, exec, s[16:17]
	v_add_u32_e32 v12, 1, v10
	v_add_u32_e32 v11, 1, v9
	v_cndmask_b32_e64 v14, v12, v10, s[14:15]
	s_waitcnt lgkmcnt(0)
	v_cmp_lt_i64_e64 s[18:19], v[7:8], v[5:6]
	v_cndmask_b32_e64 v13, v9, v11, s[14:15]
	v_cmp_ge_i32_e64 s[20:21], v14, v23
	v_cmp_lt_i32_e64 s[16:17], v13, v24
	s_or_b64 s[18:19], s[20:21], s[18:19]
	s_and_b64 s[16:17], s[16:17], s[18:19]
	s_xor_b64 s[18:19], s[16:17], -1
                                        ; implicit-def: $vgpr9_vgpr10
	s_and_saveexec_b64 s[20:21], s[18:19]
	s_xor_b64 s[18:19], exec, s[20:21]
; %bb.43:                               ;   in Loop: Header=BB146_2 Depth=1
	v_lshlrev_b32_e32 v9, 3, v14
	ds_read_b64 v[9:10], v9 offset:8
; %bb.44:                               ;   in Loop: Header=BB146_2 Depth=1
	s_or_saveexec_b64 s[18:19], s[18:19]
	v_mov_b32_e32 v12, v8
	v_mov_b32_e32 v11, v7
	s_xor_b64 exec, exec, s[18:19]
	s_cbranch_execz .LBB146_46
; %bb.45:                               ;   in Loop: Header=BB146_2 Depth=1
	s_waitcnt lgkmcnt(0)
	v_lshlrev_b32_e32 v9, 3, v13
	ds_read_b64 v[11:12], v9 offset:8
	v_mov_b32_e32 v10, v6
	v_mov_b32_e32 v9, v5
.LBB146_46:                             ;   in Loop: Header=BB146_2 Depth=1
	s_or_b64 exec, exec, s[18:19]
	v_add_u32_e32 v16, 1, v14
	v_add_u32_e32 v15, 1, v13
	v_cndmask_b32_e64 v18, v16, v14, s[16:17]
	s_waitcnt lgkmcnt(0)
	v_cmp_lt_i64_e64 s[20:21], v[11:12], v[9:10]
	v_cndmask_b32_e64 v17, v13, v15, s[16:17]
	v_cmp_ge_i32_e64 s[22:23], v18, v23
	v_cmp_lt_i32_e64 s[18:19], v17, v24
	s_or_b64 s[20:21], s[22:23], s[20:21]
	s_and_b64 s[18:19], s[18:19], s[20:21]
	s_xor_b64 s[20:21], s[18:19], -1
                                        ; implicit-def: $vgpr13_vgpr14
	s_and_saveexec_b64 s[22:23], s[20:21]
	s_xor_b64 s[20:21], exec, s[22:23]
; %bb.47:                               ;   in Loop: Header=BB146_2 Depth=1
	v_lshlrev_b32_e32 v13, 3, v18
	ds_read_b64 v[13:14], v13 offset:8
; %bb.48:                               ;   in Loop: Header=BB146_2 Depth=1
	s_or_saveexec_b64 s[20:21], s[20:21]
	v_mov_b32_e32 v16, v12
	v_mov_b32_e32 v15, v11
	s_xor_b64 exec, exec, s[20:21]
	s_cbranch_execz .LBB146_50
; %bb.49:                               ;   in Loop: Header=BB146_2 Depth=1
	s_waitcnt lgkmcnt(0)
	v_lshlrev_b32_e32 v13, 3, v17
	ds_read_b64 v[15:16], v13 offset:8
	v_mov_b32_e32 v14, v10
	v_mov_b32_e32 v13, v9
.LBB146_50:                             ;   in Loop: Header=BB146_2 Depth=1
	s_or_b64 exec, exec, s[20:21]
	v_cndmask_b32_e64 v10, v10, v12, s[18:19]
	v_add_u32_e32 v12, 1, v18
	v_cndmask_b32_e64 v9, v9, v11, s[18:19]
	v_add_u32_e32 v11, 1, v17
	v_cndmask_b32_e64 v12, v12, v18, s[18:19]
	v_cndmask_b32_e64 v6, v6, v8, s[16:17]
	;; [unrolled: 1-line block ×3, first 2 shown]
	s_waitcnt lgkmcnt(0)
	v_cmp_lt_i64_e64 s[16:17], v[15:16], v[13:14]
	v_cndmask_b32_e64 v11, v17, v11, s[18:19]
	v_cmp_ge_i32_e64 s[18:19], v12, v23
	v_cndmask_b32_e64 v2, v2, v4, s[14:15]
	v_cndmask_b32_e64 v1, v1, v3, s[14:15]
	v_cmp_lt_i32_e64 s[14:15], v11, v24
	s_or_b64 s[16:17], s[18:19], s[16:17]
	s_and_b64 s[14:15], s[14:15], s[16:17]
	v_cndmask_b32_e64 v4, v14, v16, s[14:15]
	v_cndmask_b32_e64 v3, v13, v15, s[14:15]
	s_barrier
	ds_write2_b64 v72, v[1:2], v[5:6] offset1:1
	ds_write2_b64 v72, v[9:10], v[3:4] offset0:2 offset1:3
	v_mov_b32_e32 v5, v46
	s_waitcnt lgkmcnt(0)
	s_barrier
	s_and_saveexec_b64 s[16:17], s[4:5]
	s_cbranch_execz .LBB146_54
; %bb.51:                               ;   in Loop: Header=BB146_2 Depth=1
	s_mov_b64 s[18:19], 0
	v_mov_b32_e32 v5, v46
	v_mov_b32_e32 v1, v47
.LBB146_52:                             ;   Parent Loop BB146_2 Depth=1
                                        ; =>  This Inner Loop Header: Depth=2
	v_sub_u32_e32 v2, v1, v5
	v_lshrrev_b32_e32 v2, 1, v2
	v_add_u32_e32 v4, v2, v5
	v_not_b32_e32 v3, v4
	v_lshl_add_u32 v2, v4, 3, v76
	v_lshl_add_u32 v6, v3, 3, v65
	ds_read_b64 v[2:3], v2
	ds_read_b64 v[6:7], v6
	v_add_u32_e32 v8, 1, v4
	s_waitcnt lgkmcnt(0)
	v_cmp_lt_i64_e64 s[14:15], v[6:7], v[2:3]
	v_cndmask_b32_e64 v1, v1, v4, s[14:15]
	v_cndmask_b32_e64 v5, v8, v5, s[14:15]
	v_cmp_ge_i32_e64 s[14:15], v5, v1
	s_or_b64 s[18:19], s[14:15], s[18:19]
	s_andn2_b64 exec, exec, s[18:19]
	s_cbranch_execnz .LBB146_52
; %bb.53:                               ;   in Loop: Header=BB146_2 Depth=1
	s_or_b64 exec, exec, s[18:19]
.LBB146_54:                             ;   in Loop: Header=BB146_2 Depth=1
	s_or_b64 exec, exec, s[16:17]
	v_sub_u32_e32 v9, v64, v5
	v_lshl_add_u32 v7, v5, 3, v76
	v_lshlrev_b32_e32 v11, 3, v9
	ds_read_b64 v[1:2], v7
	ds_read_b64 v[3:4], v11
	v_add_u32_e32 v10, v5, v25
	v_cmp_le_i32_e64 s[18:19], v26, v10
	v_cmp_gt_i32_e64 s[14:15], v27, v9
                                        ; implicit-def: $vgpr5_vgpr6
	s_waitcnt lgkmcnt(0)
	v_cmp_lt_i64_e64 s[16:17], v[3:4], v[1:2]
	s_or_b64 s[16:17], s[18:19], s[16:17]
	s_and_b64 s[14:15], s[14:15], s[16:17]
	s_xor_b64 s[16:17], s[14:15], -1
	s_and_saveexec_b64 s[18:19], s[16:17]
	s_xor_b64 s[16:17], exec, s[18:19]
; %bb.55:                               ;   in Loop: Header=BB146_2 Depth=1
	ds_read_b64 v[5:6], v7 offset:8
                                        ; implicit-def: $vgpr11
; %bb.56:                               ;   in Loop: Header=BB146_2 Depth=1
	s_or_saveexec_b64 s[16:17], s[16:17]
	v_mov_b32_e32 v8, v4
	v_mov_b32_e32 v7, v3
	s_xor_b64 exec, exec, s[16:17]
	s_cbranch_execz .LBB146_58
; %bb.57:                               ;   in Loop: Header=BB146_2 Depth=1
	ds_read_b64 v[7:8], v11 offset:8
	s_waitcnt lgkmcnt(1)
	v_mov_b32_e32 v6, v2
	v_mov_b32_e32 v5, v1
.LBB146_58:                             ;   in Loop: Header=BB146_2 Depth=1
	s_or_b64 exec, exec, s[16:17]
	v_add_u32_e32 v12, 1, v10
	v_add_u32_e32 v11, 1, v9
	v_cndmask_b32_e64 v14, v12, v10, s[14:15]
	s_waitcnt lgkmcnt(0)
	v_cmp_lt_i64_e64 s[18:19], v[7:8], v[5:6]
	v_cndmask_b32_e64 v13, v9, v11, s[14:15]
	v_cmp_ge_i32_e64 s[20:21], v14, v26
	v_cmp_lt_i32_e64 s[16:17], v13, v27
	s_or_b64 s[18:19], s[20:21], s[18:19]
	s_and_b64 s[16:17], s[16:17], s[18:19]
	s_xor_b64 s[18:19], s[16:17], -1
                                        ; implicit-def: $vgpr9_vgpr10
	s_and_saveexec_b64 s[20:21], s[18:19]
	s_xor_b64 s[18:19], exec, s[20:21]
; %bb.59:                               ;   in Loop: Header=BB146_2 Depth=1
	v_lshlrev_b32_e32 v9, 3, v14
	ds_read_b64 v[9:10], v9 offset:8
; %bb.60:                               ;   in Loop: Header=BB146_2 Depth=1
	s_or_saveexec_b64 s[18:19], s[18:19]
	v_mov_b32_e32 v12, v8
	v_mov_b32_e32 v11, v7
	s_xor_b64 exec, exec, s[18:19]
	s_cbranch_execz .LBB146_62
; %bb.61:                               ;   in Loop: Header=BB146_2 Depth=1
	s_waitcnt lgkmcnt(0)
	v_lshlrev_b32_e32 v9, 3, v13
	ds_read_b64 v[11:12], v9 offset:8
	v_mov_b32_e32 v10, v6
	v_mov_b32_e32 v9, v5
.LBB146_62:                             ;   in Loop: Header=BB146_2 Depth=1
	s_or_b64 exec, exec, s[18:19]
	v_add_u32_e32 v16, 1, v14
	v_add_u32_e32 v15, 1, v13
	v_cndmask_b32_e64 v18, v16, v14, s[16:17]
	s_waitcnt lgkmcnt(0)
	v_cmp_lt_i64_e64 s[20:21], v[11:12], v[9:10]
	v_cndmask_b32_e64 v17, v13, v15, s[16:17]
	v_cmp_ge_i32_e64 s[22:23], v18, v26
	v_cmp_lt_i32_e64 s[18:19], v17, v27
	s_or_b64 s[20:21], s[22:23], s[20:21]
	s_and_b64 s[18:19], s[18:19], s[20:21]
	s_xor_b64 s[20:21], s[18:19], -1
                                        ; implicit-def: $vgpr13_vgpr14
	s_and_saveexec_b64 s[22:23], s[20:21]
	s_xor_b64 s[20:21], exec, s[22:23]
; %bb.63:                               ;   in Loop: Header=BB146_2 Depth=1
	v_lshlrev_b32_e32 v13, 3, v18
	ds_read_b64 v[13:14], v13 offset:8
; %bb.64:                               ;   in Loop: Header=BB146_2 Depth=1
	s_or_saveexec_b64 s[20:21], s[20:21]
	v_mov_b32_e32 v16, v12
	v_mov_b32_e32 v15, v11
	s_xor_b64 exec, exec, s[20:21]
	s_cbranch_execz .LBB146_66
; %bb.65:                               ;   in Loop: Header=BB146_2 Depth=1
	s_waitcnt lgkmcnt(0)
	v_lshlrev_b32_e32 v13, 3, v17
	ds_read_b64 v[15:16], v13 offset:8
	v_mov_b32_e32 v14, v10
	v_mov_b32_e32 v13, v9
.LBB146_66:                             ;   in Loop: Header=BB146_2 Depth=1
	s_or_b64 exec, exec, s[20:21]
	v_cndmask_b32_e64 v10, v10, v12, s[18:19]
	v_add_u32_e32 v12, 1, v18
	v_cndmask_b32_e64 v9, v9, v11, s[18:19]
	v_add_u32_e32 v11, 1, v17
	v_cndmask_b32_e64 v12, v12, v18, s[18:19]
	v_cndmask_b32_e64 v6, v6, v8, s[16:17]
	v_cndmask_b32_e64 v5, v5, v7, s[16:17]
	s_waitcnt lgkmcnt(0)
	v_cmp_lt_i64_e64 s[16:17], v[15:16], v[13:14]
	v_cndmask_b32_e64 v11, v17, v11, s[18:19]
	v_cmp_ge_i32_e64 s[18:19], v12, v26
	v_cndmask_b32_e64 v2, v2, v4, s[14:15]
	v_cndmask_b32_e64 v1, v1, v3, s[14:15]
	v_cmp_lt_i32_e64 s[14:15], v11, v27
	s_or_b64 s[16:17], s[18:19], s[16:17]
	s_and_b64 s[14:15], s[14:15], s[16:17]
	v_cndmask_b32_e64 v4, v14, v16, s[14:15]
	v_cndmask_b32_e64 v3, v13, v15, s[14:15]
	s_barrier
	ds_write2_b64 v72, v[1:2], v[5:6] offset1:1
	ds_write2_b64 v72, v[9:10], v[3:4] offset0:2 offset1:3
	v_mov_b32_e32 v5, v48
	s_waitcnt lgkmcnt(0)
	s_barrier
	s_and_saveexec_b64 s[16:17], s[6:7]
	s_cbranch_execz .LBB146_70
; %bb.67:                               ;   in Loop: Header=BB146_2 Depth=1
	s_mov_b64 s[18:19], 0
	v_mov_b32_e32 v5, v48
	v_mov_b32_e32 v1, v49
.LBB146_68:                             ;   Parent Loop BB146_2 Depth=1
                                        ; =>  This Inner Loop Header: Depth=2
	v_sub_u32_e32 v2, v1, v5
	v_lshrrev_b32_e32 v2, 1, v2
	v_add_u32_e32 v4, v2, v5
	v_not_b32_e32 v3, v4
	v_lshl_add_u32 v2, v4, 3, v77
	v_lshl_add_u32 v6, v3, 3, v67
	ds_read_b64 v[2:3], v2
	ds_read_b64 v[6:7], v6
	v_add_u32_e32 v8, 1, v4
	s_waitcnt lgkmcnt(0)
	v_cmp_lt_i64_e64 s[14:15], v[6:7], v[2:3]
	v_cndmask_b32_e64 v1, v1, v4, s[14:15]
	v_cndmask_b32_e64 v5, v8, v5, s[14:15]
	v_cmp_ge_i32_e64 s[14:15], v5, v1
	s_or_b64 s[18:19], s[14:15], s[18:19]
	s_andn2_b64 exec, exec, s[18:19]
	s_cbranch_execnz .LBB146_68
; %bb.69:                               ;   in Loop: Header=BB146_2 Depth=1
	s_or_b64 exec, exec, s[18:19]
.LBB146_70:                             ;   in Loop: Header=BB146_2 Depth=1
	s_or_b64 exec, exec, s[16:17]
	v_sub_u32_e32 v9, v66, v5
	v_lshl_add_u32 v7, v5, 3, v77
	v_lshlrev_b32_e32 v11, 3, v9
	ds_read_b64 v[1:2], v7
	ds_read_b64 v[3:4], v11
	v_add_u32_e32 v10, v5, v28
	v_cmp_le_i32_e64 s[18:19], v29, v10
	v_cmp_gt_i32_e64 s[14:15], v30, v9
                                        ; implicit-def: $vgpr5_vgpr6
	s_waitcnt lgkmcnt(0)
	v_cmp_lt_i64_e64 s[16:17], v[3:4], v[1:2]
	s_or_b64 s[16:17], s[18:19], s[16:17]
	s_and_b64 s[14:15], s[14:15], s[16:17]
	s_xor_b64 s[16:17], s[14:15], -1
	s_and_saveexec_b64 s[18:19], s[16:17]
	s_xor_b64 s[16:17], exec, s[18:19]
; %bb.71:                               ;   in Loop: Header=BB146_2 Depth=1
	ds_read_b64 v[5:6], v7 offset:8
                                        ; implicit-def: $vgpr11
; %bb.72:                               ;   in Loop: Header=BB146_2 Depth=1
	s_or_saveexec_b64 s[16:17], s[16:17]
	v_mov_b32_e32 v8, v4
	v_mov_b32_e32 v7, v3
	s_xor_b64 exec, exec, s[16:17]
	s_cbranch_execz .LBB146_74
; %bb.73:                               ;   in Loop: Header=BB146_2 Depth=1
	ds_read_b64 v[7:8], v11 offset:8
	s_waitcnt lgkmcnt(1)
	v_mov_b32_e32 v6, v2
	v_mov_b32_e32 v5, v1
.LBB146_74:                             ;   in Loop: Header=BB146_2 Depth=1
	s_or_b64 exec, exec, s[16:17]
	v_add_u32_e32 v12, 1, v10
	v_add_u32_e32 v11, 1, v9
	v_cndmask_b32_e64 v14, v12, v10, s[14:15]
	s_waitcnt lgkmcnt(0)
	v_cmp_lt_i64_e64 s[18:19], v[7:8], v[5:6]
	v_cndmask_b32_e64 v13, v9, v11, s[14:15]
	v_cmp_ge_i32_e64 s[20:21], v14, v29
	v_cmp_lt_i32_e64 s[16:17], v13, v30
	s_or_b64 s[18:19], s[20:21], s[18:19]
	s_and_b64 s[16:17], s[16:17], s[18:19]
	s_xor_b64 s[18:19], s[16:17], -1
                                        ; implicit-def: $vgpr9_vgpr10
	s_and_saveexec_b64 s[20:21], s[18:19]
	s_xor_b64 s[18:19], exec, s[20:21]
; %bb.75:                               ;   in Loop: Header=BB146_2 Depth=1
	v_lshlrev_b32_e32 v9, 3, v14
	ds_read_b64 v[9:10], v9 offset:8
; %bb.76:                               ;   in Loop: Header=BB146_2 Depth=1
	s_or_saveexec_b64 s[18:19], s[18:19]
	v_mov_b32_e32 v12, v8
	v_mov_b32_e32 v11, v7
	s_xor_b64 exec, exec, s[18:19]
	s_cbranch_execz .LBB146_78
; %bb.77:                               ;   in Loop: Header=BB146_2 Depth=1
	s_waitcnt lgkmcnt(0)
	v_lshlrev_b32_e32 v9, 3, v13
	ds_read_b64 v[11:12], v9 offset:8
	v_mov_b32_e32 v10, v6
	v_mov_b32_e32 v9, v5
.LBB146_78:                             ;   in Loop: Header=BB146_2 Depth=1
	s_or_b64 exec, exec, s[18:19]
	v_add_u32_e32 v16, 1, v14
	v_add_u32_e32 v15, 1, v13
	v_cndmask_b32_e64 v18, v16, v14, s[16:17]
	s_waitcnt lgkmcnt(0)
	v_cmp_lt_i64_e64 s[20:21], v[11:12], v[9:10]
	v_cndmask_b32_e64 v17, v13, v15, s[16:17]
	v_cmp_ge_i32_e64 s[22:23], v18, v29
	v_cmp_lt_i32_e64 s[18:19], v17, v30
	s_or_b64 s[20:21], s[22:23], s[20:21]
	s_and_b64 s[18:19], s[18:19], s[20:21]
	s_xor_b64 s[20:21], s[18:19], -1
                                        ; implicit-def: $vgpr13_vgpr14
	s_and_saveexec_b64 s[22:23], s[20:21]
	s_xor_b64 s[20:21], exec, s[22:23]
; %bb.79:                               ;   in Loop: Header=BB146_2 Depth=1
	v_lshlrev_b32_e32 v13, 3, v18
	ds_read_b64 v[13:14], v13 offset:8
; %bb.80:                               ;   in Loop: Header=BB146_2 Depth=1
	s_or_saveexec_b64 s[20:21], s[20:21]
	v_mov_b32_e32 v16, v12
	v_mov_b32_e32 v15, v11
	s_xor_b64 exec, exec, s[20:21]
	s_cbranch_execz .LBB146_82
; %bb.81:                               ;   in Loop: Header=BB146_2 Depth=1
	s_waitcnt lgkmcnt(0)
	v_lshlrev_b32_e32 v13, 3, v17
	ds_read_b64 v[15:16], v13 offset:8
	v_mov_b32_e32 v14, v10
	v_mov_b32_e32 v13, v9
.LBB146_82:                             ;   in Loop: Header=BB146_2 Depth=1
	s_or_b64 exec, exec, s[20:21]
	v_cndmask_b32_e64 v10, v10, v12, s[18:19]
	v_add_u32_e32 v12, 1, v18
	v_cndmask_b32_e64 v9, v9, v11, s[18:19]
	v_add_u32_e32 v11, 1, v17
	v_cndmask_b32_e64 v12, v12, v18, s[18:19]
	v_cndmask_b32_e64 v6, v6, v8, s[16:17]
	;; [unrolled: 1-line block ×3, first 2 shown]
	s_waitcnt lgkmcnt(0)
	v_cmp_lt_i64_e64 s[16:17], v[15:16], v[13:14]
	v_cndmask_b32_e64 v11, v17, v11, s[18:19]
	v_cmp_ge_i32_e64 s[18:19], v12, v29
	v_cndmask_b32_e64 v2, v2, v4, s[14:15]
	v_cndmask_b32_e64 v1, v1, v3, s[14:15]
	v_cmp_lt_i32_e64 s[14:15], v11, v30
	s_or_b64 s[16:17], s[18:19], s[16:17]
	s_and_b64 s[14:15], s[14:15], s[16:17]
	v_cndmask_b32_e64 v4, v14, v16, s[14:15]
	v_cndmask_b32_e64 v3, v13, v15, s[14:15]
	s_barrier
	ds_write2_b64 v72, v[1:2], v[5:6] offset1:1
	ds_write2_b64 v72, v[9:10], v[3:4] offset0:2 offset1:3
	v_mov_b32_e32 v5, v50
	s_waitcnt lgkmcnt(0)
	s_barrier
	s_and_saveexec_b64 s[16:17], s[8:9]
	s_cbranch_execz .LBB146_86
; %bb.83:                               ;   in Loop: Header=BB146_2 Depth=1
	s_mov_b64 s[18:19], 0
	v_mov_b32_e32 v5, v50
	v_mov_b32_e32 v1, v51
.LBB146_84:                             ;   Parent Loop BB146_2 Depth=1
                                        ; =>  This Inner Loop Header: Depth=2
	v_sub_u32_e32 v2, v1, v5
	v_lshrrev_b32_e32 v2, 1, v2
	v_add_u32_e32 v4, v2, v5
	v_not_b32_e32 v3, v4
	v_lshl_add_u32 v2, v4, 3, v78
	v_lshl_add_u32 v6, v3, 3, v69
	ds_read_b64 v[2:3], v2
	ds_read_b64 v[6:7], v6
	v_add_u32_e32 v8, 1, v4
	s_waitcnt lgkmcnt(0)
	v_cmp_lt_i64_e64 s[14:15], v[6:7], v[2:3]
	v_cndmask_b32_e64 v1, v1, v4, s[14:15]
	v_cndmask_b32_e64 v5, v8, v5, s[14:15]
	v_cmp_ge_i32_e64 s[14:15], v5, v1
	s_or_b64 s[18:19], s[14:15], s[18:19]
	s_andn2_b64 exec, exec, s[18:19]
	s_cbranch_execnz .LBB146_84
; %bb.85:                               ;   in Loop: Header=BB146_2 Depth=1
	s_or_b64 exec, exec, s[18:19]
.LBB146_86:                             ;   in Loop: Header=BB146_2 Depth=1
	s_or_b64 exec, exec, s[16:17]
	v_sub_u32_e32 v9, v68, v5
	v_lshl_add_u32 v7, v5, 3, v78
	v_lshlrev_b32_e32 v11, 3, v9
	ds_read_b64 v[1:2], v7
	ds_read_b64 v[3:4], v11
	v_add_u32_e32 v10, v5, v31
	v_cmp_le_i32_e64 s[18:19], v32, v10
	v_cmp_gt_i32_e64 s[14:15], v33, v9
                                        ; implicit-def: $vgpr5_vgpr6
	s_waitcnt lgkmcnt(0)
	v_cmp_lt_i64_e64 s[16:17], v[3:4], v[1:2]
	s_or_b64 s[16:17], s[18:19], s[16:17]
	s_and_b64 s[14:15], s[14:15], s[16:17]
	s_xor_b64 s[16:17], s[14:15], -1
	s_and_saveexec_b64 s[18:19], s[16:17]
	s_xor_b64 s[16:17], exec, s[18:19]
; %bb.87:                               ;   in Loop: Header=BB146_2 Depth=1
	ds_read_b64 v[5:6], v7 offset:8
                                        ; implicit-def: $vgpr11
; %bb.88:                               ;   in Loop: Header=BB146_2 Depth=1
	s_or_saveexec_b64 s[16:17], s[16:17]
	v_mov_b32_e32 v8, v4
	v_mov_b32_e32 v7, v3
	s_xor_b64 exec, exec, s[16:17]
	s_cbranch_execz .LBB146_90
; %bb.89:                               ;   in Loop: Header=BB146_2 Depth=1
	ds_read_b64 v[7:8], v11 offset:8
	s_waitcnt lgkmcnt(1)
	v_mov_b32_e32 v6, v2
	v_mov_b32_e32 v5, v1
.LBB146_90:                             ;   in Loop: Header=BB146_2 Depth=1
	s_or_b64 exec, exec, s[16:17]
	v_add_u32_e32 v12, 1, v10
	v_add_u32_e32 v11, 1, v9
	v_cndmask_b32_e64 v14, v12, v10, s[14:15]
	s_waitcnt lgkmcnt(0)
	v_cmp_lt_i64_e64 s[18:19], v[7:8], v[5:6]
	v_cndmask_b32_e64 v13, v9, v11, s[14:15]
	v_cmp_ge_i32_e64 s[20:21], v14, v32
	v_cmp_lt_i32_e64 s[16:17], v13, v33
	s_or_b64 s[18:19], s[20:21], s[18:19]
	s_and_b64 s[16:17], s[16:17], s[18:19]
	s_xor_b64 s[18:19], s[16:17], -1
                                        ; implicit-def: $vgpr9_vgpr10
	s_and_saveexec_b64 s[20:21], s[18:19]
	s_xor_b64 s[18:19], exec, s[20:21]
; %bb.91:                               ;   in Loop: Header=BB146_2 Depth=1
	v_lshlrev_b32_e32 v9, 3, v14
	ds_read_b64 v[9:10], v9 offset:8
; %bb.92:                               ;   in Loop: Header=BB146_2 Depth=1
	s_or_saveexec_b64 s[18:19], s[18:19]
	v_mov_b32_e32 v12, v8
	v_mov_b32_e32 v11, v7
	s_xor_b64 exec, exec, s[18:19]
	s_cbranch_execz .LBB146_94
; %bb.93:                               ;   in Loop: Header=BB146_2 Depth=1
	s_waitcnt lgkmcnt(0)
	v_lshlrev_b32_e32 v9, 3, v13
	ds_read_b64 v[11:12], v9 offset:8
	v_mov_b32_e32 v10, v6
	v_mov_b32_e32 v9, v5
.LBB146_94:                             ;   in Loop: Header=BB146_2 Depth=1
	s_or_b64 exec, exec, s[18:19]
	v_add_u32_e32 v16, 1, v14
	v_add_u32_e32 v15, 1, v13
	v_cndmask_b32_e64 v18, v16, v14, s[16:17]
	s_waitcnt lgkmcnt(0)
	v_cmp_lt_i64_e64 s[20:21], v[11:12], v[9:10]
	v_cndmask_b32_e64 v17, v13, v15, s[16:17]
	v_cmp_ge_i32_e64 s[22:23], v18, v32
	v_cmp_lt_i32_e64 s[18:19], v17, v33
	s_or_b64 s[20:21], s[22:23], s[20:21]
	s_and_b64 s[18:19], s[18:19], s[20:21]
	s_xor_b64 s[20:21], s[18:19], -1
                                        ; implicit-def: $vgpr13_vgpr14
	s_and_saveexec_b64 s[22:23], s[20:21]
	s_xor_b64 s[20:21], exec, s[22:23]
; %bb.95:                               ;   in Loop: Header=BB146_2 Depth=1
	v_lshlrev_b32_e32 v13, 3, v18
	ds_read_b64 v[13:14], v13 offset:8
; %bb.96:                               ;   in Loop: Header=BB146_2 Depth=1
	s_or_saveexec_b64 s[20:21], s[20:21]
	v_mov_b32_e32 v16, v12
	v_mov_b32_e32 v15, v11
	s_xor_b64 exec, exec, s[20:21]
	s_cbranch_execz .LBB146_98
; %bb.97:                               ;   in Loop: Header=BB146_2 Depth=1
	s_waitcnt lgkmcnt(0)
	v_lshlrev_b32_e32 v13, 3, v17
	ds_read_b64 v[15:16], v13 offset:8
	v_mov_b32_e32 v14, v10
	v_mov_b32_e32 v13, v9
.LBB146_98:                             ;   in Loop: Header=BB146_2 Depth=1
	s_or_b64 exec, exec, s[20:21]
	v_cndmask_b32_e64 v10, v10, v12, s[18:19]
	v_add_u32_e32 v12, 1, v18
	v_cndmask_b32_e64 v9, v9, v11, s[18:19]
	v_add_u32_e32 v11, 1, v17
	v_cndmask_b32_e64 v12, v12, v18, s[18:19]
	v_cndmask_b32_e64 v6, v6, v8, s[16:17]
	;; [unrolled: 1-line block ×3, first 2 shown]
	s_waitcnt lgkmcnt(0)
	v_cmp_lt_i64_e64 s[16:17], v[15:16], v[13:14]
	v_cndmask_b32_e64 v11, v17, v11, s[18:19]
	v_cmp_ge_i32_e64 s[18:19], v12, v32
	v_cndmask_b32_e64 v2, v2, v4, s[14:15]
	v_cndmask_b32_e64 v1, v1, v3, s[14:15]
	v_cmp_lt_i32_e64 s[14:15], v11, v33
	s_or_b64 s[16:17], s[18:19], s[16:17]
	s_and_b64 s[14:15], s[14:15], s[16:17]
	v_cndmask_b32_e64 v4, v14, v16, s[14:15]
	v_cndmask_b32_e64 v3, v13, v15, s[14:15]
	s_barrier
	ds_write2_b64 v72, v[1:2], v[5:6] offset1:1
	ds_write2_b64 v72, v[9:10], v[3:4] offset0:2 offset1:3
	v_mov_b32_e32 v5, v52
	s_waitcnt lgkmcnt(0)
	s_barrier
	s_and_saveexec_b64 s[16:17], s[10:11]
	s_cbranch_execz .LBB146_102
; %bb.99:                               ;   in Loop: Header=BB146_2 Depth=1
	s_mov_b64 s[18:19], 0
	v_mov_b32_e32 v5, v52
	v_mov_b32_e32 v1, v53
.LBB146_100:                            ;   Parent Loop BB146_2 Depth=1
                                        ; =>  This Inner Loop Header: Depth=2
	v_sub_u32_e32 v2, v1, v5
	v_lshrrev_b32_e32 v2, 1, v2
	v_add_u32_e32 v4, v2, v5
	v_not_b32_e32 v3, v4
	v_lshl_add_u32 v2, v4, 3, v79
	v_lshl_add_u32 v6, v3, 3, v71
	ds_read_b64 v[2:3], v2
	ds_read_b64 v[6:7], v6
	v_add_u32_e32 v8, 1, v4
	s_waitcnt lgkmcnt(0)
	v_cmp_lt_i64_e64 s[14:15], v[6:7], v[2:3]
	v_cndmask_b32_e64 v1, v1, v4, s[14:15]
	v_cndmask_b32_e64 v5, v8, v5, s[14:15]
	v_cmp_ge_i32_e64 s[14:15], v5, v1
	s_or_b64 s[18:19], s[14:15], s[18:19]
	s_andn2_b64 exec, exec, s[18:19]
	s_cbranch_execnz .LBB146_100
; %bb.101:                              ;   in Loop: Header=BB146_2 Depth=1
	s_or_b64 exec, exec, s[18:19]
.LBB146_102:                            ;   in Loop: Header=BB146_2 Depth=1
	s_or_b64 exec, exec, s[16:17]
	v_sub_u32_e32 v9, v70, v5
	v_lshl_add_u32 v7, v5, 3, v79
	v_lshlrev_b32_e32 v11, 3, v9
	ds_read_b64 v[1:2], v7
	ds_read_b64 v[3:4], v11
	v_add_u32_e32 v10, v5, v34
	v_cmp_le_i32_e64 s[18:19], v35, v10
	v_cmp_gt_i32_e64 s[14:15], v36, v9
                                        ; implicit-def: $vgpr5_vgpr6
	s_waitcnt lgkmcnt(0)
	v_cmp_lt_i64_e64 s[16:17], v[3:4], v[1:2]
	s_or_b64 s[16:17], s[18:19], s[16:17]
	s_and_b64 s[14:15], s[14:15], s[16:17]
	s_xor_b64 s[16:17], s[14:15], -1
	s_and_saveexec_b64 s[18:19], s[16:17]
	s_xor_b64 s[16:17], exec, s[18:19]
; %bb.103:                              ;   in Loop: Header=BB146_2 Depth=1
	ds_read_b64 v[5:6], v7 offset:8
                                        ; implicit-def: $vgpr11
; %bb.104:                              ;   in Loop: Header=BB146_2 Depth=1
	s_or_saveexec_b64 s[16:17], s[16:17]
	v_mov_b32_e32 v8, v4
	v_mov_b32_e32 v7, v3
	s_xor_b64 exec, exec, s[16:17]
	s_cbranch_execz .LBB146_106
; %bb.105:                              ;   in Loop: Header=BB146_2 Depth=1
	ds_read_b64 v[7:8], v11 offset:8
	s_waitcnt lgkmcnt(1)
	v_mov_b32_e32 v6, v2
	v_mov_b32_e32 v5, v1
.LBB146_106:                            ;   in Loop: Header=BB146_2 Depth=1
	s_or_b64 exec, exec, s[16:17]
	v_add_u32_e32 v12, 1, v10
	v_add_u32_e32 v11, 1, v9
	v_cndmask_b32_e64 v14, v12, v10, s[14:15]
	s_waitcnt lgkmcnt(0)
	v_cmp_lt_i64_e64 s[18:19], v[7:8], v[5:6]
	v_cndmask_b32_e64 v13, v9, v11, s[14:15]
	v_cmp_ge_i32_e64 s[20:21], v14, v35
	v_cmp_lt_i32_e64 s[16:17], v13, v36
	s_or_b64 s[18:19], s[20:21], s[18:19]
	s_and_b64 s[16:17], s[16:17], s[18:19]
	s_xor_b64 s[18:19], s[16:17], -1
                                        ; implicit-def: $vgpr9_vgpr10
	s_and_saveexec_b64 s[20:21], s[18:19]
	s_xor_b64 s[18:19], exec, s[20:21]
; %bb.107:                              ;   in Loop: Header=BB146_2 Depth=1
	v_lshlrev_b32_e32 v9, 3, v14
	ds_read_b64 v[9:10], v9 offset:8
; %bb.108:                              ;   in Loop: Header=BB146_2 Depth=1
	s_or_saveexec_b64 s[18:19], s[18:19]
	v_mov_b32_e32 v12, v8
	v_mov_b32_e32 v11, v7
	s_xor_b64 exec, exec, s[18:19]
	s_cbranch_execz .LBB146_110
; %bb.109:                              ;   in Loop: Header=BB146_2 Depth=1
	s_waitcnt lgkmcnt(0)
	v_lshlrev_b32_e32 v9, 3, v13
	ds_read_b64 v[11:12], v9 offset:8
	v_mov_b32_e32 v10, v6
	v_mov_b32_e32 v9, v5
.LBB146_110:                            ;   in Loop: Header=BB146_2 Depth=1
	s_or_b64 exec, exec, s[18:19]
	v_add_u32_e32 v16, 1, v14
	v_add_u32_e32 v15, 1, v13
	v_cndmask_b32_e64 v18, v16, v14, s[16:17]
	s_waitcnt lgkmcnt(0)
	v_cmp_lt_i64_e64 s[20:21], v[11:12], v[9:10]
	v_cndmask_b32_e64 v17, v13, v15, s[16:17]
	v_cmp_ge_i32_e64 s[22:23], v18, v35
	v_cmp_lt_i32_e64 s[18:19], v17, v36
	s_or_b64 s[20:21], s[22:23], s[20:21]
	s_and_b64 s[18:19], s[18:19], s[20:21]
	s_xor_b64 s[20:21], s[18:19], -1
                                        ; implicit-def: $vgpr13_vgpr14
	s_and_saveexec_b64 s[22:23], s[20:21]
	s_xor_b64 s[20:21], exec, s[22:23]
; %bb.111:                              ;   in Loop: Header=BB146_2 Depth=1
	v_lshlrev_b32_e32 v13, 3, v18
	ds_read_b64 v[13:14], v13 offset:8
; %bb.112:                              ;   in Loop: Header=BB146_2 Depth=1
	s_or_saveexec_b64 s[20:21], s[20:21]
	v_mov_b32_e32 v16, v12
	v_mov_b32_e32 v15, v11
	s_xor_b64 exec, exec, s[20:21]
	s_cbranch_execz .LBB146_114
; %bb.113:                              ;   in Loop: Header=BB146_2 Depth=1
	s_waitcnt lgkmcnt(0)
	v_lshlrev_b32_e32 v13, 3, v17
	ds_read_b64 v[15:16], v13 offset:8
	v_mov_b32_e32 v14, v10
	v_mov_b32_e32 v13, v9
.LBB146_114:                            ;   in Loop: Header=BB146_2 Depth=1
	s_or_b64 exec, exec, s[20:21]
	v_cndmask_b32_e64 v10, v10, v12, s[18:19]
	v_add_u32_e32 v12, 1, v18
	v_cndmask_b32_e64 v9, v9, v11, s[18:19]
	v_add_u32_e32 v11, 1, v17
	v_cndmask_b32_e64 v12, v12, v18, s[18:19]
	v_cndmask_b32_e64 v6, v6, v8, s[16:17]
	;; [unrolled: 1-line block ×3, first 2 shown]
	s_waitcnt lgkmcnt(0)
	v_cmp_lt_i64_e64 s[16:17], v[15:16], v[13:14]
	v_cndmask_b32_e64 v11, v17, v11, s[18:19]
	v_cmp_ge_i32_e64 s[18:19], v12, v35
	v_cndmask_b32_e64 v2, v2, v4, s[14:15]
	v_cndmask_b32_e64 v1, v1, v3, s[14:15]
	v_cmp_lt_i32_e64 s[14:15], v11, v36
	s_or_b64 s[16:17], s[18:19], s[16:17]
	s_and_b64 s[14:15], s[14:15], s[16:17]
	v_cndmask_b32_e64 v4, v14, v16, s[14:15]
	v_cndmask_b32_e64 v3, v13, v15, s[14:15]
	s_barrier
	ds_write2_b64 v72, v[1:2], v[5:6] offset1:1
	ds_write2_b64 v72, v[9:10], v[3:4] offset0:2 offset1:3
	v_mov_b32_e32 v5, v55
	s_waitcnt lgkmcnt(0)
	s_barrier
	s_and_saveexec_b64 s[16:17], s[12:13]
	s_cbranch_execz .LBB146_118
; %bb.115:                              ;   in Loop: Header=BB146_2 Depth=1
	s_mov_b64 s[18:19], 0
	v_mov_b32_e32 v5, v55
	v_mov_b32_e32 v1, v56
.LBB146_116:                            ;   Parent Loop BB146_2 Depth=1
                                        ; =>  This Inner Loop Header: Depth=2
	v_sub_u32_e32 v2, v1, v5
	v_lshrrev_b32_e32 v2, 1, v2
	v_add_u32_e32 v4, v2, v5
	v_not_b32_e32 v3, v4
	v_lshlrev_b32_e32 v2, 3, v4
	v_lshl_add_u32 v6, v3, 3, v80
	ds_read_b64 v[2:3], v2
	ds_read_b64 v[6:7], v6
	v_add_u32_e32 v8, 1, v4
	s_waitcnt lgkmcnt(0)
	v_cmp_lt_i64_e64 s[14:15], v[6:7], v[2:3]
	v_cndmask_b32_e64 v1, v1, v4, s[14:15]
	v_cndmask_b32_e64 v5, v8, v5, s[14:15]
	v_cmp_ge_i32_e64 s[14:15], v5, v1
	s_or_b64 s[18:19], s[14:15], s[18:19]
	s_andn2_b64 exec, exec, s[18:19]
	s_cbranch_execnz .LBB146_116
; %bb.117:                              ;   in Loop: Header=BB146_2 Depth=1
	s_or_b64 exec, exec, s[18:19]
.LBB146_118:                            ;   in Loop: Header=BB146_2 Depth=1
	s_or_b64 exec, exec, s[16:17]
	v_sub_u32_e32 v6, v57, v5
	v_lshlrev_b32_e32 v9, 3, v5
	v_lshlrev_b32_e32 v11, 3, v6
	ds_read_b64 v[1:2], v9
	ds_read_b64 v[3:4], v11
	v_cmp_le_i32_e64 s[18:19], v54, v5
	v_cmp_gt_i32_e64 s[14:15], s24, v6
                                        ; implicit-def: $vgpr7_vgpr8
	s_waitcnt lgkmcnt(0)
	v_cmp_lt_i64_e64 s[16:17], v[3:4], v[1:2]
	s_or_b64 s[16:17], s[18:19], s[16:17]
	s_and_b64 s[14:15], s[14:15], s[16:17]
	s_xor_b64 s[16:17], s[14:15], -1
	s_and_saveexec_b64 s[18:19], s[16:17]
	s_xor_b64 s[16:17], exec, s[18:19]
; %bb.119:                              ;   in Loop: Header=BB146_2 Depth=1
	ds_read_b64 v[7:8], v9 offset:8
                                        ; implicit-def: $vgpr11
; %bb.120:                              ;   in Loop: Header=BB146_2 Depth=1
	s_or_saveexec_b64 s[16:17], s[16:17]
	v_mov_b32_e32 v10, v4
	v_mov_b32_e32 v9, v3
	s_xor_b64 exec, exec, s[16:17]
	s_cbranch_execz .LBB146_122
; %bb.121:                              ;   in Loop: Header=BB146_2 Depth=1
	ds_read_b64 v[9:10], v11 offset:8
	s_waitcnt lgkmcnt(1)
	v_mov_b32_e32 v8, v2
	v_mov_b32_e32 v7, v1
.LBB146_122:                            ;   in Loop: Header=BB146_2 Depth=1
	s_or_b64 exec, exec, s[16:17]
	v_add_u32_e32 v12, 1, v5
	v_add_u32_e32 v11, 1, v6
	v_cndmask_b32_e64 v5, v12, v5, s[14:15]
	s_waitcnt lgkmcnt(0)
	v_cmp_lt_i64_e64 s[18:19], v[9:10], v[7:8]
	v_cndmask_b32_e64 v6, v6, v11, s[14:15]
	v_cmp_ge_i32_e64 s[20:21], v5, v54
	v_cmp_gt_i32_e64 s[16:17], s24, v6
	s_or_b64 s[18:19], s[20:21], s[18:19]
	s_and_b64 s[16:17], s[16:17], s[18:19]
	s_xor_b64 s[18:19], s[16:17], -1
                                        ; implicit-def: $vgpr11_vgpr12
	s_and_saveexec_b64 s[20:21], s[18:19]
	s_xor_b64 s[18:19], exec, s[20:21]
; %bb.123:                              ;   in Loop: Header=BB146_2 Depth=1
	v_lshlrev_b32_e32 v11, 3, v5
	ds_read_b64 v[11:12], v11 offset:8
; %bb.124:                              ;   in Loop: Header=BB146_2 Depth=1
	s_or_saveexec_b64 s[18:19], s[18:19]
	v_mov_b32_e32 v14, v10
	v_mov_b32_e32 v13, v9
	s_xor_b64 exec, exec, s[18:19]
	s_cbranch_execz .LBB146_126
; %bb.125:                              ;   in Loop: Header=BB146_2 Depth=1
	s_waitcnt lgkmcnt(0)
	v_lshlrev_b32_e32 v11, 3, v6
	ds_read_b64 v[13:14], v11 offset:8
	v_mov_b32_e32 v12, v8
	v_mov_b32_e32 v11, v7
.LBB146_126:                            ;   in Loop: Header=BB146_2 Depth=1
	s_or_b64 exec, exec, s[18:19]
	v_add_u32_e32 v16, 1, v5
	v_add_u32_e32 v15, 1, v6
	v_cndmask_b32_e64 v5, v16, v5, s[16:17]
	s_waitcnt lgkmcnt(0)
	v_cmp_lt_i64_e64 s[20:21], v[13:14], v[11:12]
	v_cndmask_b32_e64 v81, v6, v15, s[16:17]
	v_cmp_ge_i32_e64 s[22:23], v5, v54
	v_cmp_gt_i32_e64 s[18:19], s24, v81
	s_or_b64 s[20:21], s[22:23], s[20:21]
	s_and_b64 s[18:19], s[18:19], s[20:21]
	s_xor_b64 s[20:21], s[18:19], -1
                                        ; implicit-def: $vgpr15_vgpr16
                                        ; implicit-def: $vgpr82
	s_and_saveexec_b64 s[22:23], s[20:21]
	s_xor_b64 s[20:21], exec, s[22:23]
; %bb.127:                              ;   in Loop: Header=BB146_2 Depth=1
	v_lshlrev_b32_e32 v6, 3, v5
	ds_read_b64 v[15:16], v6 offset:8
	v_add_u32_e32 v82, 1, v5
                                        ; implicit-def: $vgpr5
; %bb.128:                              ;   in Loop: Header=BB146_2 Depth=1
	s_or_saveexec_b64 s[20:21], s[20:21]
	v_mov_b32_e32 v18, v14
	v_mov_b32_e32 v17, v13
	s_xor_b64 exec, exec, s[20:21]
	s_cbranch_execz .LBB146_1
; %bb.129:                              ;   in Loop: Header=BB146_2 Depth=1
	v_lshlrev_b32_e32 v6, 3, v81
	ds_read_b64 v[17:18], v6 offset:8
	s_waitcnt lgkmcnt(1)
	v_mov_b32_e32 v16, v12
	v_add_u32_e32 v81, 1, v81
	v_mov_b32_e32 v82, v5
	v_mov_b32_e32 v15, v11
	s_branch .LBB146_1
.LBB146_130:
	s_add_u32 s0, s26, s30
	s_addc_u32 s1, s27, s31
	v_lshlrev_b32_e32 v0, 3, v0
	v_mov_b32_e32 v9, s1
	v_add_co_u32_e32 v10, vcc, s0, v0
	v_addc_co_u32_e32 v9, vcc, 0, v9, vcc
	global_store_dwordx2 v0, v[5:6], s[0:1]
	global_store_dwordx2 v0, v[7:8], s[0:1] offset:2048
	v_add_co_u32_e32 v5, vcc, 0x1000, v10
	v_addc_co_u32_e32 v6, vcc, 0, v9, vcc
	global_store_dwordx2 v[5:6], v[1:2], off
	global_store_dwordx2 v[5:6], v[3:4], off offset:2048
	s_endpgm
	.section	.rodata,"a",@progbits
	.p2align	6, 0x0
	.amdhsa_kernel _Z16sort_keys_kernelIxLj256ELj4EN10test_utils4lessELj10EEvPKT_PS2_T2_
		.amdhsa_group_segment_fixed_size 8200
		.amdhsa_private_segment_fixed_size 0
		.amdhsa_kernarg_size 20
		.amdhsa_user_sgpr_count 6
		.amdhsa_user_sgpr_private_segment_buffer 1
		.amdhsa_user_sgpr_dispatch_ptr 0
		.amdhsa_user_sgpr_queue_ptr 0
		.amdhsa_user_sgpr_kernarg_segment_ptr 1
		.amdhsa_user_sgpr_dispatch_id 0
		.amdhsa_user_sgpr_flat_scratch_init 0
		.amdhsa_user_sgpr_private_segment_size 0
		.amdhsa_uses_dynamic_stack 0
		.amdhsa_system_sgpr_private_segment_wavefront_offset 0
		.amdhsa_system_sgpr_workgroup_id_x 1
		.amdhsa_system_sgpr_workgroup_id_y 0
		.amdhsa_system_sgpr_workgroup_id_z 0
		.amdhsa_system_sgpr_workgroup_info 0
		.amdhsa_system_vgpr_workitem_id 0
		.amdhsa_next_free_vgpr 83
		.amdhsa_next_free_sgpr 77
		.amdhsa_reserve_vcc 1
		.amdhsa_reserve_flat_scratch 0
		.amdhsa_float_round_mode_32 0
		.amdhsa_float_round_mode_16_64 0
		.amdhsa_float_denorm_mode_32 3
		.amdhsa_float_denorm_mode_16_64 3
		.amdhsa_dx10_clamp 1
		.amdhsa_ieee_mode 1
		.amdhsa_fp16_overflow 0
		.amdhsa_exception_fp_ieee_invalid_op 0
		.amdhsa_exception_fp_denorm_src 0
		.amdhsa_exception_fp_ieee_div_zero 0
		.amdhsa_exception_fp_ieee_overflow 0
		.amdhsa_exception_fp_ieee_underflow 0
		.amdhsa_exception_fp_ieee_inexact 0
		.amdhsa_exception_int_div_zero 0
	.end_amdhsa_kernel
	.section	.text._Z16sort_keys_kernelIxLj256ELj4EN10test_utils4lessELj10EEvPKT_PS2_T2_,"axG",@progbits,_Z16sort_keys_kernelIxLj256ELj4EN10test_utils4lessELj10EEvPKT_PS2_T2_,comdat
.Lfunc_end146:
	.size	_Z16sort_keys_kernelIxLj256ELj4EN10test_utils4lessELj10EEvPKT_PS2_T2_, .Lfunc_end146-_Z16sort_keys_kernelIxLj256ELj4EN10test_utils4lessELj10EEvPKT_PS2_T2_
                                        ; -- End function
	.set _Z16sort_keys_kernelIxLj256ELj4EN10test_utils4lessELj10EEvPKT_PS2_T2_.num_vgpr, 83
	.set _Z16sort_keys_kernelIxLj256ELj4EN10test_utils4lessELj10EEvPKT_PS2_T2_.num_agpr, 0
	.set _Z16sort_keys_kernelIxLj256ELj4EN10test_utils4lessELj10EEvPKT_PS2_T2_.numbered_sgpr, 32
	.set _Z16sort_keys_kernelIxLj256ELj4EN10test_utils4lessELj10EEvPKT_PS2_T2_.num_named_barrier, 0
	.set _Z16sort_keys_kernelIxLj256ELj4EN10test_utils4lessELj10EEvPKT_PS2_T2_.private_seg_size, 0
	.set _Z16sort_keys_kernelIxLj256ELj4EN10test_utils4lessELj10EEvPKT_PS2_T2_.uses_vcc, 1
	.set _Z16sort_keys_kernelIxLj256ELj4EN10test_utils4lessELj10EEvPKT_PS2_T2_.uses_flat_scratch, 0
	.set _Z16sort_keys_kernelIxLj256ELj4EN10test_utils4lessELj10EEvPKT_PS2_T2_.has_dyn_sized_stack, 0
	.set _Z16sort_keys_kernelIxLj256ELj4EN10test_utils4lessELj10EEvPKT_PS2_T2_.has_recursion, 0
	.set _Z16sort_keys_kernelIxLj256ELj4EN10test_utils4lessELj10EEvPKT_PS2_T2_.has_indirect_call, 0
	.section	.AMDGPU.csdata,"",@progbits
; Kernel info:
; codeLenInByte = 6636
; TotalNumSgprs: 36
; NumVgprs: 83
; ScratchSize: 0
; MemoryBound: 0
; FloatMode: 240
; IeeeMode: 1
; LDSByteSize: 8200 bytes/workgroup (compile time only)
; SGPRBlocks: 10
; VGPRBlocks: 20
; NumSGPRsForWavesPerEU: 81
; NumVGPRsForWavesPerEU: 83
; Occupancy: 3
; WaveLimiterHint : 1
; COMPUTE_PGM_RSRC2:SCRATCH_EN: 0
; COMPUTE_PGM_RSRC2:USER_SGPR: 6
; COMPUTE_PGM_RSRC2:TRAP_HANDLER: 0
; COMPUTE_PGM_RSRC2:TGID_X_EN: 1
; COMPUTE_PGM_RSRC2:TGID_Y_EN: 0
; COMPUTE_PGM_RSRC2:TGID_Z_EN: 0
; COMPUTE_PGM_RSRC2:TIDIG_COMP_CNT: 0
	.section	.text._Z17sort_pairs_kernelIxLj256ELj4EN10test_utils4lessELj10EEvPKT_PS2_T2_,"axG",@progbits,_Z17sort_pairs_kernelIxLj256ELj4EN10test_utils4lessELj10EEvPKT_PS2_T2_,comdat
	.protected	_Z17sort_pairs_kernelIxLj256ELj4EN10test_utils4lessELj10EEvPKT_PS2_T2_ ; -- Begin function _Z17sort_pairs_kernelIxLj256ELj4EN10test_utils4lessELj10EEvPKT_PS2_T2_
	.globl	_Z17sort_pairs_kernelIxLj256ELj4EN10test_utils4lessELj10EEvPKT_PS2_T2_
	.p2align	8
	.type	_Z17sort_pairs_kernelIxLj256ELj4EN10test_utils4lessELj10EEvPKT_PS2_T2_,@function
_Z17sort_pairs_kernelIxLj256ELj4EN10test_utils4lessELj10EEvPKT_PS2_T2_: ; @_Z17sort_pairs_kernelIxLj256ELj4EN10test_utils4lessELj10EEvPKT_PS2_T2_
; %bb.0:
	s_load_dwordx4 s[36:39], s[4:5], 0x0
	s_lshl_b32 s42, s6, 10
	s_mov_b32 s43, 0
	s_lshl_b64 s[40:41], s[42:43], 3
	v_lshlrev_b32_e32 v3, 3, v0
	s_waitcnt lgkmcnt(0)
	s_add_u32 s0, s36, s40
	s_addc_u32 s1, s37, s41
	v_mov_b32_e32 v1, s1
	v_add_co_u32_e32 v2, vcc, s0, v3
	v_addc_co_u32_e32 v4, vcc, 0, v1, vcc
	s_movk_i32 s2, 0x1000
	global_load_dwordx2 v[11:12], v3, s[0:1]
	v_add_co_u32_e32 v1, vcc, s2, v2
	v_addc_co_u32_e32 v2, vcc, 0, v4, vcc
	global_load_dwordx2 v[15:16], v[1:2], off offset:2048
	global_load_dwordx2 v[13:14], v3, s[0:1] offset:2048
	global_load_dwordx2 v[9:10], v[1:2], off
	v_lshlrev_b32_e32 v17, 2, v0
	v_and_b32_e32 v31, 0x3f8, v17
	v_and_b32_e32 v25, 0x3f0, v17
	v_or_b32_e32 v44, 4, v31
	v_add_u32_e32 v45, 8, v31
	v_and_b32_e32 v24, 4, v17
	v_or_b32_e32 v32, 8, v25
	v_add_u32_e32 v33, 16, v25
	v_sub_u32_e32 v2, v45, v44
	v_and_b32_e32 v18, 12, v17
	v_sub_u32_e32 v1, v33, v32
	v_sub_u32_e32 v6, v24, v2
	v_cmp_ge_i32_e32 vcc, v24, v2
	v_mov_b32_e32 v60, 0x200
	v_and_b32_e32 v26, 0x3e0, v17
	v_and_b32_e32 v19, 28, v17
	;; [unrolled: 1-line block ×10, first 2 shown]
	v_sub_u32_e32 v5, v18, v1
	v_cndmask_b32_e32 v48, 0, v6, vcc
	v_cmp_ge_i32_e32 vcc, v18, v1
	v_sub_u32_e64 v61, v17, v60 clamp
	v_min_i32_e32 v62, 0x200, v17
	v_add_u32_e32 v63, 0x200, v17
	v_lshlrev_b32_e32 v17, 3, v24
	v_cndmask_b32_e32 v49, 0, v5, vcc
	v_lshl_add_u32 v65, v44, 3, v17
	v_lshlrev_b32_e32 v17, 3, v18
	v_or_b32_e32 v34, 16, v26
	v_add_u32_e32 v35, 32, v26
	v_or_b32_e32 v36, 32, v27
	v_add_u32_e32 v37, 64, v27
	;; [unrolled: 2-line block ×5, first 2 shown]
	v_sub_u32_e32 v3, v44, v31
	v_lshl_add_u32 v67, v32, 3, v17
	v_lshlrev_b32_e32 v17, 3, v19
	v_sub_u32_e32 v50, v35, v34
	v_sub_u32_e32 v52, v37, v36
	;; [unrolled: 1-line block ×6, first 2 shown]
	v_min_i32_e32 v46, v24, v3
	v_lshl_add_u32 v69, v34, 3, v17
	v_lshlrev_b32_e32 v17, 3, v20
	v_sub_u32_e32 v51, v19, v50
	v_sub_u32_e32 v53, v20, v52
	;; [unrolled: 1-line block ×5, first 2 shown]
	v_min_i32_e32 v47, v18, v4
	v_cmp_ge_i32_e64 s[2:3], v19, v50
	v_cmp_ge_i32_e64 s[4:5], v20, v52
	;; [unrolled: 1-line block ×5, first 2 shown]
	v_lshl_add_u32 v71, v36, 3, v17
	v_lshlrev_b32_e32 v17, 3, v21
	v_cndmask_b32_e64 v50, 0, v51, s[2:3]
	v_sub_u32_e32 v51, v34, v26
	v_cndmask_b32_e64 v52, 0, v53, s[4:5]
	v_sub_u32_e32 v53, v36, v27
	v_cndmask_b32_e64 v54, 0, v55, s[6:7]
	s_waitcnt vmcnt(3)
	v_add_co_u32_e64 v7, s[0:1], 1, v11
	v_addc_co_u32_e64 v8, s[0:1], 0, v12, s[0:1]
	s_waitcnt vmcnt(1)
	v_add_co_u32_e64 v5, s[0:1], 1, v13
	v_addc_co_u32_e64 v6, s[0:1], 0, v14, s[0:1]
	;; [unrolled: 3-line block ×3, first 2 shown]
	v_add_co_u32_e64 v1, s[0:1], 1, v15
	v_sub_u32_e32 v55, v38, v28
	v_cndmask_b32_e64 v56, 0, v57, s[8:9]
	v_sub_u32_e32 v57, v40, v29
	v_cndmask_b32_e64 v58, 0, v59, s[10:11]
	v_sub_u32_e32 v59, v42, v30
	v_lshl_add_u32 v73, v38, 3, v17
	v_lshlrev_b32_e32 v17, 3, v22
	v_addc_co_u32_e64 v2, s[0:1], 0, v16, s[0:1]
	v_min_i32_e32 v51, v19, v51
	v_min_i32_e32 v53, v20, v53
	;; [unrolled: 1-line block ×5, first 2 shown]
	v_lshl_add_u32 v75, v40, 3, v17
	v_lshlrev_b32_e32 v17, 3, v23
	v_lshlrev_b32_e32 v78, 5, v0
	v_cmp_lt_i32_e32 vcc, v48, v46
	v_cmp_lt_i32_e64 s[0:1], v49, v47
	v_cmp_lt_i32_e64 s[2:3], v50, v51
	v_cmp_lt_i32_e64 s[4:5], v52, v53
	v_cmp_lt_i32_e64 s[6:7], v54, v55
	v_cmp_lt_i32_e64 s[8:9], v56, v57
	v_cmp_lt_i32_e64 s[10:11], v58, v59
	v_cmp_lt_i32_e64 s[12:13], v61, v62
	v_add_u32_e32 v64, v44, v24
	v_add_u32_e32 v66, v32, v18
	;; [unrolled: 1-line block ×7, first 2 shown]
	v_lshl_add_u32 v77, v42, 3, v17
	s_movk_i32 s33, 0x400
	v_lshlrev_b32_e32 v79, 3, v31
	v_lshlrev_b32_e32 v80, 3, v25
	;; [unrolled: 1-line block ×7, first 2 shown]
	v_add_u32_e32 v86, 0x1000, v78
	s_branch .LBB147_2
.LBB147_1:                              ;   in Loop: Header=BB147_2 Depth=1
	s_or_b64 exec, exec, s[20:21]
	v_cndmask_b32_e64 v11, v9, v11, s[14:15]
	v_cndmask_b32_e64 v14, v14, v20, s[16:17]
	;; [unrolled: 1-line block ×4, first 2 shown]
	s_waitcnt lgkmcnt(0)
	v_cmp_lt_i64_e64 s[16:17], v[23:24], v[21:22]
	v_cmp_ge_i32_e64 s[20:21], v93, v60
	v_cndmask_b32_e64 v12, v10, v12, s[14:15]
	v_cndmask_b32_e64 v10, v16, v18, s[18:19]
	;; [unrolled: 1-line block ×3, first 2 shown]
	v_cmp_gt_i32_e64 s[14:15], s33, v91
	s_or_b64 s[16:17], s[20:21], s[16:17]
	s_and_b64 s[14:15], s[14:15], s[16:17]
	v_cndmask_b32_e64 v19, v93, v91, s[14:15]
	s_barrier
	ds_write2_b64 v78, v[5:6], v[7:8] offset1:1
	ds_write2_b64 v78, v[1:2], v[3:4] offset0:2 offset1:3
	v_lshlrev_b32_e32 v1, 3, v18
	v_lshlrev_b32_e32 v2, 3, v9
	;; [unrolled: 1-line block ×3, first 2 shown]
	s_waitcnt lgkmcnt(0)
	s_barrier
	v_lshlrev_b32_e32 v9, 3, v19
	ds_read_b64 v[7:8], v1
	ds_read_b64 v[5:6], v2
	;; [unrolled: 1-line block ×4, first 2 shown]
	s_add_i32 s43, s43, 1
	v_cndmask_b32_e64 v16, v22, v24, s[14:15]
	v_cndmask_b32_e64 v9, v15, v17, s[18:19]
	s_cmp_eq_u32 s43, 10
	v_cndmask_b32_e64 v15, v21, v23, s[14:15]
	s_cbranch_scc1 .LBB147_130
.LBB147_2:                              ; =>This Loop Header: Depth=1
                                        ;     Child Loop BB147_4 Depth 2
                                        ;     Child Loop BB147_20 Depth 2
	;; [unrolled: 1-line block ×8, first 2 shown]
	v_cmp_lt_i64_e64 s[14:15], v[13:14], v[11:12]
	v_cmp_lt_i64_e64 s[16:17], v[15:16], v[9:10]
	v_cndmask_b32_e64 v18, v12, v14, s[14:15]
	v_cndmask_b32_e64 v17, v11, v13, s[14:15]
	;; [unrolled: 1-line block ×8, first 2 shown]
	v_cmp_lt_i64_e64 s[18:19], v[9:10], v[11:12]
	v_cndmask_b32_e64 v16, v10, v12, s[18:19]
	v_cndmask_b32_e64 v15, v9, v11, s[18:19]
	;; [unrolled: 1-line block ×4, first 2 shown]
	v_cmp_lt_i64_e64 s[20:21], v[9:10], v[17:18]
	v_cmp_lt_i64_e64 s[22:23], v[13:14], v[15:16]
	v_cndmask_b32_e64 v12, v10, v18, s[20:21]
	v_cndmask_b32_e64 v11, v9, v17, s[20:21]
	v_cndmask_b32_e64 v10, v18, v10, s[20:21]
	v_cndmask_b32_e64 v9, v17, v9, s[20:21]
	v_cndmask_b32_e64 v18, v14, v16, s[22:23]
	v_cndmask_b32_e64 v17, v13, v15, s[22:23]
	v_cndmask_b32_e64 v14, v16, v14, s[22:23]
	v_cndmask_b32_e64 v13, v15, v13, s[22:23]
	v_cmp_lt_i64_e64 s[24:25], v[13:14], v[11:12]
	s_waitcnt lgkmcnt(0)
	s_barrier
	v_cndmask_b32_e64 v16, v14, v12, s[24:25]
	v_cndmask_b32_e64 v15, v13, v11, s[24:25]
	;; [unrolled: 1-line block ×4, first 2 shown]
	v_mov_b32_e32 v13, v48
	ds_write2_b64 v78, v[9:10], v[11:12] offset1:1
	ds_write2_b64 v78, v[15:16], v[17:18] offset0:2 offset1:3
	s_waitcnt lgkmcnt(0)
	s_barrier
	s_and_saveexec_b64 s[28:29], vcc
	s_cbranch_execz .LBB147_6
; %bb.3:                                ;   in Loop: Header=BB147_2 Depth=1
	s_mov_b64 s[30:31], 0
	v_mov_b32_e32 v13, v48
	v_mov_b32_e32 v9, v46
.LBB147_4:                              ;   Parent Loop BB147_2 Depth=1
                                        ; =>  This Inner Loop Header: Depth=2
	v_sub_u32_e32 v10, v9, v13
	v_lshrrev_b32_e32 v10, 1, v10
	v_add_u32_e32 v12, v10, v13
	v_not_b32_e32 v11, v12
	v_lshl_add_u32 v10, v12, 3, v79
	v_lshl_add_u32 v14, v11, 3, v65
	ds_read_b64 v[10:11], v10
	ds_read_b64 v[14:15], v14
	v_add_u32_e32 v16, 1, v12
	s_waitcnt lgkmcnt(0)
	v_cmp_lt_i64_e64 s[26:27], v[14:15], v[10:11]
	v_cndmask_b32_e64 v9, v9, v12, s[26:27]
	v_cndmask_b32_e64 v13, v16, v13, s[26:27]
	v_cmp_ge_i32_e64 s[26:27], v13, v9
	s_or_b64 s[30:31], s[26:27], s[30:31]
	s_andn2_b64 exec, exec, s[30:31]
	s_cbranch_execnz .LBB147_4
; %bb.5:                                ;   in Loop: Header=BB147_2 Depth=1
	s_or_b64 exec, exec, s[30:31]
.LBB147_6:                              ;   in Loop: Header=BB147_2 Depth=1
	s_or_b64 exec, exec, s[28:29]
	v_sub_u32_e32 v87, v64, v13
	v_lshl_add_u32 v15, v13, 3, v79
	v_lshlrev_b32_e32 v17, 3, v87
	ds_read_b64 v[9:10], v15
	ds_read_b64 v[11:12], v17
	v_add_u32_e32 v88, v13, v31
	v_cmp_le_i32_e64 s[30:31], v44, v88
	v_cmp_gt_i32_e64 s[26:27], v45, v87
                                        ; implicit-def: $vgpr13_vgpr14
	s_waitcnt lgkmcnt(0)
	v_cmp_lt_i64_e64 s[28:29], v[11:12], v[9:10]
	s_or_b64 s[28:29], s[30:31], s[28:29]
	s_and_b64 s[26:27], s[26:27], s[28:29]
	s_xor_b64 s[28:29], s[26:27], -1
	s_and_saveexec_b64 s[30:31], s[28:29]
	s_xor_b64 s[28:29], exec, s[30:31]
; %bb.7:                                ;   in Loop: Header=BB147_2 Depth=1
	ds_read_b64 v[13:14], v15 offset:8
                                        ; implicit-def: $vgpr17
; %bb.8:                                ;   in Loop: Header=BB147_2 Depth=1
	s_or_saveexec_b64 s[28:29], s[28:29]
	v_mov_b32_e32 v16, v12
	v_mov_b32_e32 v15, v11
	s_xor_b64 exec, exec, s[28:29]
	s_cbranch_execz .LBB147_10
; %bb.9:                                ;   in Loop: Header=BB147_2 Depth=1
	ds_read_b64 v[15:16], v17 offset:8
	s_waitcnt lgkmcnt(1)
	v_mov_b32_e32 v14, v10
	v_mov_b32_e32 v13, v9
.LBB147_10:                             ;   in Loop: Header=BB147_2 Depth=1
	s_or_b64 exec, exec, s[28:29]
	v_add_u32_e32 v18, 1, v88
	v_add_u32_e32 v17, 1, v87
	v_cndmask_b32_e64 v90, v18, v88, s[26:27]
	s_waitcnt lgkmcnt(0)
	v_cmp_lt_i64_e64 s[30:31], v[15:16], v[13:14]
	v_cndmask_b32_e64 v89, v87, v17, s[26:27]
	v_cmp_ge_i32_e64 s[34:35], v90, v44
	v_cmp_lt_i32_e64 s[28:29], v89, v45
	s_or_b64 s[30:31], s[34:35], s[30:31]
	s_and_b64 s[28:29], s[28:29], s[30:31]
	s_xor_b64 s[30:31], s[28:29], -1
                                        ; implicit-def: $vgpr19_vgpr20
	s_and_saveexec_b64 s[34:35], s[30:31]
	s_xor_b64 s[30:31], exec, s[34:35]
; %bb.11:                               ;   in Loop: Header=BB147_2 Depth=1
	v_lshlrev_b32_e32 v17, 3, v90
	ds_read_b64 v[19:20], v17 offset:8
; %bb.12:                               ;   in Loop: Header=BB147_2 Depth=1
	s_or_saveexec_b64 s[30:31], s[30:31]
	v_mov_b32_e32 v24, v16
	v_mov_b32_e32 v23, v15
	s_xor_b64 exec, exec, s[30:31]
	s_cbranch_execz .LBB147_14
; %bb.13:                               ;   in Loop: Header=BB147_2 Depth=1
	v_lshlrev_b32_e32 v17, 3, v89
	ds_read_b64 v[23:24], v17 offset:8
	s_waitcnt lgkmcnt(1)
	v_mov_b32_e32 v20, v14
	v_mov_b32_e32 v19, v13
.LBB147_14:                             ;   in Loop: Header=BB147_2 Depth=1
	s_or_b64 exec, exec, s[30:31]
	v_add_u32_e32 v18, 1, v90
	v_add_u32_e32 v17, 1, v89
	v_cndmask_b32_e64 v92, v18, v90, s[28:29]
	s_waitcnt lgkmcnt(0)
	v_cmp_lt_i64_e64 s[34:35], v[23:24], v[19:20]
	v_cndmask_b32_e64 v91, v89, v17, s[28:29]
	v_cmp_ge_i32_e64 s[36:37], v92, v44
	v_cmp_lt_i32_e64 s[30:31], v91, v45
	s_or_b64 s[34:35], s[36:37], s[34:35]
	s_and_b64 s[30:31], s[30:31], s[34:35]
	s_xor_b64 s[34:35], s[30:31], -1
                                        ; implicit-def: $vgpr17_vgpr18
	s_and_saveexec_b64 s[36:37], s[34:35]
	s_xor_b64 s[34:35], exec, s[36:37]
; %bb.15:                               ;   in Loop: Header=BB147_2 Depth=1
	v_lshlrev_b32_e32 v17, 3, v92
	ds_read_b64 v[17:18], v17 offset:8
; %bb.16:                               ;   in Loop: Header=BB147_2 Depth=1
	s_or_saveexec_b64 s[34:35], s[34:35]
	v_mov_b32_e32 v21, v23
	v_mov_b32_e32 v22, v24
	s_xor_b64 exec, exec, s[34:35]
	s_cbranch_execz .LBB147_18
; %bb.17:                               ;   in Loop: Header=BB147_2 Depth=1
	s_waitcnt lgkmcnt(0)
	v_lshlrev_b32_e32 v17, 3, v91
	ds_read_b64 v[21:22], v17 offset:8
	v_mov_b32_e32 v17, v19
	v_mov_b32_e32 v18, v20
.LBB147_18:                             ;   in Loop: Header=BB147_2 Depth=1
	s_or_b64 exec, exec, s[34:35]
	v_cndmask_b32_e64 v20, v20, v24, s[30:31]
	v_add_u32_e32 v24, 1, v92
	v_cndmask_b32_e64 v19, v19, v23, s[30:31]
	v_add_u32_e32 v23, 1, v91
	v_cndmask_b32_e64 v24, v24, v92, s[30:31]
	v_cndmask_b32_e64 v10, v10, v12, s[26:27]
	;; [unrolled: 1-line block ×11, first 2 shown]
	s_waitcnt lgkmcnt(0)
	v_cmp_lt_i64_e64 s[16:17], v[21:22], v[17:18]
	v_cndmask_b32_e64 v23, v91, v23, s[30:31]
	v_cndmask_b32_e64 v14, v14, v16, s[28:29]
	;; [unrolled: 1-line block ×7, first 2 shown]
	v_cmp_ge_i32_e64 s[18:19], v24, v44
	v_cmp_lt_i32_e64 s[14:15], v23, v45
	s_or_b64 s[16:17], s[18:19], s[16:17]
	v_cndmask_b32_e64 v2, v12, v4, s[20:21]
	v_cndmask_b32_e64 v1, v11, v3, s[20:21]
	;; [unrolled: 1-line block ×8, first 2 shown]
	s_and_b64 s[14:15], s[14:15], s[16:17]
	v_cndmask_b32_e64 v91, v92, v91, s[30:31]
	v_cndmask_b32_e64 v13, v13, v15, s[28:29]
	;; [unrolled: 1-line block ×9, first 2 shown]
	s_barrier
	ds_write2_b64 v78, v[1:2], v[7:8] offset1:1
	ds_write2_b64 v78, v[5:6], v[3:4] offset0:2 offset1:3
	v_lshlrev_b32_e32 v1, 3, v16
	v_lshlrev_b32_e32 v2, 3, v15
	;; [unrolled: 1-line block ×4, first 2 shown]
	s_waitcnt lgkmcnt(0)
	s_barrier
	ds_read_b64 v[5:6], v1
	ds_read_b64 v[7:8], v2
	;; [unrolled: 1-line block ×4, first 2 shown]
	v_cndmask_b32_e64 v12, v18, v22, s[14:15]
	s_waitcnt lgkmcnt(0)
	s_barrier
	ds_write2_b64 v78, v[9:10], v[13:14] offset1:1
	ds_write2_b64 v78, v[19:20], v[11:12] offset0:2 offset1:3
	v_mov_b32_e32 v13, v49
	s_waitcnt lgkmcnt(0)
	s_barrier
	s_and_saveexec_b64 s[16:17], s[0:1]
	s_cbranch_execz .LBB147_22
; %bb.19:                               ;   in Loop: Header=BB147_2 Depth=1
	s_mov_b64 s[18:19], 0
	v_mov_b32_e32 v13, v49
	v_mov_b32_e32 v9, v47
.LBB147_20:                             ;   Parent Loop BB147_2 Depth=1
                                        ; =>  This Inner Loop Header: Depth=2
	v_sub_u32_e32 v10, v9, v13
	v_lshrrev_b32_e32 v10, 1, v10
	v_add_u32_e32 v12, v10, v13
	v_not_b32_e32 v11, v12
	v_lshl_add_u32 v10, v12, 3, v80
	v_lshl_add_u32 v14, v11, 3, v67
	ds_read_b64 v[10:11], v10
	ds_read_b64 v[14:15], v14
	v_add_u32_e32 v16, 1, v12
	s_waitcnt lgkmcnt(0)
	v_cmp_lt_i64_e64 s[14:15], v[14:15], v[10:11]
	v_cndmask_b32_e64 v9, v9, v12, s[14:15]
	v_cndmask_b32_e64 v13, v16, v13, s[14:15]
	v_cmp_ge_i32_e64 s[14:15], v13, v9
	s_or_b64 s[18:19], s[14:15], s[18:19]
	s_andn2_b64 exec, exec, s[18:19]
	s_cbranch_execnz .LBB147_20
; %bb.21:                               ;   in Loop: Header=BB147_2 Depth=1
	s_or_b64 exec, exec, s[18:19]
.LBB147_22:                             ;   in Loop: Header=BB147_2 Depth=1
	s_or_b64 exec, exec, s[16:17]
	v_sub_u32_e32 v87, v66, v13
	v_lshl_add_u32 v15, v13, 3, v80
	v_lshlrev_b32_e32 v17, 3, v87
	ds_read_b64 v[9:10], v15
	ds_read_b64 v[11:12], v17
	v_add_u32_e32 v88, v13, v25
	v_cmp_le_i32_e64 s[18:19], v32, v88
	v_cmp_gt_i32_e64 s[14:15], v33, v87
                                        ; implicit-def: $vgpr13_vgpr14
	s_waitcnt lgkmcnt(0)
	v_cmp_lt_i64_e64 s[16:17], v[11:12], v[9:10]
	s_or_b64 s[16:17], s[18:19], s[16:17]
	s_and_b64 s[14:15], s[14:15], s[16:17]
	s_xor_b64 s[16:17], s[14:15], -1
	s_and_saveexec_b64 s[18:19], s[16:17]
	s_xor_b64 s[16:17], exec, s[18:19]
; %bb.23:                               ;   in Loop: Header=BB147_2 Depth=1
	ds_read_b64 v[13:14], v15 offset:8
                                        ; implicit-def: $vgpr17
; %bb.24:                               ;   in Loop: Header=BB147_2 Depth=1
	s_or_saveexec_b64 s[16:17], s[16:17]
	v_mov_b32_e32 v16, v12
	v_mov_b32_e32 v15, v11
	s_xor_b64 exec, exec, s[16:17]
	s_cbranch_execz .LBB147_26
; %bb.25:                               ;   in Loop: Header=BB147_2 Depth=1
	ds_read_b64 v[15:16], v17 offset:8
	s_waitcnt lgkmcnt(1)
	v_mov_b32_e32 v14, v10
	v_mov_b32_e32 v13, v9
.LBB147_26:                             ;   in Loop: Header=BB147_2 Depth=1
	s_or_b64 exec, exec, s[16:17]
	v_add_u32_e32 v18, 1, v88
	v_add_u32_e32 v17, 1, v87
	v_cndmask_b32_e64 v90, v18, v88, s[14:15]
	s_waitcnt lgkmcnt(0)
	v_cmp_lt_i64_e64 s[18:19], v[15:16], v[13:14]
	v_cndmask_b32_e64 v89, v87, v17, s[14:15]
	v_cmp_ge_i32_e64 s[20:21], v90, v32
	v_cmp_lt_i32_e64 s[16:17], v89, v33
	s_or_b64 s[18:19], s[20:21], s[18:19]
	s_and_b64 s[16:17], s[16:17], s[18:19]
	s_xor_b64 s[18:19], s[16:17], -1
                                        ; implicit-def: $vgpr17_vgpr18
	s_and_saveexec_b64 s[20:21], s[18:19]
	s_xor_b64 s[18:19], exec, s[20:21]
; %bb.27:                               ;   in Loop: Header=BB147_2 Depth=1
	v_lshlrev_b32_e32 v17, 3, v90
	ds_read_b64 v[17:18], v17 offset:8
; %bb.28:                               ;   in Loop: Header=BB147_2 Depth=1
	s_or_saveexec_b64 s[18:19], s[18:19]
	v_mov_b32_e32 v20, v16
	v_mov_b32_e32 v19, v15
	s_xor_b64 exec, exec, s[18:19]
	s_cbranch_execz .LBB147_30
; %bb.29:                               ;   in Loop: Header=BB147_2 Depth=1
	s_waitcnt lgkmcnt(0)
	v_lshlrev_b32_e32 v17, 3, v89
	ds_read_b64 v[19:20], v17 offset:8
	v_mov_b32_e32 v18, v14
	v_mov_b32_e32 v17, v13
.LBB147_30:                             ;   in Loop: Header=BB147_2 Depth=1
	s_or_b64 exec, exec, s[18:19]
	v_add_u32_e32 v22, 1, v90
	v_add_u32_e32 v21, 1, v89
	v_cndmask_b32_e64 v92, v22, v90, s[16:17]
	s_waitcnt lgkmcnt(0)
	v_cmp_lt_i64_e64 s[20:21], v[19:20], v[17:18]
	v_cndmask_b32_e64 v91, v89, v21, s[16:17]
	v_cmp_ge_i32_e64 s[22:23], v92, v32
	v_cmp_lt_i32_e64 s[18:19], v91, v33
	s_or_b64 s[20:21], s[22:23], s[20:21]
	s_and_b64 s[18:19], s[18:19], s[20:21]
	s_xor_b64 s[20:21], s[18:19], -1
                                        ; implicit-def: $vgpr21_vgpr22
	s_and_saveexec_b64 s[22:23], s[20:21]
	s_xor_b64 s[20:21], exec, s[22:23]
; %bb.31:                               ;   in Loop: Header=BB147_2 Depth=1
	v_lshlrev_b32_e32 v21, 3, v92
	ds_read_b64 v[21:22], v21 offset:8
; %bb.32:                               ;   in Loop: Header=BB147_2 Depth=1
	s_or_saveexec_b64 s[20:21], s[20:21]
	v_mov_b32_e32 v24, v20
	v_mov_b32_e32 v23, v19
	s_xor_b64 exec, exec, s[20:21]
	s_cbranch_execz .LBB147_34
; %bb.33:                               ;   in Loop: Header=BB147_2 Depth=1
	s_waitcnt lgkmcnt(0)
	v_lshlrev_b32_e32 v21, 3, v91
	ds_read_b64 v[23:24], v21 offset:8
	v_mov_b32_e32 v22, v18
	v_mov_b32_e32 v21, v17
.LBB147_34:                             ;   in Loop: Header=BB147_2 Depth=1
	s_or_b64 exec, exec, s[20:21]
	v_cndmask_b32_e64 v18, v18, v20, s[18:19]
	v_add_u32_e32 v20, 1, v92
	v_cndmask_b32_e64 v17, v17, v19, s[18:19]
	v_add_u32_e32 v19, 1, v91
	v_cndmask_b32_e64 v20, v20, v92, s[18:19]
	v_cndmask_b32_e64 v14, v14, v16, s[16:17]
	v_cndmask_b32_e64 v13, v13, v15, s[16:17]
	v_cndmask_b32_e64 v15, v90, v89, s[16:17]
	s_waitcnt lgkmcnt(0)
	v_cmp_lt_i64_e64 s[16:17], v[23:24], v[21:22]
	v_cndmask_b32_e64 v19, v91, v19, s[18:19]
	v_cndmask_b32_e64 v91, v92, v91, s[18:19]
	v_cmp_ge_i32_e64 s[18:19], v20, v32
	v_cndmask_b32_e64 v10, v10, v12, s[14:15]
	v_cndmask_b32_e64 v9, v9, v11, s[14:15]
	;; [unrolled: 1-line block ×3, first 2 shown]
	v_cmp_lt_i32_e64 s[14:15], v19, v33
	s_or_b64 s[16:17], s[18:19], s[16:17]
	s_and_b64 s[14:15], s[14:15], s[16:17]
	v_cndmask_b32_e64 v19, v20, v19, s[14:15]
	s_barrier
	ds_write2_b64 v78, v[5:6], v[7:8] offset1:1
	ds_write2_b64 v78, v[1:2], v[3:4] offset0:2 offset1:3
	v_lshlrev_b32_e32 v1, 3, v16
	v_lshlrev_b32_e32 v2, 3, v15
	;; [unrolled: 1-line block ×4, first 2 shown]
	s_waitcnt lgkmcnt(0)
	s_barrier
	ds_read_b64 v[5:6], v1
	ds_read_b64 v[7:8], v2
	;; [unrolled: 1-line block ×4, first 2 shown]
	v_cndmask_b32_e64 v12, v22, v24, s[14:15]
	v_cndmask_b32_e64 v11, v21, v23, s[14:15]
	s_waitcnt lgkmcnt(0)
	s_barrier
	ds_write2_b64 v78, v[9:10], v[13:14] offset1:1
	ds_write2_b64 v78, v[17:18], v[11:12] offset0:2 offset1:3
	v_mov_b32_e32 v13, v50
	s_waitcnt lgkmcnt(0)
	s_barrier
	s_and_saveexec_b64 s[16:17], s[2:3]
	s_cbranch_execz .LBB147_38
; %bb.35:                               ;   in Loop: Header=BB147_2 Depth=1
	s_mov_b64 s[18:19], 0
	v_mov_b32_e32 v13, v50
	v_mov_b32_e32 v9, v51
.LBB147_36:                             ;   Parent Loop BB147_2 Depth=1
                                        ; =>  This Inner Loop Header: Depth=2
	v_sub_u32_e32 v10, v9, v13
	v_lshrrev_b32_e32 v10, 1, v10
	v_add_u32_e32 v12, v10, v13
	v_not_b32_e32 v11, v12
	v_lshl_add_u32 v10, v12, 3, v81
	v_lshl_add_u32 v14, v11, 3, v69
	ds_read_b64 v[10:11], v10
	ds_read_b64 v[14:15], v14
	v_add_u32_e32 v16, 1, v12
	s_waitcnt lgkmcnt(0)
	v_cmp_lt_i64_e64 s[14:15], v[14:15], v[10:11]
	v_cndmask_b32_e64 v9, v9, v12, s[14:15]
	v_cndmask_b32_e64 v13, v16, v13, s[14:15]
	v_cmp_ge_i32_e64 s[14:15], v13, v9
	s_or_b64 s[18:19], s[14:15], s[18:19]
	s_andn2_b64 exec, exec, s[18:19]
	s_cbranch_execnz .LBB147_36
; %bb.37:                               ;   in Loop: Header=BB147_2 Depth=1
	s_or_b64 exec, exec, s[18:19]
.LBB147_38:                             ;   in Loop: Header=BB147_2 Depth=1
	s_or_b64 exec, exec, s[16:17]
	v_sub_u32_e32 v87, v68, v13
	v_lshl_add_u32 v15, v13, 3, v81
	v_lshlrev_b32_e32 v17, 3, v87
	ds_read_b64 v[9:10], v15
	ds_read_b64 v[11:12], v17
	v_add_u32_e32 v88, v13, v26
	v_cmp_le_i32_e64 s[18:19], v34, v88
	v_cmp_gt_i32_e64 s[14:15], v35, v87
                                        ; implicit-def: $vgpr13_vgpr14
	s_waitcnt lgkmcnt(0)
	v_cmp_lt_i64_e64 s[16:17], v[11:12], v[9:10]
	s_or_b64 s[16:17], s[18:19], s[16:17]
	s_and_b64 s[14:15], s[14:15], s[16:17]
	s_xor_b64 s[16:17], s[14:15], -1
	s_and_saveexec_b64 s[18:19], s[16:17]
	s_xor_b64 s[16:17], exec, s[18:19]
; %bb.39:                               ;   in Loop: Header=BB147_2 Depth=1
	ds_read_b64 v[13:14], v15 offset:8
                                        ; implicit-def: $vgpr17
; %bb.40:                               ;   in Loop: Header=BB147_2 Depth=1
	s_or_saveexec_b64 s[16:17], s[16:17]
	v_mov_b32_e32 v16, v12
	v_mov_b32_e32 v15, v11
	s_xor_b64 exec, exec, s[16:17]
	s_cbranch_execz .LBB147_42
; %bb.41:                               ;   in Loop: Header=BB147_2 Depth=1
	ds_read_b64 v[15:16], v17 offset:8
	s_waitcnt lgkmcnt(1)
	v_mov_b32_e32 v14, v10
	v_mov_b32_e32 v13, v9
.LBB147_42:                             ;   in Loop: Header=BB147_2 Depth=1
	s_or_b64 exec, exec, s[16:17]
	v_add_u32_e32 v18, 1, v88
	v_add_u32_e32 v17, 1, v87
	v_cndmask_b32_e64 v90, v18, v88, s[14:15]
	s_waitcnt lgkmcnt(0)
	v_cmp_lt_i64_e64 s[18:19], v[15:16], v[13:14]
	v_cndmask_b32_e64 v89, v87, v17, s[14:15]
	v_cmp_ge_i32_e64 s[20:21], v90, v34
	v_cmp_lt_i32_e64 s[16:17], v89, v35
	s_or_b64 s[18:19], s[20:21], s[18:19]
	s_and_b64 s[16:17], s[16:17], s[18:19]
	s_xor_b64 s[18:19], s[16:17], -1
                                        ; implicit-def: $vgpr17_vgpr18
	s_and_saveexec_b64 s[20:21], s[18:19]
	s_xor_b64 s[18:19], exec, s[20:21]
; %bb.43:                               ;   in Loop: Header=BB147_2 Depth=1
	v_lshlrev_b32_e32 v17, 3, v90
	ds_read_b64 v[17:18], v17 offset:8
; %bb.44:                               ;   in Loop: Header=BB147_2 Depth=1
	s_or_saveexec_b64 s[18:19], s[18:19]
	v_mov_b32_e32 v20, v16
	v_mov_b32_e32 v19, v15
	s_xor_b64 exec, exec, s[18:19]
	s_cbranch_execz .LBB147_46
; %bb.45:                               ;   in Loop: Header=BB147_2 Depth=1
	s_waitcnt lgkmcnt(0)
	v_lshlrev_b32_e32 v17, 3, v89
	ds_read_b64 v[19:20], v17 offset:8
	v_mov_b32_e32 v18, v14
	v_mov_b32_e32 v17, v13
.LBB147_46:                             ;   in Loop: Header=BB147_2 Depth=1
	s_or_b64 exec, exec, s[18:19]
	v_add_u32_e32 v22, 1, v90
	v_add_u32_e32 v21, 1, v89
	v_cndmask_b32_e64 v92, v22, v90, s[16:17]
	s_waitcnt lgkmcnt(0)
	v_cmp_lt_i64_e64 s[20:21], v[19:20], v[17:18]
	v_cndmask_b32_e64 v91, v89, v21, s[16:17]
	v_cmp_ge_i32_e64 s[22:23], v92, v34
	v_cmp_lt_i32_e64 s[18:19], v91, v35
	s_or_b64 s[20:21], s[22:23], s[20:21]
	s_and_b64 s[18:19], s[18:19], s[20:21]
	s_xor_b64 s[20:21], s[18:19], -1
                                        ; implicit-def: $vgpr21_vgpr22
	s_and_saveexec_b64 s[22:23], s[20:21]
	s_xor_b64 s[20:21], exec, s[22:23]
; %bb.47:                               ;   in Loop: Header=BB147_2 Depth=1
	v_lshlrev_b32_e32 v21, 3, v92
	ds_read_b64 v[21:22], v21 offset:8
; %bb.48:                               ;   in Loop: Header=BB147_2 Depth=1
	s_or_saveexec_b64 s[20:21], s[20:21]
	v_mov_b32_e32 v24, v20
	v_mov_b32_e32 v23, v19
	s_xor_b64 exec, exec, s[20:21]
	s_cbranch_execz .LBB147_50
; %bb.49:                               ;   in Loop: Header=BB147_2 Depth=1
	s_waitcnt lgkmcnt(0)
	v_lshlrev_b32_e32 v21, 3, v91
	ds_read_b64 v[23:24], v21 offset:8
	v_mov_b32_e32 v22, v18
	v_mov_b32_e32 v21, v17
.LBB147_50:                             ;   in Loop: Header=BB147_2 Depth=1
	s_or_b64 exec, exec, s[20:21]
	v_cndmask_b32_e64 v18, v18, v20, s[18:19]
	v_add_u32_e32 v20, 1, v92
	v_cndmask_b32_e64 v17, v17, v19, s[18:19]
	v_add_u32_e32 v19, 1, v91
	v_cndmask_b32_e64 v20, v20, v92, s[18:19]
	v_cndmask_b32_e64 v14, v14, v16, s[16:17]
	;; [unrolled: 1-line block ×4, first 2 shown]
	s_waitcnt lgkmcnt(0)
	v_cmp_lt_i64_e64 s[16:17], v[23:24], v[21:22]
	v_cndmask_b32_e64 v19, v91, v19, s[18:19]
	v_cndmask_b32_e64 v91, v92, v91, s[18:19]
	v_cmp_ge_i32_e64 s[18:19], v20, v34
	v_cndmask_b32_e64 v10, v10, v12, s[14:15]
	v_cndmask_b32_e64 v9, v9, v11, s[14:15]
	;; [unrolled: 1-line block ×3, first 2 shown]
	v_cmp_lt_i32_e64 s[14:15], v19, v35
	s_or_b64 s[16:17], s[18:19], s[16:17]
	s_and_b64 s[14:15], s[14:15], s[16:17]
	v_cndmask_b32_e64 v19, v20, v19, s[14:15]
	s_barrier
	ds_write2_b64 v78, v[5:6], v[7:8] offset1:1
	ds_write2_b64 v78, v[1:2], v[3:4] offset0:2 offset1:3
	v_lshlrev_b32_e32 v1, 3, v16
	v_lshlrev_b32_e32 v2, 3, v15
	;; [unrolled: 1-line block ×4, first 2 shown]
	s_waitcnt lgkmcnt(0)
	s_barrier
	ds_read_b64 v[5:6], v1
	ds_read_b64 v[7:8], v2
	;; [unrolled: 1-line block ×4, first 2 shown]
	v_cndmask_b32_e64 v12, v22, v24, s[14:15]
	v_cndmask_b32_e64 v11, v21, v23, s[14:15]
	s_waitcnt lgkmcnt(0)
	s_barrier
	ds_write2_b64 v78, v[9:10], v[13:14] offset1:1
	ds_write2_b64 v78, v[17:18], v[11:12] offset0:2 offset1:3
	v_mov_b32_e32 v13, v52
	s_waitcnt lgkmcnt(0)
	s_barrier
	s_and_saveexec_b64 s[16:17], s[4:5]
	s_cbranch_execz .LBB147_54
; %bb.51:                               ;   in Loop: Header=BB147_2 Depth=1
	s_mov_b64 s[18:19], 0
	v_mov_b32_e32 v13, v52
	v_mov_b32_e32 v9, v53
.LBB147_52:                             ;   Parent Loop BB147_2 Depth=1
                                        ; =>  This Inner Loop Header: Depth=2
	v_sub_u32_e32 v10, v9, v13
	v_lshrrev_b32_e32 v10, 1, v10
	v_add_u32_e32 v12, v10, v13
	v_not_b32_e32 v11, v12
	v_lshl_add_u32 v10, v12, 3, v82
	v_lshl_add_u32 v14, v11, 3, v71
	ds_read_b64 v[10:11], v10
	ds_read_b64 v[14:15], v14
	v_add_u32_e32 v16, 1, v12
	s_waitcnt lgkmcnt(0)
	v_cmp_lt_i64_e64 s[14:15], v[14:15], v[10:11]
	v_cndmask_b32_e64 v9, v9, v12, s[14:15]
	v_cndmask_b32_e64 v13, v16, v13, s[14:15]
	v_cmp_ge_i32_e64 s[14:15], v13, v9
	s_or_b64 s[18:19], s[14:15], s[18:19]
	s_andn2_b64 exec, exec, s[18:19]
	s_cbranch_execnz .LBB147_52
; %bb.53:                               ;   in Loop: Header=BB147_2 Depth=1
	s_or_b64 exec, exec, s[18:19]
.LBB147_54:                             ;   in Loop: Header=BB147_2 Depth=1
	s_or_b64 exec, exec, s[16:17]
	v_sub_u32_e32 v87, v70, v13
	v_lshl_add_u32 v15, v13, 3, v82
	v_lshlrev_b32_e32 v17, 3, v87
	ds_read_b64 v[9:10], v15
	ds_read_b64 v[11:12], v17
	v_add_u32_e32 v88, v13, v27
	v_cmp_le_i32_e64 s[18:19], v36, v88
	v_cmp_gt_i32_e64 s[14:15], v37, v87
                                        ; implicit-def: $vgpr13_vgpr14
	s_waitcnt lgkmcnt(0)
	v_cmp_lt_i64_e64 s[16:17], v[11:12], v[9:10]
	s_or_b64 s[16:17], s[18:19], s[16:17]
	s_and_b64 s[14:15], s[14:15], s[16:17]
	s_xor_b64 s[16:17], s[14:15], -1
	s_and_saveexec_b64 s[18:19], s[16:17]
	s_xor_b64 s[16:17], exec, s[18:19]
; %bb.55:                               ;   in Loop: Header=BB147_2 Depth=1
	ds_read_b64 v[13:14], v15 offset:8
                                        ; implicit-def: $vgpr17
; %bb.56:                               ;   in Loop: Header=BB147_2 Depth=1
	s_or_saveexec_b64 s[16:17], s[16:17]
	v_mov_b32_e32 v16, v12
	v_mov_b32_e32 v15, v11
	s_xor_b64 exec, exec, s[16:17]
	s_cbranch_execz .LBB147_58
; %bb.57:                               ;   in Loop: Header=BB147_2 Depth=1
	ds_read_b64 v[15:16], v17 offset:8
	s_waitcnt lgkmcnt(1)
	v_mov_b32_e32 v14, v10
	v_mov_b32_e32 v13, v9
.LBB147_58:                             ;   in Loop: Header=BB147_2 Depth=1
	s_or_b64 exec, exec, s[16:17]
	v_add_u32_e32 v18, 1, v88
	v_add_u32_e32 v17, 1, v87
	v_cndmask_b32_e64 v90, v18, v88, s[14:15]
	s_waitcnt lgkmcnt(0)
	v_cmp_lt_i64_e64 s[18:19], v[15:16], v[13:14]
	v_cndmask_b32_e64 v89, v87, v17, s[14:15]
	v_cmp_ge_i32_e64 s[20:21], v90, v36
	v_cmp_lt_i32_e64 s[16:17], v89, v37
	s_or_b64 s[18:19], s[20:21], s[18:19]
	s_and_b64 s[16:17], s[16:17], s[18:19]
	s_xor_b64 s[18:19], s[16:17], -1
                                        ; implicit-def: $vgpr17_vgpr18
	s_and_saveexec_b64 s[20:21], s[18:19]
	s_xor_b64 s[18:19], exec, s[20:21]
; %bb.59:                               ;   in Loop: Header=BB147_2 Depth=1
	v_lshlrev_b32_e32 v17, 3, v90
	ds_read_b64 v[17:18], v17 offset:8
; %bb.60:                               ;   in Loop: Header=BB147_2 Depth=1
	s_or_saveexec_b64 s[18:19], s[18:19]
	v_mov_b32_e32 v20, v16
	v_mov_b32_e32 v19, v15
	s_xor_b64 exec, exec, s[18:19]
	s_cbranch_execz .LBB147_62
; %bb.61:                               ;   in Loop: Header=BB147_2 Depth=1
	s_waitcnt lgkmcnt(0)
	v_lshlrev_b32_e32 v17, 3, v89
	ds_read_b64 v[19:20], v17 offset:8
	v_mov_b32_e32 v18, v14
	v_mov_b32_e32 v17, v13
.LBB147_62:                             ;   in Loop: Header=BB147_2 Depth=1
	s_or_b64 exec, exec, s[18:19]
	v_add_u32_e32 v22, 1, v90
	v_add_u32_e32 v21, 1, v89
	v_cndmask_b32_e64 v92, v22, v90, s[16:17]
	s_waitcnt lgkmcnt(0)
	v_cmp_lt_i64_e64 s[20:21], v[19:20], v[17:18]
	v_cndmask_b32_e64 v91, v89, v21, s[16:17]
	v_cmp_ge_i32_e64 s[22:23], v92, v36
	v_cmp_lt_i32_e64 s[18:19], v91, v37
	s_or_b64 s[20:21], s[22:23], s[20:21]
	s_and_b64 s[18:19], s[18:19], s[20:21]
	s_xor_b64 s[20:21], s[18:19], -1
                                        ; implicit-def: $vgpr21_vgpr22
	s_and_saveexec_b64 s[22:23], s[20:21]
	s_xor_b64 s[20:21], exec, s[22:23]
; %bb.63:                               ;   in Loop: Header=BB147_2 Depth=1
	v_lshlrev_b32_e32 v21, 3, v92
	ds_read_b64 v[21:22], v21 offset:8
; %bb.64:                               ;   in Loop: Header=BB147_2 Depth=1
	s_or_saveexec_b64 s[20:21], s[20:21]
	v_mov_b32_e32 v24, v20
	v_mov_b32_e32 v23, v19
	s_xor_b64 exec, exec, s[20:21]
	s_cbranch_execz .LBB147_66
; %bb.65:                               ;   in Loop: Header=BB147_2 Depth=1
	s_waitcnt lgkmcnt(0)
	v_lshlrev_b32_e32 v21, 3, v91
	ds_read_b64 v[23:24], v21 offset:8
	v_mov_b32_e32 v22, v18
	v_mov_b32_e32 v21, v17
.LBB147_66:                             ;   in Loop: Header=BB147_2 Depth=1
	s_or_b64 exec, exec, s[20:21]
	v_cndmask_b32_e64 v18, v18, v20, s[18:19]
	v_add_u32_e32 v20, 1, v92
	v_cndmask_b32_e64 v17, v17, v19, s[18:19]
	v_add_u32_e32 v19, 1, v91
	v_cndmask_b32_e64 v20, v20, v92, s[18:19]
	v_cndmask_b32_e64 v14, v14, v16, s[16:17]
	;; [unrolled: 1-line block ×4, first 2 shown]
	s_waitcnt lgkmcnt(0)
	v_cmp_lt_i64_e64 s[16:17], v[23:24], v[21:22]
	v_cndmask_b32_e64 v19, v91, v19, s[18:19]
	v_cndmask_b32_e64 v91, v92, v91, s[18:19]
	v_cmp_ge_i32_e64 s[18:19], v20, v36
	v_cndmask_b32_e64 v10, v10, v12, s[14:15]
	v_cndmask_b32_e64 v9, v9, v11, s[14:15]
	;; [unrolled: 1-line block ×3, first 2 shown]
	v_cmp_lt_i32_e64 s[14:15], v19, v37
	s_or_b64 s[16:17], s[18:19], s[16:17]
	s_and_b64 s[14:15], s[14:15], s[16:17]
	v_cndmask_b32_e64 v19, v20, v19, s[14:15]
	s_barrier
	ds_write2_b64 v78, v[5:6], v[7:8] offset1:1
	ds_write2_b64 v78, v[1:2], v[3:4] offset0:2 offset1:3
	v_lshlrev_b32_e32 v1, 3, v16
	v_lshlrev_b32_e32 v2, 3, v15
	;; [unrolled: 1-line block ×4, first 2 shown]
	s_waitcnt lgkmcnt(0)
	s_barrier
	ds_read_b64 v[5:6], v1
	ds_read_b64 v[7:8], v2
	ds_read_b64 v[1:2], v3
	ds_read_b64 v[3:4], v4
	v_cndmask_b32_e64 v12, v22, v24, s[14:15]
	v_cndmask_b32_e64 v11, v21, v23, s[14:15]
	s_waitcnt lgkmcnt(0)
	s_barrier
	ds_write2_b64 v78, v[9:10], v[13:14] offset1:1
	ds_write2_b64 v78, v[17:18], v[11:12] offset0:2 offset1:3
	v_mov_b32_e32 v13, v54
	s_waitcnt lgkmcnt(0)
	s_barrier
	s_and_saveexec_b64 s[16:17], s[6:7]
	s_cbranch_execz .LBB147_70
; %bb.67:                               ;   in Loop: Header=BB147_2 Depth=1
	s_mov_b64 s[18:19], 0
	v_mov_b32_e32 v13, v54
	v_mov_b32_e32 v9, v55
.LBB147_68:                             ;   Parent Loop BB147_2 Depth=1
                                        ; =>  This Inner Loop Header: Depth=2
	v_sub_u32_e32 v10, v9, v13
	v_lshrrev_b32_e32 v10, 1, v10
	v_add_u32_e32 v12, v10, v13
	v_not_b32_e32 v11, v12
	v_lshl_add_u32 v10, v12, 3, v83
	v_lshl_add_u32 v14, v11, 3, v73
	ds_read_b64 v[10:11], v10
	ds_read_b64 v[14:15], v14
	v_add_u32_e32 v16, 1, v12
	s_waitcnt lgkmcnt(0)
	v_cmp_lt_i64_e64 s[14:15], v[14:15], v[10:11]
	v_cndmask_b32_e64 v9, v9, v12, s[14:15]
	v_cndmask_b32_e64 v13, v16, v13, s[14:15]
	v_cmp_ge_i32_e64 s[14:15], v13, v9
	s_or_b64 s[18:19], s[14:15], s[18:19]
	s_andn2_b64 exec, exec, s[18:19]
	s_cbranch_execnz .LBB147_68
; %bb.69:                               ;   in Loop: Header=BB147_2 Depth=1
	s_or_b64 exec, exec, s[18:19]
.LBB147_70:                             ;   in Loop: Header=BB147_2 Depth=1
	s_or_b64 exec, exec, s[16:17]
	v_sub_u32_e32 v87, v72, v13
	v_lshl_add_u32 v15, v13, 3, v83
	v_lshlrev_b32_e32 v17, 3, v87
	ds_read_b64 v[9:10], v15
	ds_read_b64 v[11:12], v17
	v_add_u32_e32 v88, v13, v28
	v_cmp_le_i32_e64 s[18:19], v38, v88
	v_cmp_gt_i32_e64 s[14:15], v39, v87
                                        ; implicit-def: $vgpr13_vgpr14
	s_waitcnt lgkmcnt(0)
	v_cmp_lt_i64_e64 s[16:17], v[11:12], v[9:10]
	s_or_b64 s[16:17], s[18:19], s[16:17]
	s_and_b64 s[14:15], s[14:15], s[16:17]
	s_xor_b64 s[16:17], s[14:15], -1
	s_and_saveexec_b64 s[18:19], s[16:17]
	s_xor_b64 s[16:17], exec, s[18:19]
; %bb.71:                               ;   in Loop: Header=BB147_2 Depth=1
	ds_read_b64 v[13:14], v15 offset:8
                                        ; implicit-def: $vgpr17
; %bb.72:                               ;   in Loop: Header=BB147_2 Depth=1
	s_or_saveexec_b64 s[16:17], s[16:17]
	v_mov_b32_e32 v16, v12
	v_mov_b32_e32 v15, v11
	s_xor_b64 exec, exec, s[16:17]
	s_cbranch_execz .LBB147_74
; %bb.73:                               ;   in Loop: Header=BB147_2 Depth=1
	ds_read_b64 v[15:16], v17 offset:8
	s_waitcnt lgkmcnt(1)
	v_mov_b32_e32 v14, v10
	v_mov_b32_e32 v13, v9
.LBB147_74:                             ;   in Loop: Header=BB147_2 Depth=1
	s_or_b64 exec, exec, s[16:17]
	v_add_u32_e32 v18, 1, v88
	v_add_u32_e32 v17, 1, v87
	v_cndmask_b32_e64 v90, v18, v88, s[14:15]
	s_waitcnt lgkmcnt(0)
	v_cmp_lt_i64_e64 s[18:19], v[15:16], v[13:14]
	v_cndmask_b32_e64 v89, v87, v17, s[14:15]
	v_cmp_ge_i32_e64 s[20:21], v90, v38
	v_cmp_lt_i32_e64 s[16:17], v89, v39
	s_or_b64 s[18:19], s[20:21], s[18:19]
	s_and_b64 s[16:17], s[16:17], s[18:19]
	s_xor_b64 s[18:19], s[16:17], -1
                                        ; implicit-def: $vgpr17_vgpr18
	s_and_saveexec_b64 s[20:21], s[18:19]
	s_xor_b64 s[18:19], exec, s[20:21]
; %bb.75:                               ;   in Loop: Header=BB147_2 Depth=1
	v_lshlrev_b32_e32 v17, 3, v90
	ds_read_b64 v[17:18], v17 offset:8
; %bb.76:                               ;   in Loop: Header=BB147_2 Depth=1
	s_or_saveexec_b64 s[18:19], s[18:19]
	v_mov_b32_e32 v20, v16
	v_mov_b32_e32 v19, v15
	s_xor_b64 exec, exec, s[18:19]
	s_cbranch_execz .LBB147_78
; %bb.77:                               ;   in Loop: Header=BB147_2 Depth=1
	s_waitcnt lgkmcnt(0)
	v_lshlrev_b32_e32 v17, 3, v89
	ds_read_b64 v[19:20], v17 offset:8
	v_mov_b32_e32 v18, v14
	v_mov_b32_e32 v17, v13
.LBB147_78:                             ;   in Loop: Header=BB147_2 Depth=1
	s_or_b64 exec, exec, s[18:19]
	v_add_u32_e32 v22, 1, v90
	v_add_u32_e32 v21, 1, v89
	v_cndmask_b32_e64 v92, v22, v90, s[16:17]
	s_waitcnt lgkmcnt(0)
	v_cmp_lt_i64_e64 s[20:21], v[19:20], v[17:18]
	v_cndmask_b32_e64 v91, v89, v21, s[16:17]
	v_cmp_ge_i32_e64 s[22:23], v92, v38
	v_cmp_lt_i32_e64 s[18:19], v91, v39
	s_or_b64 s[20:21], s[22:23], s[20:21]
	s_and_b64 s[18:19], s[18:19], s[20:21]
	s_xor_b64 s[20:21], s[18:19], -1
                                        ; implicit-def: $vgpr21_vgpr22
	s_and_saveexec_b64 s[22:23], s[20:21]
	s_xor_b64 s[20:21], exec, s[22:23]
; %bb.79:                               ;   in Loop: Header=BB147_2 Depth=1
	v_lshlrev_b32_e32 v21, 3, v92
	ds_read_b64 v[21:22], v21 offset:8
; %bb.80:                               ;   in Loop: Header=BB147_2 Depth=1
	s_or_saveexec_b64 s[20:21], s[20:21]
	v_mov_b32_e32 v24, v20
	v_mov_b32_e32 v23, v19
	s_xor_b64 exec, exec, s[20:21]
	s_cbranch_execz .LBB147_82
; %bb.81:                               ;   in Loop: Header=BB147_2 Depth=1
	s_waitcnt lgkmcnt(0)
	v_lshlrev_b32_e32 v21, 3, v91
	ds_read_b64 v[23:24], v21 offset:8
	v_mov_b32_e32 v22, v18
	v_mov_b32_e32 v21, v17
.LBB147_82:                             ;   in Loop: Header=BB147_2 Depth=1
	s_or_b64 exec, exec, s[20:21]
	v_cndmask_b32_e64 v18, v18, v20, s[18:19]
	v_add_u32_e32 v20, 1, v92
	v_cndmask_b32_e64 v17, v17, v19, s[18:19]
	v_add_u32_e32 v19, 1, v91
	v_cndmask_b32_e64 v20, v20, v92, s[18:19]
	v_cndmask_b32_e64 v14, v14, v16, s[16:17]
	;; [unrolled: 1-line block ×4, first 2 shown]
	s_waitcnt lgkmcnt(0)
	v_cmp_lt_i64_e64 s[16:17], v[23:24], v[21:22]
	v_cndmask_b32_e64 v19, v91, v19, s[18:19]
	v_cndmask_b32_e64 v91, v92, v91, s[18:19]
	v_cmp_ge_i32_e64 s[18:19], v20, v38
	v_cndmask_b32_e64 v10, v10, v12, s[14:15]
	v_cndmask_b32_e64 v9, v9, v11, s[14:15]
	;; [unrolled: 1-line block ×3, first 2 shown]
	v_cmp_lt_i32_e64 s[14:15], v19, v39
	s_or_b64 s[16:17], s[18:19], s[16:17]
	s_and_b64 s[14:15], s[14:15], s[16:17]
	v_cndmask_b32_e64 v19, v20, v19, s[14:15]
	s_barrier
	ds_write2_b64 v78, v[5:6], v[7:8] offset1:1
	ds_write2_b64 v78, v[1:2], v[3:4] offset0:2 offset1:3
	v_lshlrev_b32_e32 v1, 3, v16
	v_lshlrev_b32_e32 v2, 3, v15
	;; [unrolled: 1-line block ×4, first 2 shown]
	s_waitcnt lgkmcnt(0)
	s_barrier
	ds_read_b64 v[5:6], v1
	ds_read_b64 v[7:8], v2
	;; [unrolled: 1-line block ×4, first 2 shown]
	v_cndmask_b32_e64 v12, v22, v24, s[14:15]
	v_cndmask_b32_e64 v11, v21, v23, s[14:15]
	s_waitcnt lgkmcnt(0)
	s_barrier
	ds_write2_b64 v78, v[9:10], v[13:14] offset1:1
	ds_write2_b64 v78, v[17:18], v[11:12] offset0:2 offset1:3
	v_mov_b32_e32 v13, v56
	s_waitcnt lgkmcnt(0)
	s_barrier
	s_and_saveexec_b64 s[16:17], s[8:9]
	s_cbranch_execz .LBB147_86
; %bb.83:                               ;   in Loop: Header=BB147_2 Depth=1
	s_mov_b64 s[18:19], 0
	v_mov_b32_e32 v13, v56
	v_mov_b32_e32 v9, v57
.LBB147_84:                             ;   Parent Loop BB147_2 Depth=1
                                        ; =>  This Inner Loop Header: Depth=2
	v_sub_u32_e32 v10, v9, v13
	v_lshrrev_b32_e32 v10, 1, v10
	v_add_u32_e32 v12, v10, v13
	v_not_b32_e32 v11, v12
	v_lshl_add_u32 v10, v12, 3, v84
	v_lshl_add_u32 v14, v11, 3, v75
	ds_read_b64 v[10:11], v10
	ds_read_b64 v[14:15], v14
	v_add_u32_e32 v16, 1, v12
	s_waitcnt lgkmcnt(0)
	v_cmp_lt_i64_e64 s[14:15], v[14:15], v[10:11]
	v_cndmask_b32_e64 v9, v9, v12, s[14:15]
	v_cndmask_b32_e64 v13, v16, v13, s[14:15]
	v_cmp_ge_i32_e64 s[14:15], v13, v9
	s_or_b64 s[18:19], s[14:15], s[18:19]
	s_andn2_b64 exec, exec, s[18:19]
	s_cbranch_execnz .LBB147_84
; %bb.85:                               ;   in Loop: Header=BB147_2 Depth=1
	s_or_b64 exec, exec, s[18:19]
.LBB147_86:                             ;   in Loop: Header=BB147_2 Depth=1
	s_or_b64 exec, exec, s[16:17]
	v_sub_u32_e32 v87, v74, v13
	v_lshl_add_u32 v15, v13, 3, v84
	v_lshlrev_b32_e32 v17, 3, v87
	ds_read_b64 v[9:10], v15
	ds_read_b64 v[11:12], v17
	v_add_u32_e32 v88, v13, v29
	v_cmp_le_i32_e64 s[18:19], v40, v88
	v_cmp_gt_i32_e64 s[14:15], v41, v87
                                        ; implicit-def: $vgpr13_vgpr14
	s_waitcnt lgkmcnt(0)
	v_cmp_lt_i64_e64 s[16:17], v[11:12], v[9:10]
	s_or_b64 s[16:17], s[18:19], s[16:17]
	s_and_b64 s[14:15], s[14:15], s[16:17]
	s_xor_b64 s[16:17], s[14:15], -1
	s_and_saveexec_b64 s[18:19], s[16:17]
	s_xor_b64 s[16:17], exec, s[18:19]
; %bb.87:                               ;   in Loop: Header=BB147_2 Depth=1
	ds_read_b64 v[13:14], v15 offset:8
                                        ; implicit-def: $vgpr17
; %bb.88:                               ;   in Loop: Header=BB147_2 Depth=1
	s_or_saveexec_b64 s[16:17], s[16:17]
	v_mov_b32_e32 v16, v12
	v_mov_b32_e32 v15, v11
	s_xor_b64 exec, exec, s[16:17]
	s_cbranch_execz .LBB147_90
; %bb.89:                               ;   in Loop: Header=BB147_2 Depth=1
	ds_read_b64 v[15:16], v17 offset:8
	s_waitcnt lgkmcnt(1)
	v_mov_b32_e32 v14, v10
	v_mov_b32_e32 v13, v9
.LBB147_90:                             ;   in Loop: Header=BB147_2 Depth=1
	s_or_b64 exec, exec, s[16:17]
	v_add_u32_e32 v18, 1, v88
	v_add_u32_e32 v17, 1, v87
	v_cndmask_b32_e64 v90, v18, v88, s[14:15]
	s_waitcnt lgkmcnt(0)
	v_cmp_lt_i64_e64 s[18:19], v[15:16], v[13:14]
	v_cndmask_b32_e64 v89, v87, v17, s[14:15]
	v_cmp_ge_i32_e64 s[20:21], v90, v40
	v_cmp_lt_i32_e64 s[16:17], v89, v41
	s_or_b64 s[18:19], s[20:21], s[18:19]
	s_and_b64 s[16:17], s[16:17], s[18:19]
	s_xor_b64 s[18:19], s[16:17], -1
                                        ; implicit-def: $vgpr17_vgpr18
	s_and_saveexec_b64 s[20:21], s[18:19]
	s_xor_b64 s[18:19], exec, s[20:21]
; %bb.91:                               ;   in Loop: Header=BB147_2 Depth=1
	v_lshlrev_b32_e32 v17, 3, v90
	ds_read_b64 v[17:18], v17 offset:8
; %bb.92:                               ;   in Loop: Header=BB147_2 Depth=1
	s_or_saveexec_b64 s[18:19], s[18:19]
	v_mov_b32_e32 v20, v16
	v_mov_b32_e32 v19, v15
	s_xor_b64 exec, exec, s[18:19]
	s_cbranch_execz .LBB147_94
; %bb.93:                               ;   in Loop: Header=BB147_2 Depth=1
	s_waitcnt lgkmcnt(0)
	v_lshlrev_b32_e32 v17, 3, v89
	ds_read_b64 v[19:20], v17 offset:8
	v_mov_b32_e32 v18, v14
	v_mov_b32_e32 v17, v13
.LBB147_94:                             ;   in Loop: Header=BB147_2 Depth=1
	s_or_b64 exec, exec, s[18:19]
	v_add_u32_e32 v22, 1, v90
	v_add_u32_e32 v21, 1, v89
	v_cndmask_b32_e64 v92, v22, v90, s[16:17]
	s_waitcnt lgkmcnt(0)
	v_cmp_lt_i64_e64 s[20:21], v[19:20], v[17:18]
	v_cndmask_b32_e64 v91, v89, v21, s[16:17]
	v_cmp_ge_i32_e64 s[22:23], v92, v40
	v_cmp_lt_i32_e64 s[18:19], v91, v41
	s_or_b64 s[20:21], s[22:23], s[20:21]
	s_and_b64 s[18:19], s[18:19], s[20:21]
	s_xor_b64 s[20:21], s[18:19], -1
                                        ; implicit-def: $vgpr21_vgpr22
	s_and_saveexec_b64 s[22:23], s[20:21]
	s_xor_b64 s[20:21], exec, s[22:23]
; %bb.95:                               ;   in Loop: Header=BB147_2 Depth=1
	v_lshlrev_b32_e32 v21, 3, v92
	ds_read_b64 v[21:22], v21 offset:8
; %bb.96:                               ;   in Loop: Header=BB147_2 Depth=1
	s_or_saveexec_b64 s[20:21], s[20:21]
	v_mov_b32_e32 v24, v20
	v_mov_b32_e32 v23, v19
	s_xor_b64 exec, exec, s[20:21]
	s_cbranch_execz .LBB147_98
; %bb.97:                               ;   in Loop: Header=BB147_2 Depth=1
	s_waitcnt lgkmcnt(0)
	v_lshlrev_b32_e32 v21, 3, v91
	ds_read_b64 v[23:24], v21 offset:8
	v_mov_b32_e32 v22, v18
	v_mov_b32_e32 v21, v17
.LBB147_98:                             ;   in Loop: Header=BB147_2 Depth=1
	s_or_b64 exec, exec, s[20:21]
	v_cndmask_b32_e64 v18, v18, v20, s[18:19]
	v_add_u32_e32 v20, 1, v92
	v_cndmask_b32_e64 v17, v17, v19, s[18:19]
	v_add_u32_e32 v19, 1, v91
	v_cndmask_b32_e64 v20, v20, v92, s[18:19]
	v_cndmask_b32_e64 v14, v14, v16, s[16:17]
	;; [unrolled: 1-line block ×4, first 2 shown]
	s_waitcnt lgkmcnt(0)
	v_cmp_lt_i64_e64 s[16:17], v[23:24], v[21:22]
	v_cndmask_b32_e64 v19, v91, v19, s[18:19]
	v_cndmask_b32_e64 v91, v92, v91, s[18:19]
	v_cmp_ge_i32_e64 s[18:19], v20, v40
	v_cndmask_b32_e64 v10, v10, v12, s[14:15]
	v_cndmask_b32_e64 v9, v9, v11, s[14:15]
	;; [unrolled: 1-line block ×3, first 2 shown]
	v_cmp_lt_i32_e64 s[14:15], v19, v41
	s_or_b64 s[16:17], s[18:19], s[16:17]
	s_and_b64 s[14:15], s[14:15], s[16:17]
	v_cndmask_b32_e64 v19, v20, v19, s[14:15]
	s_barrier
	ds_write2_b64 v78, v[5:6], v[7:8] offset1:1
	ds_write2_b64 v78, v[1:2], v[3:4] offset0:2 offset1:3
	v_lshlrev_b32_e32 v1, 3, v16
	v_lshlrev_b32_e32 v2, 3, v15
	;; [unrolled: 1-line block ×4, first 2 shown]
	s_waitcnt lgkmcnt(0)
	s_barrier
	ds_read_b64 v[5:6], v1
	ds_read_b64 v[7:8], v2
	;; [unrolled: 1-line block ×4, first 2 shown]
	v_cndmask_b32_e64 v12, v22, v24, s[14:15]
	v_cndmask_b32_e64 v11, v21, v23, s[14:15]
	s_waitcnt lgkmcnt(0)
	s_barrier
	ds_write2_b64 v78, v[9:10], v[13:14] offset1:1
	ds_write2_b64 v78, v[17:18], v[11:12] offset0:2 offset1:3
	v_mov_b32_e32 v13, v58
	s_waitcnt lgkmcnt(0)
	s_barrier
	s_and_saveexec_b64 s[16:17], s[10:11]
	s_cbranch_execz .LBB147_102
; %bb.99:                               ;   in Loop: Header=BB147_2 Depth=1
	s_mov_b64 s[18:19], 0
	v_mov_b32_e32 v13, v58
	v_mov_b32_e32 v9, v59
.LBB147_100:                            ;   Parent Loop BB147_2 Depth=1
                                        ; =>  This Inner Loop Header: Depth=2
	v_sub_u32_e32 v10, v9, v13
	v_lshrrev_b32_e32 v10, 1, v10
	v_add_u32_e32 v12, v10, v13
	v_not_b32_e32 v11, v12
	v_lshl_add_u32 v10, v12, 3, v85
	v_lshl_add_u32 v14, v11, 3, v77
	ds_read_b64 v[10:11], v10
	ds_read_b64 v[14:15], v14
	v_add_u32_e32 v16, 1, v12
	s_waitcnt lgkmcnt(0)
	v_cmp_lt_i64_e64 s[14:15], v[14:15], v[10:11]
	v_cndmask_b32_e64 v9, v9, v12, s[14:15]
	v_cndmask_b32_e64 v13, v16, v13, s[14:15]
	v_cmp_ge_i32_e64 s[14:15], v13, v9
	s_or_b64 s[18:19], s[14:15], s[18:19]
	s_andn2_b64 exec, exec, s[18:19]
	s_cbranch_execnz .LBB147_100
; %bb.101:                              ;   in Loop: Header=BB147_2 Depth=1
	s_or_b64 exec, exec, s[18:19]
.LBB147_102:                            ;   in Loop: Header=BB147_2 Depth=1
	s_or_b64 exec, exec, s[16:17]
	v_sub_u32_e32 v87, v76, v13
	v_lshl_add_u32 v15, v13, 3, v85
	v_lshlrev_b32_e32 v17, 3, v87
	ds_read_b64 v[9:10], v15
	ds_read_b64 v[11:12], v17
	v_add_u32_e32 v88, v13, v30
	v_cmp_le_i32_e64 s[18:19], v42, v88
	v_cmp_gt_i32_e64 s[14:15], v43, v87
                                        ; implicit-def: $vgpr13_vgpr14
	s_waitcnt lgkmcnt(0)
	v_cmp_lt_i64_e64 s[16:17], v[11:12], v[9:10]
	s_or_b64 s[16:17], s[18:19], s[16:17]
	s_and_b64 s[14:15], s[14:15], s[16:17]
	s_xor_b64 s[16:17], s[14:15], -1
	s_and_saveexec_b64 s[18:19], s[16:17]
	s_xor_b64 s[16:17], exec, s[18:19]
; %bb.103:                              ;   in Loop: Header=BB147_2 Depth=1
	ds_read_b64 v[13:14], v15 offset:8
                                        ; implicit-def: $vgpr17
; %bb.104:                              ;   in Loop: Header=BB147_2 Depth=1
	s_or_saveexec_b64 s[16:17], s[16:17]
	v_mov_b32_e32 v16, v12
	v_mov_b32_e32 v15, v11
	s_xor_b64 exec, exec, s[16:17]
	s_cbranch_execz .LBB147_106
; %bb.105:                              ;   in Loop: Header=BB147_2 Depth=1
	ds_read_b64 v[15:16], v17 offset:8
	s_waitcnt lgkmcnt(1)
	v_mov_b32_e32 v14, v10
	v_mov_b32_e32 v13, v9
.LBB147_106:                            ;   in Loop: Header=BB147_2 Depth=1
	s_or_b64 exec, exec, s[16:17]
	v_add_u32_e32 v18, 1, v88
	v_add_u32_e32 v17, 1, v87
	v_cndmask_b32_e64 v90, v18, v88, s[14:15]
	s_waitcnt lgkmcnt(0)
	v_cmp_lt_i64_e64 s[18:19], v[15:16], v[13:14]
	v_cndmask_b32_e64 v89, v87, v17, s[14:15]
	v_cmp_ge_i32_e64 s[20:21], v90, v42
	v_cmp_lt_i32_e64 s[16:17], v89, v43
	s_or_b64 s[18:19], s[20:21], s[18:19]
	s_and_b64 s[16:17], s[16:17], s[18:19]
	s_xor_b64 s[18:19], s[16:17], -1
                                        ; implicit-def: $vgpr17_vgpr18
	s_and_saveexec_b64 s[20:21], s[18:19]
	s_xor_b64 s[18:19], exec, s[20:21]
; %bb.107:                              ;   in Loop: Header=BB147_2 Depth=1
	v_lshlrev_b32_e32 v17, 3, v90
	ds_read_b64 v[17:18], v17 offset:8
; %bb.108:                              ;   in Loop: Header=BB147_2 Depth=1
	s_or_saveexec_b64 s[18:19], s[18:19]
	v_mov_b32_e32 v20, v16
	v_mov_b32_e32 v19, v15
	s_xor_b64 exec, exec, s[18:19]
	s_cbranch_execz .LBB147_110
; %bb.109:                              ;   in Loop: Header=BB147_2 Depth=1
	s_waitcnt lgkmcnt(0)
	v_lshlrev_b32_e32 v17, 3, v89
	ds_read_b64 v[19:20], v17 offset:8
	v_mov_b32_e32 v18, v14
	v_mov_b32_e32 v17, v13
.LBB147_110:                            ;   in Loop: Header=BB147_2 Depth=1
	s_or_b64 exec, exec, s[18:19]
	v_add_u32_e32 v22, 1, v90
	v_add_u32_e32 v21, 1, v89
	v_cndmask_b32_e64 v92, v22, v90, s[16:17]
	s_waitcnt lgkmcnt(0)
	v_cmp_lt_i64_e64 s[20:21], v[19:20], v[17:18]
	v_cndmask_b32_e64 v91, v89, v21, s[16:17]
	v_cmp_ge_i32_e64 s[22:23], v92, v42
	v_cmp_lt_i32_e64 s[18:19], v91, v43
	s_or_b64 s[20:21], s[22:23], s[20:21]
	s_and_b64 s[18:19], s[18:19], s[20:21]
	s_xor_b64 s[20:21], s[18:19], -1
                                        ; implicit-def: $vgpr21_vgpr22
	s_and_saveexec_b64 s[22:23], s[20:21]
	s_xor_b64 s[20:21], exec, s[22:23]
; %bb.111:                              ;   in Loop: Header=BB147_2 Depth=1
	v_lshlrev_b32_e32 v21, 3, v92
	ds_read_b64 v[21:22], v21 offset:8
; %bb.112:                              ;   in Loop: Header=BB147_2 Depth=1
	s_or_saveexec_b64 s[20:21], s[20:21]
	v_mov_b32_e32 v24, v20
	v_mov_b32_e32 v23, v19
	s_xor_b64 exec, exec, s[20:21]
	s_cbranch_execz .LBB147_114
; %bb.113:                              ;   in Loop: Header=BB147_2 Depth=1
	s_waitcnt lgkmcnt(0)
	v_lshlrev_b32_e32 v21, 3, v91
	ds_read_b64 v[23:24], v21 offset:8
	v_mov_b32_e32 v22, v18
	v_mov_b32_e32 v21, v17
.LBB147_114:                            ;   in Loop: Header=BB147_2 Depth=1
	s_or_b64 exec, exec, s[20:21]
	v_cndmask_b32_e64 v18, v18, v20, s[18:19]
	v_add_u32_e32 v20, 1, v92
	v_cndmask_b32_e64 v17, v17, v19, s[18:19]
	v_add_u32_e32 v19, 1, v91
	v_cndmask_b32_e64 v20, v20, v92, s[18:19]
	v_cndmask_b32_e64 v14, v14, v16, s[16:17]
	;; [unrolled: 1-line block ×4, first 2 shown]
	s_waitcnt lgkmcnt(0)
	v_cmp_lt_i64_e64 s[16:17], v[23:24], v[21:22]
	v_cndmask_b32_e64 v19, v91, v19, s[18:19]
	v_cndmask_b32_e64 v91, v92, v91, s[18:19]
	v_cmp_ge_i32_e64 s[18:19], v20, v42
	v_cndmask_b32_e64 v10, v10, v12, s[14:15]
	v_cndmask_b32_e64 v9, v9, v11, s[14:15]
	;; [unrolled: 1-line block ×3, first 2 shown]
	v_cmp_lt_i32_e64 s[14:15], v19, v43
	s_or_b64 s[16:17], s[18:19], s[16:17]
	s_and_b64 s[14:15], s[14:15], s[16:17]
	v_cndmask_b32_e64 v19, v20, v19, s[14:15]
	s_barrier
	ds_write2_b64 v78, v[5:6], v[7:8] offset1:1
	ds_write2_b64 v78, v[1:2], v[3:4] offset0:2 offset1:3
	v_lshlrev_b32_e32 v1, 3, v16
	v_lshlrev_b32_e32 v2, 3, v15
	;; [unrolled: 1-line block ×4, first 2 shown]
	s_waitcnt lgkmcnt(0)
	s_barrier
	ds_read_b64 v[5:6], v1
	ds_read_b64 v[7:8], v2
	;; [unrolled: 1-line block ×4, first 2 shown]
	v_mov_b32_e32 v87, v61
	v_cndmask_b32_e64 v12, v22, v24, s[14:15]
	v_cndmask_b32_e64 v11, v21, v23, s[14:15]
	s_waitcnt lgkmcnt(0)
	s_barrier
	ds_write2_b64 v78, v[9:10], v[13:14] offset1:1
	ds_write2_b64 v78, v[17:18], v[11:12] offset0:2 offset1:3
	s_waitcnt lgkmcnt(0)
	s_barrier
	s_and_saveexec_b64 s[16:17], s[12:13]
	s_cbranch_execz .LBB147_118
; %bb.115:                              ;   in Loop: Header=BB147_2 Depth=1
	s_mov_b64 s[18:19], 0
	v_mov_b32_e32 v87, v61
	v_mov_b32_e32 v9, v62
.LBB147_116:                            ;   Parent Loop BB147_2 Depth=1
                                        ; =>  This Inner Loop Header: Depth=2
	v_sub_u32_e32 v10, v9, v87
	v_lshrrev_b32_e32 v10, 1, v10
	v_add_u32_e32 v14, v10, v87
	v_not_b32_e32 v11, v14
	v_lshlrev_b32_e32 v10, 3, v14
	v_lshl_add_u32 v12, v11, 3, v86
	ds_read_b64 v[10:11], v10
	ds_read_b64 v[12:13], v12
	v_add_u32_e32 v15, 1, v14
	s_waitcnt lgkmcnt(0)
	v_cmp_lt_i64_e64 s[14:15], v[12:13], v[10:11]
	v_cndmask_b32_e64 v9, v9, v14, s[14:15]
	v_cndmask_b32_e64 v87, v15, v87, s[14:15]
	v_cmp_ge_i32_e64 s[14:15], v87, v9
	s_or_b64 s[18:19], s[14:15], s[18:19]
	s_andn2_b64 exec, exec, s[18:19]
	s_cbranch_execnz .LBB147_116
; %bb.117:                              ;   in Loop: Header=BB147_2 Depth=1
	s_or_b64 exec, exec, s[18:19]
.LBB147_118:                            ;   in Loop: Header=BB147_2 Depth=1
	s_or_b64 exec, exec, s[16:17]
	v_sub_u32_e32 v88, v63, v87
	v_lshlrev_b32_e32 v16, 3, v87
	v_lshlrev_b32_e32 v15, 3, v88
	ds_read_b64 v[9:10], v16
	ds_read_b64 v[11:12], v15
	v_cmp_le_i32_e64 s[18:19], v60, v87
	v_cmp_gt_i32_e64 s[14:15], s33, v88
                                        ; implicit-def: $vgpr13_vgpr14
	s_waitcnt lgkmcnt(0)
	v_cmp_lt_i64_e64 s[16:17], v[11:12], v[9:10]
	s_or_b64 s[16:17], s[18:19], s[16:17]
	s_and_b64 s[14:15], s[14:15], s[16:17]
	s_xor_b64 s[16:17], s[14:15], -1
	s_and_saveexec_b64 s[18:19], s[16:17]
	s_xor_b64 s[16:17], exec, s[18:19]
; %bb.119:                              ;   in Loop: Header=BB147_2 Depth=1
	ds_read_b64 v[13:14], v16 offset:8
                                        ; implicit-def: $vgpr15
; %bb.120:                              ;   in Loop: Header=BB147_2 Depth=1
	s_or_saveexec_b64 s[16:17], s[16:17]
	v_mov_b32_e32 v20, v12
	v_mov_b32_e32 v19, v11
	s_xor_b64 exec, exec, s[16:17]
	s_cbranch_execz .LBB147_122
; %bb.121:                              ;   in Loop: Header=BB147_2 Depth=1
	ds_read_b64 v[19:20], v15 offset:8
	s_waitcnt lgkmcnt(1)
	v_mov_b32_e32 v14, v10
	v_mov_b32_e32 v13, v9
.LBB147_122:                            ;   in Loop: Header=BB147_2 Depth=1
	s_or_b64 exec, exec, s[16:17]
	v_add_u32_e32 v16, 1, v87
	v_add_u32_e32 v15, 1, v88
	v_cndmask_b32_e64 v90, v16, v87, s[14:15]
	s_waitcnt lgkmcnt(0)
	v_cmp_lt_i64_e64 s[18:19], v[19:20], v[13:14]
	v_cndmask_b32_e64 v89, v88, v15, s[14:15]
	v_cmp_ge_i32_e64 s[20:21], v90, v60
	v_cmp_gt_i32_e64 s[16:17], s33, v89
	s_or_b64 s[18:19], s[20:21], s[18:19]
	s_and_b64 s[16:17], s[16:17], s[18:19]
	s_xor_b64 s[18:19], s[16:17], -1
                                        ; implicit-def: $vgpr15_vgpr16
	s_and_saveexec_b64 s[20:21], s[18:19]
	s_xor_b64 s[18:19], exec, s[20:21]
; %bb.123:                              ;   in Loop: Header=BB147_2 Depth=1
	v_lshlrev_b32_e32 v15, 3, v90
	ds_read_b64 v[15:16], v15 offset:8
; %bb.124:                              ;   in Loop: Header=BB147_2 Depth=1
	s_or_saveexec_b64 s[18:19], s[18:19]
	v_mov_b32_e32 v17, v19
	v_mov_b32_e32 v18, v20
	s_xor_b64 exec, exec, s[18:19]
	s_cbranch_execz .LBB147_126
; %bb.125:                              ;   in Loop: Header=BB147_2 Depth=1
	s_waitcnt lgkmcnt(0)
	v_lshlrev_b32_e32 v15, 3, v89
	ds_read_b64 v[17:18], v15 offset:8
	v_mov_b32_e32 v16, v14
	v_mov_b32_e32 v15, v13
.LBB147_126:                            ;   in Loop: Header=BB147_2 Depth=1
	s_or_b64 exec, exec, s[18:19]
	v_add_u32_e32 v22, 1, v90
	v_add_u32_e32 v21, 1, v89
	v_cndmask_b32_e64 v94, v22, v90, s[16:17]
	s_waitcnt lgkmcnt(0)
	v_cmp_lt_i64_e64 s[20:21], v[17:18], v[15:16]
	v_cndmask_b32_e64 v91, v89, v21, s[16:17]
	v_cmp_ge_i32_e64 s[22:23], v94, v60
	v_cmp_gt_i32_e64 s[18:19], s33, v91
	s_or_b64 s[20:21], s[22:23], s[20:21]
	s_and_b64 s[18:19], s[18:19], s[20:21]
	s_xor_b64 s[20:21], s[18:19], -1
                                        ; implicit-def: $vgpr21_vgpr22
                                        ; implicit-def: $vgpr93
	s_and_saveexec_b64 s[22:23], s[20:21]
	s_xor_b64 s[20:21], exec, s[22:23]
; %bb.127:                              ;   in Loop: Header=BB147_2 Depth=1
	v_lshlrev_b32_e32 v21, 3, v94
	ds_read_b64 v[21:22], v21 offset:8
	v_add_u32_e32 v93, 1, v94
; %bb.128:                              ;   in Loop: Header=BB147_2 Depth=1
	s_or_saveexec_b64 s[20:21], s[20:21]
	v_mov_b32_e32 v24, v18
	v_mov_b32_e32 v92, v94
	;; [unrolled: 1-line block ×3, first 2 shown]
	s_xor_b64 exec, exec, s[20:21]
	s_cbranch_execz .LBB147_1
; %bb.129:                              ;   in Loop: Header=BB147_2 Depth=1
	s_waitcnt lgkmcnt(0)
	v_lshlrev_b32_e32 v22, 3, v91
	ds_read_b64 v[23:24], v22 offset:8
	v_add_u32_e32 v21, 1, v91
	v_mov_b32_e32 v92, v91
	v_mov_b32_e32 v91, v21
	;; [unrolled: 1-line block ×5, first 2 shown]
	s_branch .LBB147_1
.LBB147_130:
	s_waitcnt lgkmcnt(3)
	v_add_co_u32_e32 v7, vcc, v11, v7
	v_addc_co_u32_e32 v8, vcc, v12, v8, vcc
	s_waitcnt lgkmcnt(2)
	v_add_co_u32_e32 v5, vcc, v13, v5
	v_addc_co_u32_e32 v6, vcc, v14, v6, vcc
	;; [unrolled: 3-line block ×3, first 2 shown]
	s_waitcnt lgkmcnt(0)
	v_add_co_u32_e32 v1, vcc, v15, v1
	s_add_u32 s0, s38, s40
	v_addc_co_u32_e32 v2, vcc, v16, v2, vcc
	s_addc_u32 s1, s39, s41
	v_lshlrev_b32_e32 v0, 3, v0
	v_mov_b32_e32 v9, s1
	v_add_co_u32_e32 v10, vcc, s0, v0
	v_addc_co_u32_e32 v9, vcc, 0, v9, vcc
	global_store_dwordx2 v0, v[7:8], s[0:1]
	global_store_dwordx2 v0, v[5:6], s[0:1] offset:2048
	v_add_co_u32_e32 v5, vcc, 0x1000, v10
	v_addc_co_u32_e32 v6, vcc, 0, v9, vcc
	global_store_dwordx2 v[5:6], v[3:4], off
	global_store_dwordx2 v[5:6], v[1:2], off offset:2048
	s_endpgm
	.section	.rodata,"a",@progbits
	.p2align	6, 0x0
	.amdhsa_kernel _Z17sort_pairs_kernelIxLj256ELj4EN10test_utils4lessELj10EEvPKT_PS2_T2_
		.amdhsa_group_segment_fixed_size 8200
		.amdhsa_private_segment_fixed_size 0
		.amdhsa_kernarg_size 20
		.amdhsa_user_sgpr_count 6
		.amdhsa_user_sgpr_private_segment_buffer 1
		.amdhsa_user_sgpr_dispatch_ptr 0
		.amdhsa_user_sgpr_queue_ptr 0
		.amdhsa_user_sgpr_kernarg_segment_ptr 1
		.amdhsa_user_sgpr_dispatch_id 0
		.amdhsa_user_sgpr_flat_scratch_init 0
		.amdhsa_user_sgpr_private_segment_size 0
		.amdhsa_uses_dynamic_stack 0
		.amdhsa_system_sgpr_private_segment_wavefront_offset 0
		.amdhsa_system_sgpr_workgroup_id_x 1
		.amdhsa_system_sgpr_workgroup_id_y 0
		.amdhsa_system_sgpr_workgroup_id_z 0
		.amdhsa_system_sgpr_workgroup_info 0
		.amdhsa_system_vgpr_workitem_id 0
		.amdhsa_next_free_vgpr 95
		.amdhsa_next_free_sgpr 77
		.amdhsa_reserve_vcc 1
		.amdhsa_reserve_flat_scratch 0
		.amdhsa_float_round_mode_32 0
		.amdhsa_float_round_mode_16_64 0
		.amdhsa_float_denorm_mode_32 3
		.amdhsa_float_denorm_mode_16_64 3
		.amdhsa_dx10_clamp 1
		.amdhsa_ieee_mode 1
		.amdhsa_fp16_overflow 0
		.amdhsa_exception_fp_ieee_invalid_op 0
		.amdhsa_exception_fp_denorm_src 0
		.amdhsa_exception_fp_ieee_div_zero 0
		.amdhsa_exception_fp_ieee_overflow 0
		.amdhsa_exception_fp_ieee_underflow 0
		.amdhsa_exception_fp_ieee_inexact 0
		.amdhsa_exception_int_div_zero 0
	.end_amdhsa_kernel
	.section	.text._Z17sort_pairs_kernelIxLj256ELj4EN10test_utils4lessELj10EEvPKT_PS2_T2_,"axG",@progbits,_Z17sort_pairs_kernelIxLj256ELj4EN10test_utils4lessELj10EEvPKT_PS2_T2_,comdat
.Lfunc_end147:
	.size	_Z17sort_pairs_kernelIxLj256ELj4EN10test_utils4lessELj10EEvPKT_PS2_T2_, .Lfunc_end147-_Z17sort_pairs_kernelIxLj256ELj4EN10test_utils4lessELj10EEvPKT_PS2_T2_
                                        ; -- End function
	.set _Z17sort_pairs_kernelIxLj256ELj4EN10test_utils4lessELj10EEvPKT_PS2_T2_.num_vgpr, 95
	.set _Z17sort_pairs_kernelIxLj256ELj4EN10test_utils4lessELj10EEvPKT_PS2_T2_.num_agpr, 0
	.set _Z17sort_pairs_kernelIxLj256ELj4EN10test_utils4lessELj10EEvPKT_PS2_T2_.numbered_sgpr, 44
	.set _Z17sort_pairs_kernelIxLj256ELj4EN10test_utils4lessELj10EEvPKT_PS2_T2_.num_named_barrier, 0
	.set _Z17sort_pairs_kernelIxLj256ELj4EN10test_utils4lessELj10EEvPKT_PS2_T2_.private_seg_size, 0
	.set _Z17sort_pairs_kernelIxLj256ELj4EN10test_utils4lessELj10EEvPKT_PS2_T2_.uses_vcc, 1
	.set _Z17sort_pairs_kernelIxLj256ELj4EN10test_utils4lessELj10EEvPKT_PS2_T2_.uses_flat_scratch, 0
	.set _Z17sort_pairs_kernelIxLj256ELj4EN10test_utils4lessELj10EEvPKT_PS2_T2_.has_dyn_sized_stack, 0
	.set _Z17sort_pairs_kernelIxLj256ELj4EN10test_utils4lessELj10EEvPKT_PS2_T2_.has_recursion, 0
	.set _Z17sort_pairs_kernelIxLj256ELj4EN10test_utils4lessELj10EEvPKT_PS2_T2_.has_indirect_call, 0
	.section	.AMDGPU.csdata,"",@progbits
; Kernel info:
; codeLenInByte = 7720
; TotalNumSgprs: 48
; NumVgprs: 95
; ScratchSize: 0
; MemoryBound: 0
; FloatMode: 240
; IeeeMode: 1
; LDSByteSize: 8200 bytes/workgroup (compile time only)
; SGPRBlocks: 10
; VGPRBlocks: 23
; NumSGPRsForWavesPerEU: 81
; NumVGPRsForWavesPerEU: 95
; Occupancy: 2
; WaveLimiterHint : 1
; COMPUTE_PGM_RSRC2:SCRATCH_EN: 0
; COMPUTE_PGM_RSRC2:USER_SGPR: 6
; COMPUTE_PGM_RSRC2:TRAP_HANDLER: 0
; COMPUTE_PGM_RSRC2:TGID_X_EN: 1
; COMPUTE_PGM_RSRC2:TGID_Y_EN: 0
; COMPUTE_PGM_RSRC2:TGID_Z_EN: 0
; COMPUTE_PGM_RSRC2:TIDIG_COMP_CNT: 0
	.section	.text._Z16sort_keys_kernelIxLj256ELj8EN10test_utils4lessELj10EEvPKT_PS2_T2_,"axG",@progbits,_Z16sort_keys_kernelIxLj256ELj8EN10test_utils4lessELj10EEvPKT_PS2_T2_,comdat
	.protected	_Z16sort_keys_kernelIxLj256ELj8EN10test_utils4lessELj10EEvPKT_PS2_T2_ ; -- Begin function _Z16sort_keys_kernelIxLj256ELj8EN10test_utils4lessELj10EEvPKT_PS2_T2_
	.globl	_Z16sort_keys_kernelIxLj256ELj8EN10test_utils4lessELj10EEvPKT_PS2_T2_
	.p2align	8
	.type	_Z16sort_keys_kernelIxLj256ELj8EN10test_utils4lessELj10EEvPKT_PS2_T2_,@function
_Z16sort_keys_kernelIxLj256ELj8EN10test_utils4lessELj10EEvPKT_PS2_T2_: ; @_Z16sort_keys_kernelIxLj256ELj8EN10test_utils4lessELj10EEvPKT_PS2_T2_
; %bb.0:
	s_load_dwordx4 s[36:39], s[4:5], 0x0
	s_lshl_b32 s34, s6, 11
	s_mov_b32 s35, 0
	s_lshl_b64 s[40:41], s[34:35], 3
	v_lshlrev_b32_e32 v23, 3, v0
	s_waitcnt lgkmcnt(0)
	s_add_u32 s0, s36, s40
	s_addc_u32 s1, s37, s41
	v_mov_b32_e32 v1, s1
	v_add_co_u32_e32 v2, vcc, s0, v23
	v_addc_co_u32_e32 v1, vcc, 0, v1, vcc
	s_movk_i32 s2, 0x1000
	v_add_co_u32_e32 v15, vcc, s2, v2
	v_addc_co_u32_e32 v16, vcc, 0, v1, vcc
	s_movk_i32 s2, 0x2000
	;; [unrolled: 3-line block ×3, first 2 shown]
	v_add_co_u32_e32 v21, vcc, s2, v2
	v_addc_co_u32_e32 v22, vcc, 0, v1, vcc
	global_load_dwordx2 v[13:14], v23, s[0:1]
	global_load_dwordx2 v[17:18], v23, s[0:1] offset:2048
	global_load_dwordx2 v[11:12], v[15:16], off offset:2048
	global_load_dwordx2 v[1:2], v[21:22], off
	global_load_dwordx2 v[9:10], v[19:20], off offset:-4096
	global_load_dwordx2 v[3:4], v[19:20], off
	global_load_dwordx2 v[7:8], v[19:20], off offset:2048
	global_load_dwordx2 v[5:6], v[21:22], off offset:2048
	v_and_b32_e32 v38, 0x7f0, v23
	v_or_b32_e32 v39, 8, v38
	v_add_u32_e32 v40, 16, v38
	v_and_b32_e32 v15, 8, v23
	v_sub_u32_e32 v19, v40, v39
	v_and_b32_e32 v45, 0x7e0, v23
	v_sub_u32_e32 v16, v39, v38
	v_sub_u32_e32 v20, v15, v19
	v_cmp_ge_i32_e32 vcc, v15, v19
	v_or_b32_e32 v46, 16, v45
	v_add_u32_e32 v47, 32, v45
	v_cndmask_b32_e32 v42, 0, v20, vcc
	v_min_i32_e32 v43, v15, v16
	v_and_b32_e32 v16, 24, v23
	v_sub_u32_e32 v20, v47, v46
	v_and_b32_e32 v52, 0x7c0, v23
	v_sub_u32_e32 v19, v46, v45
	v_sub_u32_e32 v21, v16, v20
	v_cmp_ge_i32_e64 s[0:1], v16, v20
	v_or_b32_e32 v53, 32, v52
	v_add_u32_e32 v54, 64, v52
	v_cndmask_b32_e64 v49, 0, v21, s[0:1]
	v_min_i32_e32 v50, v16, v19
	v_and_b32_e32 v19, 56, v23
	v_sub_u32_e32 v21, v54, v53
	v_and_b32_e32 v59, 0x780, v23
	v_sub_u32_e32 v20, v53, v52
	v_sub_u32_e32 v22, v19, v21
	v_cmp_ge_i32_e64 s[2:3], v19, v21
	v_or_b32_e32 v60, 64, v59
	v_add_u32_e32 v61, 0x80, v59
	v_cndmask_b32_e64 v56, 0, v22, s[2:3]
	v_min_i32_e32 v57, v19, v20
	v_and_b32_e32 v20, 0x78, v23
	v_sub_u32_e32 v22, v61, v60
	v_and_b32_e32 v66, 0x700, v23
	v_sub_u32_e32 v21, v60, v59
	v_sub_u32_e32 v24, v20, v22
	v_cmp_ge_i32_e64 s[4:5], v20, v22
	v_or_b32_e32 v67, 0x80, v66
	v_add_u32_e32 v68, 0x100, v66
	v_add_u32_e32 v44, v39, v15
	v_cndmask_b32_e64 v63, 0, v24, s[4:5]
	v_min_i32_e32 v64, v20, v21
	v_and_b32_e32 v21, 0xf8, v23
	v_sub_u32_e32 v24, v68, v67
	v_and_b32_e32 v73, 0x600, v23
	v_lshlrev_b32_e32 v15, 3, v15
	v_sub_u32_e32 v22, v67, v66
	v_sub_u32_e32 v25, v21, v24
	v_cmp_ge_i32_e64 s[6:7], v21, v24
	v_or_b32_e32 v74, 0x100, v73
	v_add_u32_e32 v75, 0x200, v73
	v_lshl_add_u32 v91, v39, 3, v15
	v_lshlrev_b32_e32 v15, 3, v16
	v_cndmask_b32_e64 v70, 0, v25, s[6:7]
	v_min_i32_e32 v71, v21, v22
	v_and_b32_e32 v22, 0x1f8, v23
	v_sub_u32_e32 v25, v75, v74
	v_and_b32_e32 v81, 0x400, v23
	v_lshl_add_u32 v92, v46, 3, v15
	v_lshlrev_b32_e32 v15, 3, v19
	v_sub_u32_e32 v24, v74, v73
	v_sub_u32_e32 v26, v22, v25
	v_cmp_ge_i32_e64 s[8:9], v22, v25
	v_or_b32_e32 v82, 0x200, v81
	v_add_u32_e32 v83, 0x400, v81
	v_lshl_add_u32 v93, v53, 3, v15
	v_lshlrev_b32_e32 v15, 3, v20
	v_cndmask_b32_e64 v77, 0, v26, s[8:9]
	v_min_i32_e32 v78, v22, v24
	v_and_b32_e32 v24, 0x3f8, v23
	v_sub_u32_e32 v26, v83, v82
	v_lshl_add_u32 v94, v60, 3, v15
	v_lshlrev_b32_e32 v15, 3, v21
	v_mov_b32_e32 v80, 0x400
	v_sub_u32_e32 v25, v82, v81
	v_sub_u32_e32 v27, v24, v26
	v_cmp_ge_i32_e64 s[10:11], v24, v26
	v_lshl_add_u32 v95, v67, 3, v15
	v_lshlrev_b32_e32 v15, 3, v22
	v_lshlrev_b32_e32 v37, 6, v0
	v_cndmask_b32_e64 v85, 0, v27, s[10:11]
	v_min_i32_e32 v86, v24, v25
	v_sub_u32_e64 v88, v23, v80 clamp
	v_min_i32_e32 v89, 0x400, v23
	v_lshl_add_u32 v96, v74, 3, v15
	v_lshlrev_b32_e32 v15, 3, v24
	v_lshlrev_b32_e32 v41, 3, v38
	v_cmp_lt_i32_e32 vcc, v42, v43
	v_lshlrev_b32_e32 v48, 3, v45
	v_cmp_lt_i32_e64 s[0:1], v49, v50
	v_add_u32_e32 v51, v46, v16
	v_lshlrev_b32_e32 v55, 3, v52
	v_cmp_lt_i32_e64 s[2:3], v56, v57
	v_add_u32_e32 v58, v53, v19
	;; [unrolled: 3-line block ×6, first 2 shown]
	v_cmp_lt_i32_e64 s[12:13], v88, v89
	v_add_u32_e32 v90, 0x400, v23
	v_lshl_add_u32 v97, v82, 3, v15
	v_add_u32_e32 v98, 0x2000, v37
	s_movk_i32 s33, 0x800
	s_branch .LBB148_2
.LBB148_1:                              ;   in Loop: Header=BB148_2 Depth=1
	s_or_b64 exec, exec, s[28:29]
	v_cndmask_b32_e64 v18, v6, v8, s[16:17]
	v_cndmask_b32_e64 v17, v5, v7, s[16:17]
	s_waitcnt lgkmcnt(0)
	v_cmp_lt_i64_e64 s[16:17], v[35:36], v[33:34]
	v_cndmask_b32_e64 v10, v10, v12, s[18:19]
	v_cndmask_b32_e64 v9, v9, v11, s[18:19]
	v_cmp_ge_i32_e64 s[18:19], v100, v80
	v_cndmask_b32_e64 v14, v2, v4, s[14:15]
	v_cndmask_b32_e64 v13, v1, v3, s[14:15]
	v_cmp_gt_i32_e64 s[14:15], s33, v99
	s_or_b64 s[16:17], s[18:19], s[16:17]
	s_and_b64 s[14:15], s[14:15], s[16:17]
	s_add_i32 s35, s35, 1
	v_cndmask_b32_e64 v12, v16, v20, s[20:21]
	v_cndmask_b32_e64 v11, v15, v19, s[20:21]
	;; [unrolled: 1-line block ×9, first 2 shown]
	s_cmp_eq_u32 s35, 10
	v_cndmask_b32_e64 v5, v33, v35, s[14:15]
	s_cbranch_scc1 .LBB148_258
.LBB148_2:                              ; =>This Loop Header: Depth=1
                                        ;     Child Loop BB148_4 Depth 2
                                        ;     Child Loop BB148_36 Depth 2
	;; [unrolled: 1-line block ×8, first 2 shown]
	s_waitcnt vmcnt(6)
	v_cmp_lt_i64_e64 s[14:15], v[17:18], v[13:14]
	v_cndmask_b32_e64 v16, v14, v18, s[14:15]
	v_cndmask_b32_e64 v15, v13, v17, s[14:15]
	;; [unrolled: 1-line block ×4, first 2 shown]
	v_cmp_gt_i64_e64 s[14:15], v[17:18], v[13:14]
	s_waitcnt vmcnt(0)
	s_barrier
	v_cndmask_b32_e64 v14, v14, v18, s[14:15]
	v_cndmask_b32_e64 v13, v13, v17, s[14:15]
	v_cmp_lt_i64_e64 s[14:15], v[11:12], v[9:10]
	v_cndmask_b32_e64 v18, v10, v12, s[14:15]
	v_cndmask_b32_e64 v17, v9, v11, s[14:15]
	;; [unrolled: 1-line block ×4, first 2 shown]
	v_cmp_gt_i64_e64 s[14:15], v[11:12], v[9:10]
	v_cmp_gt_i64_e64 s[16:17], v[17:18], v[13:14]
	v_cndmask_b32_e64 v10, v10, v12, s[14:15]
	v_cndmask_b32_e64 v9, v9, v11, s[14:15]
	v_cmp_lt_i64_e64 s[14:15], v[7:8], v[3:4]
	v_cndmask_b32_e64 v12, v4, v8, s[14:15]
	v_cndmask_b32_e64 v11, v3, v7, s[14:15]
	v_cndmask_b32_e64 v23, v7, v3, s[14:15]
	v_cndmask_b32_e64 v24, v8, v4, s[14:15]
	v_cmp_gt_i64_e64 s[14:15], v[7:8], v[3:4]
	v_cndmask_b32_e64 v4, v4, v8, s[14:15]
	v_cndmask_b32_e64 v3, v3, v7, s[14:15]
	v_cmp_lt_i64_e64 s[14:15], v[5:6], v[1:2]
	v_cndmask_b32_e64 v8, v2, v6, s[14:15]
	v_cndmask_b32_e64 v7, v1, v5, s[14:15]
	v_cndmask_b32_e64 v25, v5, v1, s[14:15]
	v_cndmask_b32_e64 v26, v6, v2, s[14:15]
	;; [unrolled: 8-line block ×3, first 2 shown]
	v_cndmask_b32_e64 v19, v19, v17, s[14:15]
	v_cndmask_b32_e64 v5, v13, v17, s[16:17]
	v_cndmask_b32_e64 v29, v13, v17, s[14:15]
	v_cndmask_b32_e64 v30, v14, v18, s[14:15]
	v_cmp_lt_i64_e64 s[14:15], v[11:12], v[9:10]
	v_cmp_gt_i64_e64 s[16:17], v[11:12], v[9:10]
	v_cndmask_b32_e64 v31, v12, v10, s[14:15]
	v_cndmask_b32_e64 v32, v11, v9, s[14:15]
	v_cndmask_b32_e64 v22, v22, v12, s[14:15]
	v_cndmask_b32_e64 v21, v21, v11, s[14:15]
	v_cndmask_b32_e64 v14, v10, v12, s[16:17]
	v_cndmask_b32_e64 v13, v9, v11, s[16:17]
	v_cndmask_b32_e64 v10, v10, v12, s[14:15]
	v_cndmask_b32_e64 v9, v9, v11, s[14:15]
	v_cmp_lt_i64_e64 s[14:15], v[7:8], v[3:4]
	v_cmp_gt_i64_e64 s[16:17], v[7:8], v[3:4]
	v_cndmask_b32_e64 v33, v8, v4, s[14:15]
	v_cndmask_b32_e64 v34, v7, v3, s[14:15]
	v_cndmask_b32_e64 v24, v24, v8, s[14:15]
	v_cndmask_b32_e64 v23, v23, v7, s[14:15]
	;; [unrolled: 10-line block ×3, first 2 shown]
	v_cndmask_b32_e64 v16, v30, v16, s[14:15]
	v_cndmask_b32_e64 v15, v29, v15, s[14:15]
	v_cmp_lt_i64_e64 s[14:15], v[9:10], v[5:6]
	v_cndmask_b32_e64 v18, v6, v10, s[16:17]
	v_cndmask_b32_e64 v21, v21, v5, s[14:15]
	;; [unrolled: 1-line block ×8, first 2 shown]
	v_cmp_lt_i64_e64 s[14:15], v[7:8], v[13:14]
	v_cmp_gt_i64_e64 s[16:17], v[7:8], v[13:14]
	v_cndmask_b32_e64 v23, v23, v13, s[14:15]
	v_cndmask_b32_e64 v24, v24, v14, s[14:15]
	;; [unrolled: 1-line block ×8, first 2 shown]
	v_cmp_gt_i64_e64 s[14:15], v[3:4], v[1:2]
	v_cmp_gt_i64_e64 s[16:17], v[5:6], v[15:16]
	v_cndmask_b32_e64 v26, v26, v36, s[14:15]
	v_cndmask_b32_e64 v25, v25, v35, s[14:15]
	;; [unrolled: 1-line block ×8, first 2 shown]
	v_cmp_lt_i64_e64 s[14:15], v[5:6], v[15:16]
	v_cndmask_b32_e64 v14, v16, v6, s[16:17]
	v_cndmask_b32_e64 v27, v27, v16, s[14:15]
	v_cndmask_b32_e64 v28, v28, v15, s[14:15]
	v_cndmask_b32_e64 v20, v20, v6, s[14:15]
	v_cndmask_b32_e64 v19, v19, v5, s[14:15]
	v_cndmask_b32_e64 v13, v15, v5, s[16:17]
	v_cndmask_b32_e64 v6, v16, v6, s[14:15]
	v_cndmask_b32_e64 v5, v15, v5, s[14:15]
	v_cmp_lt_i64_e64 s[14:15], v[7:8], v[17:18]
	v_cmp_gt_i64_e64 s[16:17], v[7:8], v[17:18]
	v_cndmask_b32_e64 v30, v30, v18, s[14:15]
	v_cndmask_b32_e64 v29, v29, v17, s[14:15]
	v_cndmask_b32_e64 v22, v22, v8, s[14:15]
	v_cndmask_b32_e64 v21, v21, v7, s[14:15]
	v_cndmask_b32_e64 v16, v18, v8, s[16:17]
	v_cndmask_b32_e64 v15, v17, v7, s[16:17]
	v_cndmask_b32_e64 v8, v18, v8, s[14:15]
	v_cndmask_b32_e64 v7, v17, v7, s[14:15]
	v_cmp_lt_i64_e64 s[14:15], v[1:2], v[9:10]
	v_cmp_gt_i64_e64 s[16:17], v[1:2], v[9:10]
	;; [unrolled: 10-line block ×3, first 2 shown]
	v_cndmask_b32_e64 v19, v19, v11, s[14:15]
	v_cndmask_b32_e64 v20, v20, v12, s[14:15]
	;; [unrolled: 1-line block ×4, first 2 shown]
	v_cmp_gt_i64_e64 s[14:15], v[5:6], v[11:12]
	v_cndmask_b32_e64 v6, v12, v6, s[14:15]
	v_cndmask_b32_e64 v5, v11, v5, s[14:15]
	v_cmp_lt_i64_e64 s[14:15], v[7:8], v[13:14]
	v_cndmask_b32_e64 v12, v14, v8, s[16:17]
	v_cndmask_b32_e64 v21, v21, v13, s[14:15]
	v_cndmask_b32_e64 v22, v22, v14, s[14:15]
	v_cndmask_b32_e64 v28, v28, v7, s[14:15]
	v_cndmask_b32_e64 v27, v27, v8, s[14:15]
	v_cndmask_b32_e64 v11, v13, v7, s[16:17]
	v_cndmask_b32_e64 v8, v14, v8, s[14:15]
	v_cndmask_b32_e64 v7, v13, v7, s[14:15]
	v_cmp_lt_i64_e64 s[14:15], v[1:2], v[15:16]
	v_cmp_gt_i64_e64 s[16:17], v[1:2], v[15:16]
	v_cndmask_b32_e64 v23, v23, v15, s[14:15]
	v_cndmask_b32_e64 v24, v24, v16, s[14:15]
	v_cndmask_b32_e64 v29, v29, v1, s[14:15]
	v_cndmask_b32_e64 v30, v30, v2, s[14:15]
	v_cndmask_b32_e64 v14, v16, v2, s[16:17]
	v_cndmask_b32_e64 v13, v15, v1, s[16:17]
	v_cndmask_b32_e64 v2, v16, v2, s[14:15]
	v_cndmask_b32_e64 v1, v15, v1, s[14:15]
	v_cmp_lt_i64_e64 s[14:15], v[3:4], v[17:18]
	v_cmp_gt_i64_e64 s[16:17], v[3:4], v[17:18]
	;; [unrolled: 10-line block ×6, first 2 shown]
	v_cndmask_b32_e64 v8, v10, v34, s[14:15]
	v_cndmask_b32_e64 v7, v9, v33, s[14:15]
	v_cndmask_b32_e64 v19, v19, v9, s[14:15]
	v_cndmask_b32_e64 v20, v20, v10, s[14:15]
	v_cndmask_b32_e64 v10, v34, v10, s[14:15]
	v_cndmask_b32_e64 v9, v33, v9, s[14:15]
	v_cmp_lt_i64_e64 s[14:15], v[1:2], v[17:18]
	v_cndmask_b32_e64 v12, v18, v2, s[16:17]
	v_cndmask_b32_e64 v21, v21, v17, s[14:15]
	;; [unrolled: 1-line block ×8, first 2 shown]
	v_cmp_lt_i64_e64 s[14:15], v[3:4], v[5:6]
	v_cmp_gt_i64_e64 s[16:17], v[3:4], v[5:6]
	v_cndmask_b32_e64 v23, v23, v5, s[14:15]
	v_cndmask_b32_e64 v24, v24, v6, s[14:15]
	;; [unrolled: 1-line block ×8, first 2 shown]
	v_cmp_gt_i64_e64 s[14:15], v[13:14], v[15:16]
	v_cndmask_b32_e64 v6, v26, v36, s[14:15]
	v_cndmask_b32_e64 v5, v25, v35, s[14:15]
	;; [unrolled: 1-line block ×6, first 2 shown]
	v_cmp_lt_i64_e64 s[14:15], v[1:2], v[9:10]
	v_cndmask_b32_e64 v10, v27, v10, s[14:15]
	v_cndmask_b32_e64 v9, v28, v9, s[14:15]
	v_cndmask_b32_e64 v2, v20, v2, s[14:15]
	v_cndmask_b32_e64 v1, v19, v1, s[14:15]
	v_cmp_lt_i64_e64 s[14:15], v[3:4], v[11:12]
	v_cndmask_b32_e64 v12, v30, v12, s[14:15]
	v_cndmask_b32_e64 v11, v29, v11, s[14:15]
	v_cndmask_b32_e64 v4, v22, v4, s[14:15]
	v_cndmask_b32_e64 v3, v21, v3, s[14:15]
	;; [unrolled: 5-line block ×3, first 2 shown]
	ds_write2_b64 v37, v[7:8], v[1:2] offset1:1
	ds_write2_b64 v37, v[9:10], v[3:4] offset0:2 offset1:3
	ds_write2_b64 v37, v[11:12], v[13:14] offset0:4 offset1:5
	;; [unrolled: 1-line block ×3, first 2 shown]
	v_mov_b32_e32 v5, v42
	s_waitcnt lgkmcnt(0)
	s_barrier
	s_and_saveexec_b64 s[16:17], vcc
	s_cbranch_execz .LBB148_6
; %bb.3:                                ;   in Loop: Header=BB148_2 Depth=1
	s_mov_b64 s[18:19], 0
	v_mov_b32_e32 v5, v42
	v_mov_b32_e32 v1, v43
.LBB148_4:                              ;   Parent Loop BB148_2 Depth=1
                                        ; =>  This Inner Loop Header: Depth=2
	v_sub_u32_e32 v2, v1, v5
	v_lshrrev_b32_e32 v2, 1, v2
	v_add_u32_e32 v4, v2, v5
	v_not_b32_e32 v3, v4
	v_lshl_add_u32 v2, v4, 3, v41
	v_lshl_add_u32 v6, v3, 3, v91
	ds_read_b64 v[2:3], v2
	ds_read_b64 v[6:7], v6
	v_add_u32_e32 v8, 1, v4
	s_waitcnt lgkmcnt(0)
	v_cmp_lt_i64_e64 s[14:15], v[6:7], v[2:3]
	v_cndmask_b32_e64 v1, v1, v4, s[14:15]
	v_cndmask_b32_e64 v5, v8, v5, s[14:15]
	v_cmp_ge_i32_e64 s[14:15], v5, v1
	s_or_b64 s[18:19], s[14:15], s[18:19]
	s_andn2_b64 exec, exec, s[18:19]
	s_cbranch_execnz .LBB148_4
; %bb.5:                                ;   in Loop: Header=BB148_2 Depth=1
	s_or_b64 exec, exec, s[18:19]
.LBB148_6:                              ;   in Loop: Header=BB148_2 Depth=1
	s_or_b64 exec, exec, s[16:17]
	v_sub_u32_e32 v9, v44, v5
	v_lshl_add_u32 v7, v5, 3, v41
	v_lshlrev_b32_e32 v11, 3, v9
	ds_read_b64 v[1:2], v7
	ds_read_b64 v[3:4], v11
	v_add_u32_e32 v10, v5, v38
	v_cmp_le_i32_e64 s[18:19], v39, v10
	v_cmp_gt_i32_e64 s[14:15], v40, v9
                                        ; implicit-def: $vgpr5_vgpr6
	s_waitcnt lgkmcnt(0)
	v_cmp_lt_i64_e64 s[16:17], v[3:4], v[1:2]
	s_or_b64 s[16:17], s[18:19], s[16:17]
	s_and_b64 s[14:15], s[14:15], s[16:17]
	s_xor_b64 s[16:17], s[14:15], -1
	s_and_saveexec_b64 s[18:19], s[16:17]
	s_xor_b64 s[16:17], exec, s[18:19]
; %bb.7:                                ;   in Loop: Header=BB148_2 Depth=1
	ds_read_b64 v[5:6], v7 offset:8
                                        ; implicit-def: $vgpr11
; %bb.8:                                ;   in Loop: Header=BB148_2 Depth=1
	s_or_saveexec_b64 s[16:17], s[16:17]
	v_mov_b32_e32 v8, v4
	v_mov_b32_e32 v7, v3
	s_xor_b64 exec, exec, s[16:17]
	s_cbranch_execz .LBB148_10
; %bb.9:                                ;   in Loop: Header=BB148_2 Depth=1
	ds_read_b64 v[7:8], v11 offset:8
	s_waitcnt lgkmcnt(1)
	v_mov_b32_e32 v6, v2
	v_mov_b32_e32 v5, v1
.LBB148_10:                             ;   in Loop: Header=BB148_2 Depth=1
	s_or_b64 exec, exec, s[16:17]
	v_add_u32_e32 v12, 1, v10
	v_add_u32_e32 v11, 1, v9
	v_cndmask_b32_e64 v14, v12, v10, s[14:15]
	s_waitcnt lgkmcnt(0)
	v_cmp_lt_i64_e64 s[18:19], v[7:8], v[5:6]
	v_cndmask_b32_e64 v13, v9, v11, s[14:15]
	v_cmp_ge_i32_e64 s[20:21], v14, v39
	v_cmp_lt_i32_e64 s[16:17], v13, v40
	s_or_b64 s[18:19], s[20:21], s[18:19]
	s_and_b64 s[16:17], s[16:17], s[18:19]
	s_xor_b64 s[18:19], s[16:17], -1
                                        ; implicit-def: $vgpr9_vgpr10
	s_and_saveexec_b64 s[20:21], s[18:19]
	s_xor_b64 s[18:19], exec, s[20:21]
; %bb.11:                               ;   in Loop: Header=BB148_2 Depth=1
	v_lshlrev_b32_e32 v9, 3, v14
	ds_read_b64 v[9:10], v9 offset:8
; %bb.12:                               ;   in Loop: Header=BB148_2 Depth=1
	s_or_saveexec_b64 s[18:19], s[18:19]
	v_mov_b32_e32 v12, v8
	v_mov_b32_e32 v11, v7
	s_xor_b64 exec, exec, s[18:19]
	s_cbranch_execz .LBB148_14
; %bb.13:                               ;   in Loop: Header=BB148_2 Depth=1
	s_waitcnt lgkmcnt(0)
	v_lshlrev_b32_e32 v9, 3, v13
	ds_read_b64 v[11:12], v9 offset:8
	v_mov_b32_e32 v10, v6
	v_mov_b32_e32 v9, v5
.LBB148_14:                             ;   in Loop: Header=BB148_2 Depth=1
	s_or_b64 exec, exec, s[18:19]
	v_add_u32_e32 v16, 1, v14
	v_add_u32_e32 v15, 1, v13
	v_cndmask_b32_e64 v18, v16, v14, s[16:17]
	s_waitcnt lgkmcnt(0)
	v_cmp_lt_i64_e64 s[20:21], v[11:12], v[9:10]
	v_cndmask_b32_e64 v17, v13, v15, s[16:17]
	v_cmp_ge_i32_e64 s[22:23], v18, v39
	v_cmp_lt_i32_e64 s[18:19], v17, v40
	s_or_b64 s[20:21], s[22:23], s[20:21]
	s_and_b64 s[18:19], s[18:19], s[20:21]
	s_xor_b64 s[20:21], s[18:19], -1
                                        ; implicit-def: $vgpr13_vgpr14
	s_and_saveexec_b64 s[22:23], s[20:21]
	s_xor_b64 s[20:21], exec, s[22:23]
; %bb.15:                               ;   in Loop: Header=BB148_2 Depth=1
	v_lshlrev_b32_e32 v13, 3, v18
	ds_read_b64 v[13:14], v13 offset:8
; %bb.16:                               ;   in Loop: Header=BB148_2 Depth=1
	s_or_saveexec_b64 s[20:21], s[20:21]
	v_mov_b32_e32 v16, v12
	v_mov_b32_e32 v15, v11
	s_xor_b64 exec, exec, s[20:21]
	s_cbranch_execz .LBB148_18
; %bb.17:                               ;   in Loop: Header=BB148_2 Depth=1
	s_waitcnt lgkmcnt(0)
	v_lshlrev_b32_e32 v13, 3, v17
	ds_read_b64 v[15:16], v13 offset:8
	v_mov_b32_e32 v14, v10
	v_mov_b32_e32 v13, v9
.LBB148_18:                             ;   in Loop: Header=BB148_2 Depth=1
	s_or_b64 exec, exec, s[20:21]
	v_add_u32_e32 v20, 1, v18
	v_add_u32_e32 v19, 1, v17
	v_cndmask_b32_e64 v22, v20, v18, s[18:19]
	s_waitcnt lgkmcnt(0)
	v_cmp_lt_i64_e64 s[22:23], v[15:16], v[13:14]
	v_cndmask_b32_e64 v21, v17, v19, s[18:19]
	v_cmp_ge_i32_e64 s[24:25], v22, v39
	v_cmp_lt_i32_e64 s[20:21], v21, v40
	s_or_b64 s[22:23], s[24:25], s[22:23]
	s_and_b64 s[20:21], s[20:21], s[22:23]
	s_xor_b64 s[22:23], s[20:21], -1
                                        ; implicit-def: $vgpr17_vgpr18
	s_and_saveexec_b64 s[24:25], s[22:23]
	s_xor_b64 s[22:23], exec, s[24:25]
; %bb.19:                               ;   in Loop: Header=BB148_2 Depth=1
	v_lshlrev_b32_e32 v17, 3, v22
	ds_read_b64 v[17:18], v17 offset:8
; %bb.20:                               ;   in Loop: Header=BB148_2 Depth=1
	s_or_saveexec_b64 s[22:23], s[22:23]
	v_mov_b32_e32 v20, v16
	v_mov_b32_e32 v19, v15
	s_xor_b64 exec, exec, s[22:23]
	s_cbranch_execz .LBB148_22
; %bb.21:                               ;   in Loop: Header=BB148_2 Depth=1
	s_waitcnt lgkmcnt(0)
	v_lshlrev_b32_e32 v17, 3, v21
	ds_read_b64 v[19:20], v17 offset:8
	v_mov_b32_e32 v18, v14
	v_mov_b32_e32 v17, v13
.LBB148_22:                             ;   in Loop: Header=BB148_2 Depth=1
	s_or_b64 exec, exec, s[22:23]
	v_add_u32_e32 v24, 1, v22
	v_add_u32_e32 v23, 1, v21
	v_cndmask_b32_e64 v26, v24, v22, s[20:21]
	s_waitcnt lgkmcnt(0)
	v_cmp_lt_i64_e64 s[24:25], v[19:20], v[17:18]
	v_cndmask_b32_e64 v25, v21, v23, s[20:21]
	v_cmp_ge_i32_e64 s[26:27], v26, v39
	v_cmp_lt_i32_e64 s[22:23], v25, v40
	s_or_b64 s[24:25], s[26:27], s[24:25]
	s_and_b64 s[22:23], s[22:23], s[24:25]
	s_xor_b64 s[24:25], s[22:23], -1
                                        ; implicit-def: $vgpr21_vgpr22
	s_and_saveexec_b64 s[26:27], s[24:25]
	s_xor_b64 s[24:25], exec, s[26:27]
; %bb.23:                               ;   in Loop: Header=BB148_2 Depth=1
	v_lshlrev_b32_e32 v21, 3, v26
	ds_read_b64 v[21:22], v21 offset:8
; %bb.24:                               ;   in Loop: Header=BB148_2 Depth=1
	s_or_saveexec_b64 s[24:25], s[24:25]
	v_mov_b32_e32 v24, v20
	v_mov_b32_e32 v23, v19
	s_xor_b64 exec, exec, s[24:25]
	s_cbranch_execz .LBB148_26
; %bb.25:                               ;   in Loop: Header=BB148_2 Depth=1
	s_waitcnt lgkmcnt(0)
	v_lshlrev_b32_e32 v21, 3, v25
	ds_read_b64 v[23:24], v21 offset:8
	v_mov_b32_e32 v22, v18
	v_mov_b32_e32 v21, v17
.LBB148_26:                             ;   in Loop: Header=BB148_2 Depth=1
	s_or_b64 exec, exec, s[24:25]
	v_add_u32_e32 v28, 1, v26
	v_add_u32_e32 v27, 1, v25
	v_cndmask_b32_e64 v30, v28, v26, s[22:23]
	s_waitcnt lgkmcnt(0)
	v_cmp_lt_i64_e64 s[26:27], v[23:24], v[21:22]
	v_cndmask_b32_e64 v29, v25, v27, s[22:23]
	v_cmp_ge_i32_e64 s[28:29], v30, v39
	v_cmp_lt_i32_e64 s[24:25], v29, v40
	s_or_b64 s[26:27], s[28:29], s[26:27]
	s_and_b64 s[24:25], s[24:25], s[26:27]
	s_xor_b64 s[26:27], s[24:25], -1
                                        ; implicit-def: $vgpr25_vgpr26
	s_and_saveexec_b64 s[28:29], s[26:27]
	s_xor_b64 s[26:27], exec, s[28:29]
; %bb.27:                               ;   in Loop: Header=BB148_2 Depth=1
	v_lshlrev_b32_e32 v25, 3, v30
	ds_read_b64 v[25:26], v25 offset:8
; %bb.28:                               ;   in Loop: Header=BB148_2 Depth=1
	s_or_saveexec_b64 s[26:27], s[26:27]
	v_mov_b32_e32 v28, v24
	v_mov_b32_e32 v27, v23
	s_xor_b64 exec, exec, s[26:27]
	s_cbranch_execz .LBB148_30
; %bb.29:                               ;   in Loop: Header=BB148_2 Depth=1
	s_waitcnt lgkmcnt(0)
	v_lshlrev_b32_e32 v25, 3, v29
	ds_read_b64 v[27:28], v25 offset:8
	v_mov_b32_e32 v26, v22
	v_mov_b32_e32 v25, v21
.LBB148_30:                             ;   in Loop: Header=BB148_2 Depth=1
	s_or_b64 exec, exec, s[26:27]
	v_add_u32_e32 v32, 1, v30
	v_add_u32_e32 v31, 1, v29
	v_cndmask_b32_e64 v34, v32, v30, s[24:25]
	s_waitcnt lgkmcnt(0)
	v_cmp_lt_i64_e64 s[28:29], v[27:28], v[25:26]
	v_cndmask_b32_e64 v33, v29, v31, s[24:25]
	v_cmp_ge_i32_e64 s[30:31], v34, v39
	v_cmp_lt_i32_e64 s[26:27], v33, v40
	s_or_b64 s[28:29], s[30:31], s[28:29]
	s_and_b64 s[26:27], s[26:27], s[28:29]
	s_xor_b64 s[28:29], s[26:27], -1
                                        ; implicit-def: $vgpr29_vgpr30
	s_and_saveexec_b64 s[30:31], s[28:29]
	s_xor_b64 s[28:29], exec, s[30:31]
; %bb.31:                               ;   in Loop: Header=BB148_2 Depth=1
	v_lshlrev_b32_e32 v29, 3, v34
	ds_read_b64 v[29:30], v29 offset:8
; %bb.32:                               ;   in Loop: Header=BB148_2 Depth=1
	s_or_saveexec_b64 s[28:29], s[28:29]
	v_mov_b32_e32 v32, v28
	v_mov_b32_e32 v31, v27
	s_xor_b64 exec, exec, s[28:29]
	s_cbranch_execz .LBB148_34
; %bb.33:                               ;   in Loop: Header=BB148_2 Depth=1
	s_waitcnt lgkmcnt(0)
	v_lshlrev_b32_e32 v29, 3, v33
	ds_read_b64 v[31:32], v29 offset:8
	v_mov_b32_e32 v30, v26
	v_mov_b32_e32 v29, v25
.LBB148_34:                             ;   in Loop: Header=BB148_2 Depth=1
	s_or_b64 exec, exec, s[28:29]
	v_cndmask_b32_e64 v26, v26, v28, s[26:27]
	v_add_u32_e32 v28, 1, v34
	v_cndmask_b32_e64 v25, v25, v27, s[26:27]
	v_add_u32_e32 v27, 1, v33
	v_cndmask_b32_e64 v28, v28, v34, s[26:27]
	v_cndmask_b32_e64 v6, v6, v8, s[16:17]
	;; [unrolled: 1-line block ×3, first 2 shown]
	s_waitcnt lgkmcnt(0)
	v_cmp_lt_i64_e64 s[16:17], v[31:32], v[29:30]
	v_cndmask_b32_e64 v27, v33, v27, s[26:27]
	v_cndmask_b32_e64 v10, v10, v12, s[18:19]
	;; [unrolled: 1-line block ×3, first 2 shown]
	v_cmp_ge_i32_e64 s[18:19], v28, v39
	v_cndmask_b32_e64 v2, v2, v4, s[14:15]
	v_cndmask_b32_e64 v1, v1, v3, s[14:15]
	v_cmp_lt_i32_e64 s[14:15], v27, v40
	s_or_b64 s[16:17], s[18:19], s[16:17]
	s_and_b64 s[14:15], s[14:15], s[16:17]
	v_cndmask_b32_e64 v22, v22, v24, s[24:25]
	v_cndmask_b32_e64 v21, v21, v23, s[24:25]
	;; [unrolled: 1-line block ×8, first 2 shown]
	s_barrier
	ds_write2_b64 v37, v[1:2], v[5:6] offset1:1
	ds_write2_b64 v37, v[9:10], v[13:14] offset0:2 offset1:3
	ds_write2_b64 v37, v[17:18], v[21:22] offset0:4 offset1:5
	;; [unrolled: 1-line block ×3, first 2 shown]
	v_mov_b32_e32 v5, v49
	s_waitcnt lgkmcnt(0)
	s_barrier
	s_and_saveexec_b64 s[16:17], s[0:1]
	s_cbranch_execz .LBB148_38
; %bb.35:                               ;   in Loop: Header=BB148_2 Depth=1
	s_mov_b64 s[18:19], 0
	v_mov_b32_e32 v5, v49
	v_mov_b32_e32 v1, v50
.LBB148_36:                             ;   Parent Loop BB148_2 Depth=1
                                        ; =>  This Inner Loop Header: Depth=2
	v_sub_u32_e32 v2, v1, v5
	v_lshrrev_b32_e32 v2, 1, v2
	v_add_u32_e32 v4, v2, v5
	v_not_b32_e32 v3, v4
	v_lshl_add_u32 v2, v4, 3, v48
	v_lshl_add_u32 v6, v3, 3, v92
	ds_read_b64 v[2:3], v2
	ds_read_b64 v[6:7], v6
	v_add_u32_e32 v8, 1, v4
	s_waitcnt lgkmcnt(0)
	v_cmp_lt_i64_e64 s[14:15], v[6:7], v[2:3]
	v_cndmask_b32_e64 v1, v1, v4, s[14:15]
	v_cndmask_b32_e64 v5, v8, v5, s[14:15]
	v_cmp_ge_i32_e64 s[14:15], v5, v1
	s_or_b64 s[18:19], s[14:15], s[18:19]
	s_andn2_b64 exec, exec, s[18:19]
	s_cbranch_execnz .LBB148_36
; %bb.37:                               ;   in Loop: Header=BB148_2 Depth=1
	s_or_b64 exec, exec, s[18:19]
.LBB148_38:                             ;   in Loop: Header=BB148_2 Depth=1
	s_or_b64 exec, exec, s[16:17]
	v_sub_u32_e32 v9, v51, v5
	v_lshl_add_u32 v7, v5, 3, v48
	v_lshlrev_b32_e32 v11, 3, v9
	ds_read_b64 v[1:2], v7
	ds_read_b64 v[3:4], v11
	v_add_u32_e32 v10, v5, v45
	v_cmp_le_i32_e64 s[18:19], v46, v10
	v_cmp_gt_i32_e64 s[14:15], v47, v9
                                        ; implicit-def: $vgpr5_vgpr6
	s_waitcnt lgkmcnt(0)
	v_cmp_lt_i64_e64 s[16:17], v[3:4], v[1:2]
	s_or_b64 s[16:17], s[18:19], s[16:17]
	s_and_b64 s[14:15], s[14:15], s[16:17]
	s_xor_b64 s[16:17], s[14:15], -1
	s_and_saveexec_b64 s[18:19], s[16:17]
	s_xor_b64 s[16:17], exec, s[18:19]
; %bb.39:                               ;   in Loop: Header=BB148_2 Depth=1
	ds_read_b64 v[5:6], v7 offset:8
                                        ; implicit-def: $vgpr11
; %bb.40:                               ;   in Loop: Header=BB148_2 Depth=1
	s_or_saveexec_b64 s[16:17], s[16:17]
	v_mov_b32_e32 v8, v4
	v_mov_b32_e32 v7, v3
	s_xor_b64 exec, exec, s[16:17]
	s_cbranch_execz .LBB148_42
; %bb.41:                               ;   in Loop: Header=BB148_2 Depth=1
	ds_read_b64 v[7:8], v11 offset:8
	s_waitcnt lgkmcnt(1)
	v_mov_b32_e32 v6, v2
	v_mov_b32_e32 v5, v1
.LBB148_42:                             ;   in Loop: Header=BB148_2 Depth=1
	s_or_b64 exec, exec, s[16:17]
	v_add_u32_e32 v12, 1, v10
	v_add_u32_e32 v11, 1, v9
	v_cndmask_b32_e64 v14, v12, v10, s[14:15]
	s_waitcnt lgkmcnt(0)
	v_cmp_lt_i64_e64 s[18:19], v[7:8], v[5:6]
	v_cndmask_b32_e64 v13, v9, v11, s[14:15]
	v_cmp_ge_i32_e64 s[20:21], v14, v46
	v_cmp_lt_i32_e64 s[16:17], v13, v47
	s_or_b64 s[18:19], s[20:21], s[18:19]
	s_and_b64 s[16:17], s[16:17], s[18:19]
	s_xor_b64 s[18:19], s[16:17], -1
                                        ; implicit-def: $vgpr9_vgpr10
	s_and_saveexec_b64 s[20:21], s[18:19]
	s_xor_b64 s[18:19], exec, s[20:21]
; %bb.43:                               ;   in Loop: Header=BB148_2 Depth=1
	v_lshlrev_b32_e32 v9, 3, v14
	ds_read_b64 v[9:10], v9 offset:8
; %bb.44:                               ;   in Loop: Header=BB148_2 Depth=1
	s_or_saveexec_b64 s[18:19], s[18:19]
	v_mov_b32_e32 v12, v8
	v_mov_b32_e32 v11, v7
	s_xor_b64 exec, exec, s[18:19]
	s_cbranch_execz .LBB148_46
; %bb.45:                               ;   in Loop: Header=BB148_2 Depth=1
	s_waitcnt lgkmcnt(0)
	v_lshlrev_b32_e32 v9, 3, v13
	ds_read_b64 v[11:12], v9 offset:8
	v_mov_b32_e32 v10, v6
	v_mov_b32_e32 v9, v5
.LBB148_46:                             ;   in Loop: Header=BB148_2 Depth=1
	s_or_b64 exec, exec, s[18:19]
	v_add_u32_e32 v16, 1, v14
	v_add_u32_e32 v15, 1, v13
	v_cndmask_b32_e64 v18, v16, v14, s[16:17]
	s_waitcnt lgkmcnt(0)
	v_cmp_lt_i64_e64 s[20:21], v[11:12], v[9:10]
	v_cndmask_b32_e64 v17, v13, v15, s[16:17]
	v_cmp_ge_i32_e64 s[22:23], v18, v46
	v_cmp_lt_i32_e64 s[18:19], v17, v47
	s_or_b64 s[20:21], s[22:23], s[20:21]
	s_and_b64 s[18:19], s[18:19], s[20:21]
	s_xor_b64 s[20:21], s[18:19], -1
                                        ; implicit-def: $vgpr13_vgpr14
	s_and_saveexec_b64 s[22:23], s[20:21]
	s_xor_b64 s[20:21], exec, s[22:23]
; %bb.47:                               ;   in Loop: Header=BB148_2 Depth=1
	v_lshlrev_b32_e32 v13, 3, v18
	ds_read_b64 v[13:14], v13 offset:8
; %bb.48:                               ;   in Loop: Header=BB148_2 Depth=1
	s_or_saveexec_b64 s[20:21], s[20:21]
	v_mov_b32_e32 v16, v12
	v_mov_b32_e32 v15, v11
	s_xor_b64 exec, exec, s[20:21]
	s_cbranch_execz .LBB148_50
; %bb.49:                               ;   in Loop: Header=BB148_2 Depth=1
	s_waitcnt lgkmcnt(0)
	v_lshlrev_b32_e32 v13, 3, v17
	ds_read_b64 v[15:16], v13 offset:8
	v_mov_b32_e32 v14, v10
	v_mov_b32_e32 v13, v9
.LBB148_50:                             ;   in Loop: Header=BB148_2 Depth=1
	s_or_b64 exec, exec, s[20:21]
	v_add_u32_e32 v20, 1, v18
	v_add_u32_e32 v19, 1, v17
	v_cndmask_b32_e64 v22, v20, v18, s[18:19]
	s_waitcnt lgkmcnt(0)
	v_cmp_lt_i64_e64 s[22:23], v[15:16], v[13:14]
	v_cndmask_b32_e64 v21, v17, v19, s[18:19]
	v_cmp_ge_i32_e64 s[24:25], v22, v46
	v_cmp_lt_i32_e64 s[20:21], v21, v47
	s_or_b64 s[22:23], s[24:25], s[22:23]
	s_and_b64 s[20:21], s[20:21], s[22:23]
	s_xor_b64 s[22:23], s[20:21], -1
                                        ; implicit-def: $vgpr17_vgpr18
	s_and_saveexec_b64 s[24:25], s[22:23]
	s_xor_b64 s[22:23], exec, s[24:25]
; %bb.51:                               ;   in Loop: Header=BB148_2 Depth=1
	v_lshlrev_b32_e32 v17, 3, v22
	ds_read_b64 v[17:18], v17 offset:8
; %bb.52:                               ;   in Loop: Header=BB148_2 Depth=1
	s_or_saveexec_b64 s[22:23], s[22:23]
	v_mov_b32_e32 v20, v16
	v_mov_b32_e32 v19, v15
	s_xor_b64 exec, exec, s[22:23]
	s_cbranch_execz .LBB148_54
; %bb.53:                               ;   in Loop: Header=BB148_2 Depth=1
	s_waitcnt lgkmcnt(0)
	v_lshlrev_b32_e32 v17, 3, v21
	ds_read_b64 v[19:20], v17 offset:8
	v_mov_b32_e32 v18, v14
	v_mov_b32_e32 v17, v13
.LBB148_54:                             ;   in Loop: Header=BB148_2 Depth=1
	s_or_b64 exec, exec, s[22:23]
	v_add_u32_e32 v24, 1, v22
	v_add_u32_e32 v23, 1, v21
	v_cndmask_b32_e64 v26, v24, v22, s[20:21]
	s_waitcnt lgkmcnt(0)
	v_cmp_lt_i64_e64 s[24:25], v[19:20], v[17:18]
	v_cndmask_b32_e64 v25, v21, v23, s[20:21]
	v_cmp_ge_i32_e64 s[26:27], v26, v46
	v_cmp_lt_i32_e64 s[22:23], v25, v47
	s_or_b64 s[24:25], s[26:27], s[24:25]
	s_and_b64 s[22:23], s[22:23], s[24:25]
	s_xor_b64 s[24:25], s[22:23], -1
                                        ; implicit-def: $vgpr21_vgpr22
	s_and_saveexec_b64 s[26:27], s[24:25]
	s_xor_b64 s[24:25], exec, s[26:27]
; %bb.55:                               ;   in Loop: Header=BB148_2 Depth=1
	v_lshlrev_b32_e32 v21, 3, v26
	ds_read_b64 v[21:22], v21 offset:8
; %bb.56:                               ;   in Loop: Header=BB148_2 Depth=1
	s_or_saveexec_b64 s[24:25], s[24:25]
	v_mov_b32_e32 v24, v20
	v_mov_b32_e32 v23, v19
	s_xor_b64 exec, exec, s[24:25]
	s_cbranch_execz .LBB148_58
; %bb.57:                               ;   in Loop: Header=BB148_2 Depth=1
	s_waitcnt lgkmcnt(0)
	v_lshlrev_b32_e32 v21, 3, v25
	ds_read_b64 v[23:24], v21 offset:8
	v_mov_b32_e32 v22, v18
	v_mov_b32_e32 v21, v17
.LBB148_58:                             ;   in Loop: Header=BB148_2 Depth=1
	s_or_b64 exec, exec, s[24:25]
	v_add_u32_e32 v28, 1, v26
	v_add_u32_e32 v27, 1, v25
	v_cndmask_b32_e64 v30, v28, v26, s[22:23]
	s_waitcnt lgkmcnt(0)
	v_cmp_lt_i64_e64 s[26:27], v[23:24], v[21:22]
	v_cndmask_b32_e64 v29, v25, v27, s[22:23]
	v_cmp_ge_i32_e64 s[28:29], v30, v46
	v_cmp_lt_i32_e64 s[24:25], v29, v47
	s_or_b64 s[26:27], s[28:29], s[26:27]
	s_and_b64 s[24:25], s[24:25], s[26:27]
	s_xor_b64 s[26:27], s[24:25], -1
                                        ; implicit-def: $vgpr25_vgpr26
	s_and_saveexec_b64 s[28:29], s[26:27]
	s_xor_b64 s[26:27], exec, s[28:29]
; %bb.59:                               ;   in Loop: Header=BB148_2 Depth=1
	v_lshlrev_b32_e32 v25, 3, v30
	ds_read_b64 v[25:26], v25 offset:8
; %bb.60:                               ;   in Loop: Header=BB148_2 Depth=1
	s_or_saveexec_b64 s[26:27], s[26:27]
	v_mov_b32_e32 v28, v24
	v_mov_b32_e32 v27, v23
	s_xor_b64 exec, exec, s[26:27]
	s_cbranch_execz .LBB148_62
; %bb.61:                               ;   in Loop: Header=BB148_2 Depth=1
	s_waitcnt lgkmcnt(0)
	v_lshlrev_b32_e32 v25, 3, v29
	ds_read_b64 v[27:28], v25 offset:8
	v_mov_b32_e32 v26, v22
	v_mov_b32_e32 v25, v21
.LBB148_62:                             ;   in Loop: Header=BB148_2 Depth=1
	s_or_b64 exec, exec, s[26:27]
	v_add_u32_e32 v32, 1, v30
	v_add_u32_e32 v31, 1, v29
	v_cndmask_b32_e64 v34, v32, v30, s[24:25]
	s_waitcnt lgkmcnt(0)
	v_cmp_lt_i64_e64 s[28:29], v[27:28], v[25:26]
	v_cndmask_b32_e64 v33, v29, v31, s[24:25]
	v_cmp_ge_i32_e64 s[30:31], v34, v46
	v_cmp_lt_i32_e64 s[26:27], v33, v47
	s_or_b64 s[28:29], s[30:31], s[28:29]
	s_and_b64 s[26:27], s[26:27], s[28:29]
	s_xor_b64 s[28:29], s[26:27], -1
                                        ; implicit-def: $vgpr29_vgpr30
	s_and_saveexec_b64 s[30:31], s[28:29]
	s_xor_b64 s[28:29], exec, s[30:31]
; %bb.63:                               ;   in Loop: Header=BB148_2 Depth=1
	v_lshlrev_b32_e32 v29, 3, v34
	ds_read_b64 v[29:30], v29 offset:8
; %bb.64:                               ;   in Loop: Header=BB148_2 Depth=1
	s_or_saveexec_b64 s[28:29], s[28:29]
	v_mov_b32_e32 v32, v28
	v_mov_b32_e32 v31, v27
	s_xor_b64 exec, exec, s[28:29]
	s_cbranch_execz .LBB148_66
; %bb.65:                               ;   in Loop: Header=BB148_2 Depth=1
	s_waitcnt lgkmcnt(0)
	v_lshlrev_b32_e32 v29, 3, v33
	ds_read_b64 v[31:32], v29 offset:8
	v_mov_b32_e32 v30, v26
	v_mov_b32_e32 v29, v25
.LBB148_66:                             ;   in Loop: Header=BB148_2 Depth=1
	s_or_b64 exec, exec, s[28:29]
	v_cndmask_b32_e64 v26, v26, v28, s[26:27]
	v_add_u32_e32 v28, 1, v34
	v_cndmask_b32_e64 v25, v25, v27, s[26:27]
	v_add_u32_e32 v27, 1, v33
	v_cndmask_b32_e64 v28, v28, v34, s[26:27]
	v_cndmask_b32_e64 v6, v6, v8, s[16:17]
	;; [unrolled: 1-line block ×3, first 2 shown]
	s_waitcnt lgkmcnt(0)
	v_cmp_lt_i64_e64 s[16:17], v[31:32], v[29:30]
	v_cndmask_b32_e64 v27, v33, v27, s[26:27]
	v_cndmask_b32_e64 v10, v10, v12, s[18:19]
	;; [unrolled: 1-line block ×3, first 2 shown]
	v_cmp_ge_i32_e64 s[18:19], v28, v46
	v_cndmask_b32_e64 v2, v2, v4, s[14:15]
	v_cndmask_b32_e64 v1, v1, v3, s[14:15]
	v_cmp_lt_i32_e64 s[14:15], v27, v47
	s_or_b64 s[16:17], s[18:19], s[16:17]
	s_and_b64 s[14:15], s[14:15], s[16:17]
	v_cndmask_b32_e64 v22, v22, v24, s[24:25]
	v_cndmask_b32_e64 v21, v21, v23, s[24:25]
	;; [unrolled: 1-line block ×8, first 2 shown]
	s_barrier
	ds_write2_b64 v37, v[1:2], v[5:6] offset1:1
	ds_write2_b64 v37, v[9:10], v[13:14] offset0:2 offset1:3
	ds_write2_b64 v37, v[17:18], v[21:22] offset0:4 offset1:5
	;; [unrolled: 1-line block ×3, first 2 shown]
	v_mov_b32_e32 v5, v56
	s_waitcnt lgkmcnt(0)
	s_barrier
	s_and_saveexec_b64 s[16:17], s[2:3]
	s_cbranch_execz .LBB148_70
; %bb.67:                               ;   in Loop: Header=BB148_2 Depth=1
	s_mov_b64 s[18:19], 0
	v_mov_b32_e32 v5, v56
	v_mov_b32_e32 v1, v57
.LBB148_68:                             ;   Parent Loop BB148_2 Depth=1
                                        ; =>  This Inner Loop Header: Depth=2
	v_sub_u32_e32 v2, v1, v5
	v_lshrrev_b32_e32 v2, 1, v2
	v_add_u32_e32 v4, v2, v5
	v_not_b32_e32 v3, v4
	v_lshl_add_u32 v2, v4, 3, v55
	v_lshl_add_u32 v6, v3, 3, v93
	ds_read_b64 v[2:3], v2
	ds_read_b64 v[6:7], v6
	v_add_u32_e32 v8, 1, v4
	s_waitcnt lgkmcnt(0)
	v_cmp_lt_i64_e64 s[14:15], v[6:7], v[2:3]
	v_cndmask_b32_e64 v1, v1, v4, s[14:15]
	v_cndmask_b32_e64 v5, v8, v5, s[14:15]
	v_cmp_ge_i32_e64 s[14:15], v5, v1
	s_or_b64 s[18:19], s[14:15], s[18:19]
	s_andn2_b64 exec, exec, s[18:19]
	s_cbranch_execnz .LBB148_68
; %bb.69:                               ;   in Loop: Header=BB148_2 Depth=1
	s_or_b64 exec, exec, s[18:19]
.LBB148_70:                             ;   in Loop: Header=BB148_2 Depth=1
	s_or_b64 exec, exec, s[16:17]
	v_sub_u32_e32 v9, v58, v5
	v_lshl_add_u32 v7, v5, 3, v55
	v_lshlrev_b32_e32 v11, 3, v9
	ds_read_b64 v[1:2], v7
	ds_read_b64 v[3:4], v11
	v_add_u32_e32 v10, v5, v52
	v_cmp_le_i32_e64 s[18:19], v53, v10
	v_cmp_gt_i32_e64 s[14:15], v54, v9
                                        ; implicit-def: $vgpr5_vgpr6
	s_waitcnt lgkmcnt(0)
	v_cmp_lt_i64_e64 s[16:17], v[3:4], v[1:2]
	s_or_b64 s[16:17], s[18:19], s[16:17]
	s_and_b64 s[14:15], s[14:15], s[16:17]
	s_xor_b64 s[16:17], s[14:15], -1
	s_and_saveexec_b64 s[18:19], s[16:17]
	s_xor_b64 s[16:17], exec, s[18:19]
; %bb.71:                               ;   in Loop: Header=BB148_2 Depth=1
	ds_read_b64 v[5:6], v7 offset:8
                                        ; implicit-def: $vgpr11
; %bb.72:                               ;   in Loop: Header=BB148_2 Depth=1
	s_or_saveexec_b64 s[16:17], s[16:17]
	v_mov_b32_e32 v8, v4
	v_mov_b32_e32 v7, v3
	s_xor_b64 exec, exec, s[16:17]
	s_cbranch_execz .LBB148_74
; %bb.73:                               ;   in Loop: Header=BB148_2 Depth=1
	ds_read_b64 v[7:8], v11 offset:8
	s_waitcnt lgkmcnt(1)
	v_mov_b32_e32 v6, v2
	v_mov_b32_e32 v5, v1
.LBB148_74:                             ;   in Loop: Header=BB148_2 Depth=1
	s_or_b64 exec, exec, s[16:17]
	v_add_u32_e32 v12, 1, v10
	v_add_u32_e32 v11, 1, v9
	v_cndmask_b32_e64 v14, v12, v10, s[14:15]
	s_waitcnt lgkmcnt(0)
	v_cmp_lt_i64_e64 s[18:19], v[7:8], v[5:6]
	v_cndmask_b32_e64 v13, v9, v11, s[14:15]
	v_cmp_ge_i32_e64 s[20:21], v14, v53
	v_cmp_lt_i32_e64 s[16:17], v13, v54
	s_or_b64 s[18:19], s[20:21], s[18:19]
	s_and_b64 s[16:17], s[16:17], s[18:19]
	s_xor_b64 s[18:19], s[16:17], -1
                                        ; implicit-def: $vgpr9_vgpr10
	s_and_saveexec_b64 s[20:21], s[18:19]
	s_xor_b64 s[18:19], exec, s[20:21]
; %bb.75:                               ;   in Loop: Header=BB148_2 Depth=1
	v_lshlrev_b32_e32 v9, 3, v14
	ds_read_b64 v[9:10], v9 offset:8
; %bb.76:                               ;   in Loop: Header=BB148_2 Depth=1
	s_or_saveexec_b64 s[18:19], s[18:19]
	v_mov_b32_e32 v12, v8
	v_mov_b32_e32 v11, v7
	s_xor_b64 exec, exec, s[18:19]
	s_cbranch_execz .LBB148_78
; %bb.77:                               ;   in Loop: Header=BB148_2 Depth=1
	s_waitcnt lgkmcnt(0)
	v_lshlrev_b32_e32 v9, 3, v13
	ds_read_b64 v[11:12], v9 offset:8
	v_mov_b32_e32 v10, v6
	v_mov_b32_e32 v9, v5
.LBB148_78:                             ;   in Loop: Header=BB148_2 Depth=1
	s_or_b64 exec, exec, s[18:19]
	v_add_u32_e32 v16, 1, v14
	v_add_u32_e32 v15, 1, v13
	v_cndmask_b32_e64 v18, v16, v14, s[16:17]
	s_waitcnt lgkmcnt(0)
	v_cmp_lt_i64_e64 s[20:21], v[11:12], v[9:10]
	v_cndmask_b32_e64 v17, v13, v15, s[16:17]
	v_cmp_ge_i32_e64 s[22:23], v18, v53
	v_cmp_lt_i32_e64 s[18:19], v17, v54
	s_or_b64 s[20:21], s[22:23], s[20:21]
	s_and_b64 s[18:19], s[18:19], s[20:21]
	s_xor_b64 s[20:21], s[18:19], -1
                                        ; implicit-def: $vgpr13_vgpr14
	s_and_saveexec_b64 s[22:23], s[20:21]
	s_xor_b64 s[20:21], exec, s[22:23]
; %bb.79:                               ;   in Loop: Header=BB148_2 Depth=1
	v_lshlrev_b32_e32 v13, 3, v18
	ds_read_b64 v[13:14], v13 offset:8
; %bb.80:                               ;   in Loop: Header=BB148_2 Depth=1
	s_or_saveexec_b64 s[20:21], s[20:21]
	v_mov_b32_e32 v16, v12
	v_mov_b32_e32 v15, v11
	s_xor_b64 exec, exec, s[20:21]
	s_cbranch_execz .LBB148_82
; %bb.81:                               ;   in Loop: Header=BB148_2 Depth=1
	s_waitcnt lgkmcnt(0)
	v_lshlrev_b32_e32 v13, 3, v17
	ds_read_b64 v[15:16], v13 offset:8
	v_mov_b32_e32 v14, v10
	v_mov_b32_e32 v13, v9
.LBB148_82:                             ;   in Loop: Header=BB148_2 Depth=1
	s_or_b64 exec, exec, s[20:21]
	v_add_u32_e32 v20, 1, v18
	v_add_u32_e32 v19, 1, v17
	v_cndmask_b32_e64 v22, v20, v18, s[18:19]
	s_waitcnt lgkmcnt(0)
	v_cmp_lt_i64_e64 s[22:23], v[15:16], v[13:14]
	v_cndmask_b32_e64 v21, v17, v19, s[18:19]
	v_cmp_ge_i32_e64 s[24:25], v22, v53
	v_cmp_lt_i32_e64 s[20:21], v21, v54
	s_or_b64 s[22:23], s[24:25], s[22:23]
	s_and_b64 s[20:21], s[20:21], s[22:23]
	s_xor_b64 s[22:23], s[20:21], -1
                                        ; implicit-def: $vgpr17_vgpr18
	s_and_saveexec_b64 s[24:25], s[22:23]
	s_xor_b64 s[22:23], exec, s[24:25]
; %bb.83:                               ;   in Loop: Header=BB148_2 Depth=1
	v_lshlrev_b32_e32 v17, 3, v22
	ds_read_b64 v[17:18], v17 offset:8
; %bb.84:                               ;   in Loop: Header=BB148_2 Depth=1
	s_or_saveexec_b64 s[22:23], s[22:23]
	v_mov_b32_e32 v20, v16
	v_mov_b32_e32 v19, v15
	s_xor_b64 exec, exec, s[22:23]
	s_cbranch_execz .LBB148_86
; %bb.85:                               ;   in Loop: Header=BB148_2 Depth=1
	s_waitcnt lgkmcnt(0)
	v_lshlrev_b32_e32 v17, 3, v21
	ds_read_b64 v[19:20], v17 offset:8
	v_mov_b32_e32 v18, v14
	v_mov_b32_e32 v17, v13
.LBB148_86:                             ;   in Loop: Header=BB148_2 Depth=1
	s_or_b64 exec, exec, s[22:23]
	v_add_u32_e32 v24, 1, v22
	v_add_u32_e32 v23, 1, v21
	v_cndmask_b32_e64 v26, v24, v22, s[20:21]
	s_waitcnt lgkmcnt(0)
	v_cmp_lt_i64_e64 s[24:25], v[19:20], v[17:18]
	v_cndmask_b32_e64 v25, v21, v23, s[20:21]
	v_cmp_ge_i32_e64 s[26:27], v26, v53
	v_cmp_lt_i32_e64 s[22:23], v25, v54
	s_or_b64 s[24:25], s[26:27], s[24:25]
	s_and_b64 s[22:23], s[22:23], s[24:25]
	s_xor_b64 s[24:25], s[22:23], -1
                                        ; implicit-def: $vgpr21_vgpr22
	s_and_saveexec_b64 s[26:27], s[24:25]
	s_xor_b64 s[24:25], exec, s[26:27]
; %bb.87:                               ;   in Loop: Header=BB148_2 Depth=1
	v_lshlrev_b32_e32 v21, 3, v26
	ds_read_b64 v[21:22], v21 offset:8
; %bb.88:                               ;   in Loop: Header=BB148_2 Depth=1
	s_or_saveexec_b64 s[24:25], s[24:25]
	v_mov_b32_e32 v24, v20
	v_mov_b32_e32 v23, v19
	s_xor_b64 exec, exec, s[24:25]
	s_cbranch_execz .LBB148_90
; %bb.89:                               ;   in Loop: Header=BB148_2 Depth=1
	s_waitcnt lgkmcnt(0)
	v_lshlrev_b32_e32 v21, 3, v25
	ds_read_b64 v[23:24], v21 offset:8
	v_mov_b32_e32 v22, v18
	v_mov_b32_e32 v21, v17
.LBB148_90:                             ;   in Loop: Header=BB148_2 Depth=1
	s_or_b64 exec, exec, s[24:25]
	v_add_u32_e32 v28, 1, v26
	v_add_u32_e32 v27, 1, v25
	v_cndmask_b32_e64 v30, v28, v26, s[22:23]
	s_waitcnt lgkmcnt(0)
	v_cmp_lt_i64_e64 s[26:27], v[23:24], v[21:22]
	v_cndmask_b32_e64 v29, v25, v27, s[22:23]
	v_cmp_ge_i32_e64 s[28:29], v30, v53
	v_cmp_lt_i32_e64 s[24:25], v29, v54
	s_or_b64 s[26:27], s[28:29], s[26:27]
	s_and_b64 s[24:25], s[24:25], s[26:27]
	s_xor_b64 s[26:27], s[24:25], -1
                                        ; implicit-def: $vgpr25_vgpr26
	s_and_saveexec_b64 s[28:29], s[26:27]
	s_xor_b64 s[26:27], exec, s[28:29]
; %bb.91:                               ;   in Loop: Header=BB148_2 Depth=1
	v_lshlrev_b32_e32 v25, 3, v30
	ds_read_b64 v[25:26], v25 offset:8
; %bb.92:                               ;   in Loop: Header=BB148_2 Depth=1
	s_or_saveexec_b64 s[26:27], s[26:27]
	v_mov_b32_e32 v28, v24
	v_mov_b32_e32 v27, v23
	s_xor_b64 exec, exec, s[26:27]
	s_cbranch_execz .LBB148_94
; %bb.93:                               ;   in Loop: Header=BB148_2 Depth=1
	s_waitcnt lgkmcnt(0)
	v_lshlrev_b32_e32 v25, 3, v29
	ds_read_b64 v[27:28], v25 offset:8
	v_mov_b32_e32 v26, v22
	v_mov_b32_e32 v25, v21
.LBB148_94:                             ;   in Loop: Header=BB148_2 Depth=1
	s_or_b64 exec, exec, s[26:27]
	v_add_u32_e32 v32, 1, v30
	v_add_u32_e32 v31, 1, v29
	v_cndmask_b32_e64 v34, v32, v30, s[24:25]
	s_waitcnt lgkmcnt(0)
	v_cmp_lt_i64_e64 s[28:29], v[27:28], v[25:26]
	v_cndmask_b32_e64 v33, v29, v31, s[24:25]
	v_cmp_ge_i32_e64 s[30:31], v34, v53
	v_cmp_lt_i32_e64 s[26:27], v33, v54
	s_or_b64 s[28:29], s[30:31], s[28:29]
	s_and_b64 s[26:27], s[26:27], s[28:29]
	s_xor_b64 s[28:29], s[26:27], -1
                                        ; implicit-def: $vgpr29_vgpr30
	s_and_saveexec_b64 s[30:31], s[28:29]
	s_xor_b64 s[28:29], exec, s[30:31]
; %bb.95:                               ;   in Loop: Header=BB148_2 Depth=1
	v_lshlrev_b32_e32 v29, 3, v34
	ds_read_b64 v[29:30], v29 offset:8
; %bb.96:                               ;   in Loop: Header=BB148_2 Depth=1
	s_or_saveexec_b64 s[28:29], s[28:29]
	v_mov_b32_e32 v32, v28
	v_mov_b32_e32 v31, v27
	s_xor_b64 exec, exec, s[28:29]
	s_cbranch_execz .LBB148_98
; %bb.97:                               ;   in Loop: Header=BB148_2 Depth=1
	s_waitcnt lgkmcnt(0)
	v_lshlrev_b32_e32 v29, 3, v33
	ds_read_b64 v[31:32], v29 offset:8
	v_mov_b32_e32 v30, v26
	v_mov_b32_e32 v29, v25
.LBB148_98:                             ;   in Loop: Header=BB148_2 Depth=1
	s_or_b64 exec, exec, s[28:29]
	v_cndmask_b32_e64 v26, v26, v28, s[26:27]
	v_add_u32_e32 v28, 1, v34
	v_cndmask_b32_e64 v25, v25, v27, s[26:27]
	v_add_u32_e32 v27, 1, v33
	v_cndmask_b32_e64 v28, v28, v34, s[26:27]
	v_cndmask_b32_e64 v6, v6, v8, s[16:17]
	;; [unrolled: 1-line block ×3, first 2 shown]
	s_waitcnt lgkmcnt(0)
	v_cmp_lt_i64_e64 s[16:17], v[31:32], v[29:30]
	v_cndmask_b32_e64 v27, v33, v27, s[26:27]
	v_cndmask_b32_e64 v10, v10, v12, s[18:19]
	;; [unrolled: 1-line block ×3, first 2 shown]
	v_cmp_ge_i32_e64 s[18:19], v28, v53
	v_cndmask_b32_e64 v2, v2, v4, s[14:15]
	v_cndmask_b32_e64 v1, v1, v3, s[14:15]
	v_cmp_lt_i32_e64 s[14:15], v27, v54
	s_or_b64 s[16:17], s[18:19], s[16:17]
	s_and_b64 s[14:15], s[14:15], s[16:17]
	v_cndmask_b32_e64 v22, v22, v24, s[24:25]
	v_cndmask_b32_e64 v21, v21, v23, s[24:25]
	;; [unrolled: 1-line block ×8, first 2 shown]
	s_barrier
	ds_write2_b64 v37, v[1:2], v[5:6] offset1:1
	ds_write2_b64 v37, v[9:10], v[13:14] offset0:2 offset1:3
	ds_write2_b64 v37, v[17:18], v[21:22] offset0:4 offset1:5
	;; [unrolled: 1-line block ×3, first 2 shown]
	v_mov_b32_e32 v5, v63
	s_waitcnt lgkmcnt(0)
	s_barrier
	s_and_saveexec_b64 s[16:17], s[4:5]
	s_cbranch_execz .LBB148_102
; %bb.99:                               ;   in Loop: Header=BB148_2 Depth=1
	s_mov_b64 s[18:19], 0
	v_mov_b32_e32 v5, v63
	v_mov_b32_e32 v1, v64
.LBB148_100:                            ;   Parent Loop BB148_2 Depth=1
                                        ; =>  This Inner Loop Header: Depth=2
	v_sub_u32_e32 v2, v1, v5
	v_lshrrev_b32_e32 v2, 1, v2
	v_add_u32_e32 v4, v2, v5
	v_not_b32_e32 v3, v4
	v_lshl_add_u32 v2, v4, 3, v62
	v_lshl_add_u32 v6, v3, 3, v94
	ds_read_b64 v[2:3], v2
	ds_read_b64 v[6:7], v6
	v_add_u32_e32 v8, 1, v4
	s_waitcnt lgkmcnt(0)
	v_cmp_lt_i64_e64 s[14:15], v[6:7], v[2:3]
	v_cndmask_b32_e64 v1, v1, v4, s[14:15]
	v_cndmask_b32_e64 v5, v8, v5, s[14:15]
	v_cmp_ge_i32_e64 s[14:15], v5, v1
	s_or_b64 s[18:19], s[14:15], s[18:19]
	s_andn2_b64 exec, exec, s[18:19]
	s_cbranch_execnz .LBB148_100
; %bb.101:                              ;   in Loop: Header=BB148_2 Depth=1
	s_or_b64 exec, exec, s[18:19]
.LBB148_102:                            ;   in Loop: Header=BB148_2 Depth=1
	s_or_b64 exec, exec, s[16:17]
	v_sub_u32_e32 v9, v65, v5
	v_lshl_add_u32 v7, v5, 3, v62
	v_lshlrev_b32_e32 v11, 3, v9
	ds_read_b64 v[1:2], v7
	ds_read_b64 v[3:4], v11
	v_add_u32_e32 v10, v5, v59
	v_cmp_le_i32_e64 s[18:19], v60, v10
	v_cmp_gt_i32_e64 s[14:15], v61, v9
                                        ; implicit-def: $vgpr5_vgpr6
	s_waitcnt lgkmcnt(0)
	v_cmp_lt_i64_e64 s[16:17], v[3:4], v[1:2]
	s_or_b64 s[16:17], s[18:19], s[16:17]
	s_and_b64 s[14:15], s[14:15], s[16:17]
	s_xor_b64 s[16:17], s[14:15], -1
	s_and_saveexec_b64 s[18:19], s[16:17]
	s_xor_b64 s[16:17], exec, s[18:19]
; %bb.103:                              ;   in Loop: Header=BB148_2 Depth=1
	ds_read_b64 v[5:6], v7 offset:8
                                        ; implicit-def: $vgpr11
; %bb.104:                              ;   in Loop: Header=BB148_2 Depth=1
	s_or_saveexec_b64 s[16:17], s[16:17]
	v_mov_b32_e32 v8, v4
	v_mov_b32_e32 v7, v3
	s_xor_b64 exec, exec, s[16:17]
	s_cbranch_execz .LBB148_106
; %bb.105:                              ;   in Loop: Header=BB148_2 Depth=1
	ds_read_b64 v[7:8], v11 offset:8
	s_waitcnt lgkmcnt(1)
	v_mov_b32_e32 v6, v2
	v_mov_b32_e32 v5, v1
.LBB148_106:                            ;   in Loop: Header=BB148_2 Depth=1
	s_or_b64 exec, exec, s[16:17]
	v_add_u32_e32 v12, 1, v10
	v_add_u32_e32 v11, 1, v9
	v_cndmask_b32_e64 v14, v12, v10, s[14:15]
	s_waitcnt lgkmcnt(0)
	v_cmp_lt_i64_e64 s[18:19], v[7:8], v[5:6]
	v_cndmask_b32_e64 v13, v9, v11, s[14:15]
	v_cmp_ge_i32_e64 s[20:21], v14, v60
	v_cmp_lt_i32_e64 s[16:17], v13, v61
	s_or_b64 s[18:19], s[20:21], s[18:19]
	s_and_b64 s[16:17], s[16:17], s[18:19]
	s_xor_b64 s[18:19], s[16:17], -1
                                        ; implicit-def: $vgpr9_vgpr10
	s_and_saveexec_b64 s[20:21], s[18:19]
	s_xor_b64 s[18:19], exec, s[20:21]
; %bb.107:                              ;   in Loop: Header=BB148_2 Depth=1
	v_lshlrev_b32_e32 v9, 3, v14
	ds_read_b64 v[9:10], v9 offset:8
; %bb.108:                              ;   in Loop: Header=BB148_2 Depth=1
	s_or_saveexec_b64 s[18:19], s[18:19]
	v_mov_b32_e32 v12, v8
	v_mov_b32_e32 v11, v7
	s_xor_b64 exec, exec, s[18:19]
	s_cbranch_execz .LBB148_110
; %bb.109:                              ;   in Loop: Header=BB148_2 Depth=1
	s_waitcnt lgkmcnt(0)
	v_lshlrev_b32_e32 v9, 3, v13
	ds_read_b64 v[11:12], v9 offset:8
	v_mov_b32_e32 v10, v6
	v_mov_b32_e32 v9, v5
.LBB148_110:                            ;   in Loop: Header=BB148_2 Depth=1
	s_or_b64 exec, exec, s[18:19]
	v_add_u32_e32 v16, 1, v14
	v_add_u32_e32 v15, 1, v13
	v_cndmask_b32_e64 v18, v16, v14, s[16:17]
	s_waitcnt lgkmcnt(0)
	v_cmp_lt_i64_e64 s[20:21], v[11:12], v[9:10]
	v_cndmask_b32_e64 v17, v13, v15, s[16:17]
	v_cmp_ge_i32_e64 s[22:23], v18, v60
	v_cmp_lt_i32_e64 s[18:19], v17, v61
	s_or_b64 s[20:21], s[22:23], s[20:21]
	s_and_b64 s[18:19], s[18:19], s[20:21]
	s_xor_b64 s[20:21], s[18:19], -1
                                        ; implicit-def: $vgpr13_vgpr14
	s_and_saveexec_b64 s[22:23], s[20:21]
	s_xor_b64 s[20:21], exec, s[22:23]
; %bb.111:                              ;   in Loop: Header=BB148_2 Depth=1
	v_lshlrev_b32_e32 v13, 3, v18
	ds_read_b64 v[13:14], v13 offset:8
; %bb.112:                              ;   in Loop: Header=BB148_2 Depth=1
	s_or_saveexec_b64 s[20:21], s[20:21]
	v_mov_b32_e32 v16, v12
	v_mov_b32_e32 v15, v11
	s_xor_b64 exec, exec, s[20:21]
	s_cbranch_execz .LBB148_114
; %bb.113:                              ;   in Loop: Header=BB148_2 Depth=1
	s_waitcnt lgkmcnt(0)
	v_lshlrev_b32_e32 v13, 3, v17
	ds_read_b64 v[15:16], v13 offset:8
	v_mov_b32_e32 v14, v10
	v_mov_b32_e32 v13, v9
.LBB148_114:                            ;   in Loop: Header=BB148_2 Depth=1
	s_or_b64 exec, exec, s[20:21]
	v_add_u32_e32 v20, 1, v18
	v_add_u32_e32 v19, 1, v17
	v_cndmask_b32_e64 v22, v20, v18, s[18:19]
	s_waitcnt lgkmcnt(0)
	v_cmp_lt_i64_e64 s[22:23], v[15:16], v[13:14]
	v_cndmask_b32_e64 v21, v17, v19, s[18:19]
	v_cmp_ge_i32_e64 s[24:25], v22, v60
	v_cmp_lt_i32_e64 s[20:21], v21, v61
	s_or_b64 s[22:23], s[24:25], s[22:23]
	s_and_b64 s[20:21], s[20:21], s[22:23]
	s_xor_b64 s[22:23], s[20:21], -1
                                        ; implicit-def: $vgpr17_vgpr18
	s_and_saveexec_b64 s[24:25], s[22:23]
	s_xor_b64 s[22:23], exec, s[24:25]
; %bb.115:                              ;   in Loop: Header=BB148_2 Depth=1
	v_lshlrev_b32_e32 v17, 3, v22
	ds_read_b64 v[17:18], v17 offset:8
; %bb.116:                              ;   in Loop: Header=BB148_2 Depth=1
	s_or_saveexec_b64 s[22:23], s[22:23]
	v_mov_b32_e32 v20, v16
	v_mov_b32_e32 v19, v15
	s_xor_b64 exec, exec, s[22:23]
	s_cbranch_execz .LBB148_118
; %bb.117:                              ;   in Loop: Header=BB148_2 Depth=1
	s_waitcnt lgkmcnt(0)
	v_lshlrev_b32_e32 v17, 3, v21
	ds_read_b64 v[19:20], v17 offset:8
	v_mov_b32_e32 v18, v14
	v_mov_b32_e32 v17, v13
.LBB148_118:                            ;   in Loop: Header=BB148_2 Depth=1
	s_or_b64 exec, exec, s[22:23]
	v_add_u32_e32 v24, 1, v22
	v_add_u32_e32 v23, 1, v21
	v_cndmask_b32_e64 v26, v24, v22, s[20:21]
	s_waitcnt lgkmcnt(0)
	v_cmp_lt_i64_e64 s[24:25], v[19:20], v[17:18]
	v_cndmask_b32_e64 v25, v21, v23, s[20:21]
	v_cmp_ge_i32_e64 s[26:27], v26, v60
	v_cmp_lt_i32_e64 s[22:23], v25, v61
	s_or_b64 s[24:25], s[26:27], s[24:25]
	s_and_b64 s[22:23], s[22:23], s[24:25]
	s_xor_b64 s[24:25], s[22:23], -1
                                        ; implicit-def: $vgpr21_vgpr22
	s_and_saveexec_b64 s[26:27], s[24:25]
	s_xor_b64 s[24:25], exec, s[26:27]
; %bb.119:                              ;   in Loop: Header=BB148_2 Depth=1
	v_lshlrev_b32_e32 v21, 3, v26
	ds_read_b64 v[21:22], v21 offset:8
; %bb.120:                              ;   in Loop: Header=BB148_2 Depth=1
	s_or_saveexec_b64 s[24:25], s[24:25]
	v_mov_b32_e32 v24, v20
	v_mov_b32_e32 v23, v19
	s_xor_b64 exec, exec, s[24:25]
	s_cbranch_execz .LBB148_122
; %bb.121:                              ;   in Loop: Header=BB148_2 Depth=1
	s_waitcnt lgkmcnt(0)
	v_lshlrev_b32_e32 v21, 3, v25
	ds_read_b64 v[23:24], v21 offset:8
	v_mov_b32_e32 v22, v18
	v_mov_b32_e32 v21, v17
.LBB148_122:                            ;   in Loop: Header=BB148_2 Depth=1
	s_or_b64 exec, exec, s[24:25]
	v_add_u32_e32 v28, 1, v26
	v_add_u32_e32 v27, 1, v25
	v_cndmask_b32_e64 v30, v28, v26, s[22:23]
	s_waitcnt lgkmcnt(0)
	v_cmp_lt_i64_e64 s[26:27], v[23:24], v[21:22]
	v_cndmask_b32_e64 v29, v25, v27, s[22:23]
	v_cmp_ge_i32_e64 s[28:29], v30, v60
	v_cmp_lt_i32_e64 s[24:25], v29, v61
	s_or_b64 s[26:27], s[28:29], s[26:27]
	s_and_b64 s[24:25], s[24:25], s[26:27]
	s_xor_b64 s[26:27], s[24:25], -1
                                        ; implicit-def: $vgpr25_vgpr26
	s_and_saveexec_b64 s[28:29], s[26:27]
	s_xor_b64 s[26:27], exec, s[28:29]
; %bb.123:                              ;   in Loop: Header=BB148_2 Depth=1
	v_lshlrev_b32_e32 v25, 3, v30
	ds_read_b64 v[25:26], v25 offset:8
; %bb.124:                              ;   in Loop: Header=BB148_2 Depth=1
	s_or_saveexec_b64 s[26:27], s[26:27]
	v_mov_b32_e32 v28, v24
	v_mov_b32_e32 v27, v23
	s_xor_b64 exec, exec, s[26:27]
	s_cbranch_execz .LBB148_126
; %bb.125:                              ;   in Loop: Header=BB148_2 Depth=1
	s_waitcnt lgkmcnt(0)
	v_lshlrev_b32_e32 v25, 3, v29
	ds_read_b64 v[27:28], v25 offset:8
	v_mov_b32_e32 v26, v22
	v_mov_b32_e32 v25, v21
.LBB148_126:                            ;   in Loop: Header=BB148_2 Depth=1
	s_or_b64 exec, exec, s[26:27]
	v_add_u32_e32 v32, 1, v30
	v_add_u32_e32 v31, 1, v29
	v_cndmask_b32_e64 v34, v32, v30, s[24:25]
	s_waitcnt lgkmcnt(0)
	v_cmp_lt_i64_e64 s[28:29], v[27:28], v[25:26]
	v_cndmask_b32_e64 v33, v29, v31, s[24:25]
	v_cmp_ge_i32_e64 s[30:31], v34, v60
	v_cmp_lt_i32_e64 s[26:27], v33, v61
	s_or_b64 s[28:29], s[30:31], s[28:29]
	s_and_b64 s[26:27], s[26:27], s[28:29]
	s_xor_b64 s[28:29], s[26:27], -1
                                        ; implicit-def: $vgpr29_vgpr30
	s_and_saveexec_b64 s[30:31], s[28:29]
	s_xor_b64 s[28:29], exec, s[30:31]
; %bb.127:                              ;   in Loop: Header=BB148_2 Depth=1
	v_lshlrev_b32_e32 v29, 3, v34
	ds_read_b64 v[29:30], v29 offset:8
; %bb.128:                              ;   in Loop: Header=BB148_2 Depth=1
	s_or_saveexec_b64 s[28:29], s[28:29]
	v_mov_b32_e32 v32, v28
	v_mov_b32_e32 v31, v27
	s_xor_b64 exec, exec, s[28:29]
	s_cbranch_execz .LBB148_130
; %bb.129:                              ;   in Loop: Header=BB148_2 Depth=1
	s_waitcnt lgkmcnt(0)
	v_lshlrev_b32_e32 v29, 3, v33
	ds_read_b64 v[31:32], v29 offset:8
	v_mov_b32_e32 v30, v26
	v_mov_b32_e32 v29, v25
.LBB148_130:                            ;   in Loop: Header=BB148_2 Depth=1
	s_or_b64 exec, exec, s[28:29]
	v_cndmask_b32_e64 v26, v26, v28, s[26:27]
	v_add_u32_e32 v28, 1, v34
	v_cndmask_b32_e64 v25, v25, v27, s[26:27]
	v_add_u32_e32 v27, 1, v33
	v_cndmask_b32_e64 v28, v28, v34, s[26:27]
	v_cndmask_b32_e64 v6, v6, v8, s[16:17]
	;; [unrolled: 1-line block ×3, first 2 shown]
	s_waitcnt lgkmcnt(0)
	v_cmp_lt_i64_e64 s[16:17], v[31:32], v[29:30]
	v_cndmask_b32_e64 v27, v33, v27, s[26:27]
	v_cndmask_b32_e64 v10, v10, v12, s[18:19]
	;; [unrolled: 1-line block ×3, first 2 shown]
	v_cmp_ge_i32_e64 s[18:19], v28, v60
	v_cndmask_b32_e64 v2, v2, v4, s[14:15]
	v_cndmask_b32_e64 v1, v1, v3, s[14:15]
	v_cmp_lt_i32_e64 s[14:15], v27, v61
	s_or_b64 s[16:17], s[18:19], s[16:17]
	s_and_b64 s[14:15], s[14:15], s[16:17]
	v_cndmask_b32_e64 v22, v22, v24, s[24:25]
	v_cndmask_b32_e64 v21, v21, v23, s[24:25]
	;; [unrolled: 1-line block ×8, first 2 shown]
	s_barrier
	ds_write2_b64 v37, v[1:2], v[5:6] offset1:1
	ds_write2_b64 v37, v[9:10], v[13:14] offset0:2 offset1:3
	ds_write2_b64 v37, v[17:18], v[21:22] offset0:4 offset1:5
	ds_write2_b64 v37, v[25:26], v[3:4] offset0:6 offset1:7
	v_mov_b32_e32 v5, v70
	s_waitcnt lgkmcnt(0)
	s_barrier
	s_and_saveexec_b64 s[16:17], s[6:7]
	s_cbranch_execz .LBB148_134
; %bb.131:                              ;   in Loop: Header=BB148_2 Depth=1
	s_mov_b64 s[18:19], 0
	v_mov_b32_e32 v5, v70
	v_mov_b32_e32 v1, v71
.LBB148_132:                            ;   Parent Loop BB148_2 Depth=1
                                        ; =>  This Inner Loop Header: Depth=2
	v_sub_u32_e32 v2, v1, v5
	v_lshrrev_b32_e32 v2, 1, v2
	v_add_u32_e32 v4, v2, v5
	v_not_b32_e32 v3, v4
	v_lshl_add_u32 v2, v4, 3, v69
	v_lshl_add_u32 v6, v3, 3, v95
	ds_read_b64 v[2:3], v2
	ds_read_b64 v[6:7], v6
	v_add_u32_e32 v8, 1, v4
	s_waitcnt lgkmcnt(0)
	v_cmp_lt_i64_e64 s[14:15], v[6:7], v[2:3]
	v_cndmask_b32_e64 v1, v1, v4, s[14:15]
	v_cndmask_b32_e64 v5, v8, v5, s[14:15]
	v_cmp_ge_i32_e64 s[14:15], v5, v1
	s_or_b64 s[18:19], s[14:15], s[18:19]
	s_andn2_b64 exec, exec, s[18:19]
	s_cbranch_execnz .LBB148_132
; %bb.133:                              ;   in Loop: Header=BB148_2 Depth=1
	s_or_b64 exec, exec, s[18:19]
.LBB148_134:                            ;   in Loop: Header=BB148_2 Depth=1
	s_or_b64 exec, exec, s[16:17]
	v_sub_u32_e32 v9, v72, v5
	v_lshl_add_u32 v7, v5, 3, v69
	v_lshlrev_b32_e32 v11, 3, v9
	ds_read_b64 v[1:2], v7
	ds_read_b64 v[3:4], v11
	v_add_u32_e32 v10, v5, v66
	v_cmp_le_i32_e64 s[18:19], v67, v10
	v_cmp_gt_i32_e64 s[14:15], v68, v9
                                        ; implicit-def: $vgpr5_vgpr6
	s_waitcnt lgkmcnt(0)
	v_cmp_lt_i64_e64 s[16:17], v[3:4], v[1:2]
	s_or_b64 s[16:17], s[18:19], s[16:17]
	s_and_b64 s[14:15], s[14:15], s[16:17]
	s_xor_b64 s[16:17], s[14:15], -1
	s_and_saveexec_b64 s[18:19], s[16:17]
	s_xor_b64 s[16:17], exec, s[18:19]
; %bb.135:                              ;   in Loop: Header=BB148_2 Depth=1
	ds_read_b64 v[5:6], v7 offset:8
                                        ; implicit-def: $vgpr11
; %bb.136:                              ;   in Loop: Header=BB148_2 Depth=1
	s_or_saveexec_b64 s[16:17], s[16:17]
	v_mov_b32_e32 v8, v4
	v_mov_b32_e32 v7, v3
	s_xor_b64 exec, exec, s[16:17]
	s_cbranch_execz .LBB148_138
; %bb.137:                              ;   in Loop: Header=BB148_2 Depth=1
	ds_read_b64 v[7:8], v11 offset:8
	s_waitcnt lgkmcnt(1)
	v_mov_b32_e32 v6, v2
	v_mov_b32_e32 v5, v1
.LBB148_138:                            ;   in Loop: Header=BB148_2 Depth=1
	s_or_b64 exec, exec, s[16:17]
	v_add_u32_e32 v12, 1, v10
	v_add_u32_e32 v11, 1, v9
	v_cndmask_b32_e64 v14, v12, v10, s[14:15]
	s_waitcnt lgkmcnt(0)
	v_cmp_lt_i64_e64 s[18:19], v[7:8], v[5:6]
	v_cndmask_b32_e64 v13, v9, v11, s[14:15]
	v_cmp_ge_i32_e64 s[20:21], v14, v67
	v_cmp_lt_i32_e64 s[16:17], v13, v68
	s_or_b64 s[18:19], s[20:21], s[18:19]
	s_and_b64 s[16:17], s[16:17], s[18:19]
	s_xor_b64 s[18:19], s[16:17], -1
                                        ; implicit-def: $vgpr9_vgpr10
	s_and_saveexec_b64 s[20:21], s[18:19]
	s_xor_b64 s[18:19], exec, s[20:21]
; %bb.139:                              ;   in Loop: Header=BB148_2 Depth=1
	v_lshlrev_b32_e32 v9, 3, v14
	ds_read_b64 v[9:10], v9 offset:8
; %bb.140:                              ;   in Loop: Header=BB148_2 Depth=1
	s_or_saveexec_b64 s[18:19], s[18:19]
	v_mov_b32_e32 v12, v8
	v_mov_b32_e32 v11, v7
	s_xor_b64 exec, exec, s[18:19]
	s_cbranch_execz .LBB148_142
; %bb.141:                              ;   in Loop: Header=BB148_2 Depth=1
	s_waitcnt lgkmcnt(0)
	v_lshlrev_b32_e32 v9, 3, v13
	ds_read_b64 v[11:12], v9 offset:8
	v_mov_b32_e32 v10, v6
	v_mov_b32_e32 v9, v5
.LBB148_142:                            ;   in Loop: Header=BB148_2 Depth=1
	s_or_b64 exec, exec, s[18:19]
	v_add_u32_e32 v16, 1, v14
	v_add_u32_e32 v15, 1, v13
	v_cndmask_b32_e64 v18, v16, v14, s[16:17]
	s_waitcnt lgkmcnt(0)
	v_cmp_lt_i64_e64 s[20:21], v[11:12], v[9:10]
	v_cndmask_b32_e64 v17, v13, v15, s[16:17]
	v_cmp_ge_i32_e64 s[22:23], v18, v67
	v_cmp_lt_i32_e64 s[18:19], v17, v68
	s_or_b64 s[20:21], s[22:23], s[20:21]
	s_and_b64 s[18:19], s[18:19], s[20:21]
	s_xor_b64 s[20:21], s[18:19], -1
                                        ; implicit-def: $vgpr13_vgpr14
	s_and_saveexec_b64 s[22:23], s[20:21]
	s_xor_b64 s[20:21], exec, s[22:23]
; %bb.143:                              ;   in Loop: Header=BB148_2 Depth=1
	v_lshlrev_b32_e32 v13, 3, v18
	ds_read_b64 v[13:14], v13 offset:8
; %bb.144:                              ;   in Loop: Header=BB148_2 Depth=1
	s_or_saveexec_b64 s[20:21], s[20:21]
	v_mov_b32_e32 v16, v12
	v_mov_b32_e32 v15, v11
	s_xor_b64 exec, exec, s[20:21]
	s_cbranch_execz .LBB148_146
; %bb.145:                              ;   in Loop: Header=BB148_2 Depth=1
	s_waitcnt lgkmcnt(0)
	v_lshlrev_b32_e32 v13, 3, v17
	ds_read_b64 v[15:16], v13 offset:8
	v_mov_b32_e32 v14, v10
	v_mov_b32_e32 v13, v9
.LBB148_146:                            ;   in Loop: Header=BB148_2 Depth=1
	s_or_b64 exec, exec, s[20:21]
	v_add_u32_e32 v20, 1, v18
	v_add_u32_e32 v19, 1, v17
	v_cndmask_b32_e64 v22, v20, v18, s[18:19]
	s_waitcnt lgkmcnt(0)
	v_cmp_lt_i64_e64 s[22:23], v[15:16], v[13:14]
	v_cndmask_b32_e64 v21, v17, v19, s[18:19]
	v_cmp_ge_i32_e64 s[24:25], v22, v67
	v_cmp_lt_i32_e64 s[20:21], v21, v68
	s_or_b64 s[22:23], s[24:25], s[22:23]
	s_and_b64 s[20:21], s[20:21], s[22:23]
	s_xor_b64 s[22:23], s[20:21], -1
                                        ; implicit-def: $vgpr17_vgpr18
	s_and_saveexec_b64 s[24:25], s[22:23]
	s_xor_b64 s[22:23], exec, s[24:25]
; %bb.147:                              ;   in Loop: Header=BB148_2 Depth=1
	v_lshlrev_b32_e32 v17, 3, v22
	ds_read_b64 v[17:18], v17 offset:8
; %bb.148:                              ;   in Loop: Header=BB148_2 Depth=1
	s_or_saveexec_b64 s[22:23], s[22:23]
	v_mov_b32_e32 v20, v16
	v_mov_b32_e32 v19, v15
	s_xor_b64 exec, exec, s[22:23]
	s_cbranch_execz .LBB148_150
; %bb.149:                              ;   in Loop: Header=BB148_2 Depth=1
	s_waitcnt lgkmcnt(0)
	v_lshlrev_b32_e32 v17, 3, v21
	ds_read_b64 v[19:20], v17 offset:8
	v_mov_b32_e32 v18, v14
	v_mov_b32_e32 v17, v13
.LBB148_150:                            ;   in Loop: Header=BB148_2 Depth=1
	s_or_b64 exec, exec, s[22:23]
	v_add_u32_e32 v24, 1, v22
	v_add_u32_e32 v23, 1, v21
	v_cndmask_b32_e64 v26, v24, v22, s[20:21]
	s_waitcnt lgkmcnt(0)
	v_cmp_lt_i64_e64 s[24:25], v[19:20], v[17:18]
	v_cndmask_b32_e64 v25, v21, v23, s[20:21]
	v_cmp_ge_i32_e64 s[26:27], v26, v67
	v_cmp_lt_i32_e64 s[22:23], v25, v68
	s_or_b64 s[24:25], s[26:27], s[24:25]
	s_and_b64 s[22:23], s[22:23], s[24:25]
	s_xor_b64 s[24:25], s[22:23], -1
                                        ; implicit-def: $vgpr21_vgpr22
	s_and_saveexec_b64 s[26:27], s[24:25]
	s_xor_b64 s[24:25], exec, s[26:27]
; %bb.151:                              ;   in Loop: Header=BB148_2 Depth=1
	v_lshlrev_b32_e32 v21, 3, v26
	ds_read_b64 v[21:22], v21 offset:8
; %bb.152:                              ;   in Loop: Header=BB148_2 Depth=1
	s_or_saveexec_b64 s[24:25], s[24:25]
	v_mov_b32_e32 v24, v20
	v_mov_b32_e32 v23, v19
	s_xor_b64 exec, exec, s[24:25]
	s_cbranch_execz .LBB148_154
; %bb.153:                              ;   in Loop: Header=BB148_2 Depth=1
	s_waitcnt lgkmcnt(0)
	v_lshlrev_b32_e32 v21, 3, v25
	ds_read_b64 v[23:24], v21 offset:8
	v_mov_b32_e32 v22, v18
	v_mov_b32_e32 v21, v17
.LBB148_154:                            ;   in Loop: Header=BB148_2 Depth=1
	s_or_b64 exec, exec, s[24:25]
	v_add_u32_e32 v28, 1, v26
	v_add_u32_e32 v27, 1, v25
	v_cndmask_b32_e64 v30, v28, v26, s[22:23]
	s_waitcnt lgkmcnt(0)
	v_cmp_lt_i64_e64 s[26:27], v[23:24], v[21:22]
	v_cndmask_b32_e64 v29, v25, v27, s[22:23]
	v_cmp_ge_i32_e64 s[28:29], v30, v67
	v_cmp_lt_i32_e64 s[24:25], v29, v68
	s_or_b64 s[26:27], s[28:29], s[26:27]
	s_and_b64 s[24:25], s[24:25], s[26:27]
	s_xor_b64 s[26:27], s[24:25], -1
                                        ; implicit-def: $vgpr25_vgpr26
	s_and_saveexec_b64 s[28:29], s[26:27]
	s_xor_b64 s[26:27], exec, s[28:29]
; %bb.155:                              ;   in Loop: Header=BB148_2 Depth=1
	v_lshlrev_b32_e32 v25, 3, v30
	ds_read_b64 v[25:26], v25 offset:8
; %bb.156:                              ;   in Loop: Header=BB148_2 Depth=1
	s_or_saveexec_b64 s[26:27], s[26:27]
	v_mov_b32_e32 v28, v24
	v_mov_b32_e32 v27, v23
	s_xor_b64 exec, exec, s[26:27]
	s_cbranch_execz .LBB148_158
; %bb.157:                              ;   in Loop: Header=BB148_2 Depth=1
	s_waitcnt lgkmcnt(0)
	v_lshlrev_b32_e32 v25, 3, v29
	ds_read_b64 v[27:28], v25 offset:8
	v_mov_b32_e32 v26, v22
	v_mov_b32_e32 v25, v21
.LBB148_158:                            ;   in Loop: Header=BB148_2 Depth=1
	s_or_b64 exec, exec, s[26:27]
	v_add_u32_e32 v32, 1, v30
	v_add_u32_e32 v31, 1, v29
	v_cndmask_b32_e64 v34, v32, v30, s[24:25]
	s_waitcnt lgkmcnt(0)
	v_cmp_lt_i64_e64 s[28:29], v[27:28], v[25:26]
	v_cndmask_b32_e64 v33, v29, v31, s[24:25]
	v_cmp_ge_i32_e64 s[30:31], v34, v67
	v_cmp_lt_i32_e64 s[26:27], v33, v68
	s_or_b64 s[28:29], s[30:31], s[28:29]
	s_and_b64 s[26:27], s[26:27], s[28:29]
	s_xor_b64 s[28:29], s[26:27], -1
                                        ; implicit-def: $vgpr29_vgpr30
	s_and_saveexec_b64 s[30:31], s[28:29]
	s_xor_b64 s[28:29], exec, s[30:31]
; %bb.159:                              ;   in Loop: Header=BB148_2 Depth=1
	v_lshlrev_b32_e32 v29, 3, v34
	ds_read_b64 v[29:30], v29 offset:8
; %bb.160:                              ;   in Loop: Header=BB148_2 Depth=1
	s_or_saveexec_b64 s[28:29], s[28:29]
	v_mov_b32_e32 v32, v28
	v_mov_b32_e32 v31, v27
	s_xor_b64 exec, exec, s[28:29]
	s_cbranch_execz .LBB148_162
; %bb.161:                              ;   in Loop: Header=BB148_2 Depth=1
	s_waitcnt lgkmcnt(0)
	v_lshlrev_b32_e32 v29, 3, v33
	ds_read_b64 v[31:32], v29 offset:8
	v_mov_b32_e32 v30, v26
	v_mov_b32_e32 v29, v25
.LBB148_162:                            ;   in Loop: Header=BB148_2 Depth=1
	s_or_b64 exec, exec, s[28:29]
	v_cndmask_b32_e64 v26, v26, v28, s[26:27]
	v_add_u32_e32 v28, 1, v34
	v_cndmask_b32_e64 v25, v25, v27, s[26:27]
	v_add_u32_e32 v27, 1, v33
	v_cndmask_b32_e64 v28, v28, v34, s[26:27]
	v_cndmask_b32_e64 v6, v6, v8, s[16:17]
	;; [unrolled: 1-line block ×3, first 2 shown]
	s_waitcnt lgkmcnt(0)
	v_cmp_lt_i64_e64 s[16:17], v[31:32], v[29:30]
	v_cndmask_b32_e64 v27, v33, v27, s[26:27]
	v_cndmask_b32_e64 v10, v10, v12, s[18:19]
	;; [unrolled: 1-line block ×3, first 2 shown]
	v_cmp_ge_i32_e64 s[18:19], v28, v67
	v_cndmask_b32_e64 v2, v2, v4, s[14:15]
	v_cndmask_b32_e64 v1, v1, v3, s[14:15]
	v_cmp_lt_i32_e64 s[14:15], v27, v68
	s_or_b64 s[16:17], s[18:19], s[16:17]
	s_and_b64 s[14:15], s[14:15], s[16:17]
	v_cndmask_b32_e64 v22, v22, v24, s[24:25]
	v_cndmask_b32_e64 v21, v21, v23, s[24:25]
	;; [unrolled: 1-line block ×8, first 2 shown]
	s_barrier
	ds_write2_b64 v37, v[1:2], v[5:6] offset1:1
	ds_write2_b64 v37, v[9:10], v[13:14] offset0:2 offset1:3
	ds_write2_b64 v37, v[17:18], v[21:22] offset0:4 offset1:5
	;; [unrolled: 1-line block ×3, first 2 shown]
	v_mov_b32_e32 v5, v77
	s_waitcnt lgkmcnt(0)
	s_barrier
	s_and_saveexec_b64 s[16:17], s[8:9]
	s_cbranch_execz .LBB148_166
; %bb.163:                              ;   in Loop: Header=BB148_2 Depth=1
	s_mov_b64 s[18:19], 0
	v_mov_b32_e32 v5, v77
	v_mov_b32_e32 v1, v78
.LBB148_164:                            ;   Parent Loop BB148_2 Depth=1
                                        ; =>  This Inner Loop Header: Depth=2
	v_sub_u32_e32 v2, v1, v5
	v_lshrrev_b32_e32 v2, 1, v2
	v_add_u32_e32 v4, v2, v5
	v_not_b32_e32 v3, v4
	v_lshl_add_u32 v2, v4, 3, v76
	v_lshl_add_u32 v6, v3, 3, v96
	ds_read_b64 v[2:3], v2
	ds_read_b64 v[6:7], v6
	v_add_u32_e32 v8, 1, v4
	s_waitcnt lgkmcnt(0)
	v_cmp_lt_i64_e64 s[14:15], v[6:7], v[2:3]
	v_cndmask_b32_e64 v1, v1, v4, s[14:15]
	v_cndmask_b32_e64 v5, v8, v5, s[14:15]
	v_cmp_ge_i32_e64 s[14:15], v5, v1
	s_or_b64 s[18:19], s[14:15], s[18:19]
	s_andn2_b64 exec, exec, s[18:19]
	s_cbranch_execnz .LBB148_164
; %bb.165:                              ;   in Loop: Header=BB148_2 Depth=1
	s_or_b64 exec, exec, s[18:19]
.LBB148_166:                            ;   in Loop: Header=BB148_2 Depth=1
	s_or_b64 exec, exec, s[16:17]
	v_sub_u32_e32 v9, v79, v5
	v_lshl_add_u32 v7, v5, 3, v76
	v_lshlrev_b32_e32 v11, 3, v9
	ds_read_b64 v[1:2], v7
	ds_read_b64 v[3:4], v11
	v_add_u32_e32 v10, v5, v73
	v_cmp_le_i32_e64 s[18:19], v74, v10
	v_cmp_gt_i32_e64 s[14:15], v75, v9
                                        ; implicit-def: $vgpr5_vgpr6
	s_waitcnt lgkmcnt(0)
	v_cmp_lt_i64_e64 s[16:17], v[3:4], v[1:2]
	s_or_b64 s[16:17], s[18:19], s[16:17]
	s_and_b64 s[14:15], s[14:15], s[16:17]
	s_xor_b64 s[16:17], s[14:15], -1
	s_and_saveexec_b64 s[18:19], s[16:17]
	s_xor_b64 s[16:17], exec, s[18:19]
; %bb.167:                              ;   in Loop: Header=BB148_2 Depth=1
	ds_read_b64 v[5:6], v7 offset:8
                                        ; implicit-def: $vgpr11
; %bb.168:                              ;   in Loop: Header=BB148_2 Depth=1
	s_or_saveexec_b64 s[16:17], s[16:17]
	v_mov_b32_e32 v8, v4
	v_mov_b32_e32 v7, v3
	s_xor_b64 exec, exec, s[16:17]
	s_cbranch_execz .LBB148_170
; %bb.169:                              ;   in Loop: Header=BB148_2 Depth=1
	ds_read_b64 v[7:8], v11 offset:8
	s_waitcnt lgkmcnt(1)
	v_mov_b32_e32 v6, v2
	v_mov_b32_e32 v5, v1
.LBB148_170:                            ;   in Loop: Header=BB148_2 Depth=1
	s_or_b64 exec, exec, s[16:17]
	v_add_u32_e32 v12, 1, v10
	v_add_u32_e32 v11, 1, v9
	v_cndmask_b32_e64 v14, v12, v10, s[14:15]
	s_waitcnt lgkmcnt(0)
	v_cmp_lt_i64_e64 s[18:19], v[7:8], v[5:6]
	v_cndmask_b32_e64 v13, v9, v11, s[14:15]
	v_cmp_ge_i32_e64 s[20:21], v14, v74
	v_cmp_lt_i32_e64 s[16:17], v13, v75
	s_or_b64 s[18:19], s[20:21], s[18:19]
	s_and_b64 s[16:17], s[16:17], s[18:19]
	s_xor_b64 s[18:19], s[16:17], -1
                                        ; implicit-def: $vgpr9_vgpr10
	s_and_saveexec_b64 s[20:21], s[18:19]
	s_xor_b64 s[18:19], exec, s[20:21]
; %bb.171:                              ;   in Loop: Header=BB148_2 Depth=1
	v_lshlrev_b32_e32 v9, 3, v14
	ds_read_b64 v[9:10], v9 offset:8
; %bb.172:                              ;   in Loop: Header=BB148_2 Depth=1
	s_or_saveexec_b64 s[18:19], s[18:19]
	v_mov_b32_e32 v12, v8
	v_mov_b32_e32 v11, v7
	s_xor_b64 exec, exec, s[18:19]
	s_cbranch_execz .LBB148_174
; %bb.173:                              ;   in Loop: Header=BB148_2 Depth=1
	s_waitcnt lgkmcnt(0)
	v_lshlrev_b32_e32 v9, 3, v13
	ds_read_b64 v[11:12], v9 offset:8
	v_mov_b32_e32 v10, v6
	v_mov_b32_e32 v9, v5
.LBB148_174:                            ;   in Loop: Header=BB148_2 Depth=1
	s_or_b64 exec, exec, s[18:19]
	v_add_u32_e32 v16, 1, v14
	v_add_u32_e32 v15, 1, v13
	v_cndmask_b32_e64 v18, v16, v14, s[16:17]
	s_waitcnt lgkmcnt(0)
	v_cmp_lt_i64_e64 s[20:21], v[11:12], v[9:10]
	v_cndmask_b32_e64 v17, v13, v15, s[16:17]
	v_cmp_ge_i32_e64 s[22:23], v18, v74
	v_cmp_lt_i32_e64 s[18:19], v17, v75
	s_or_b64 s[20:21], s[22:23], s[20:21]
	s_and_b64 s[18:19], s[18:19], s[20:21]
	s_xor_b64 s[20:21], s[18:19], -1
                                        ; implicit-def: $vgpr13_vgpr14
	s_and_saveexec_b64 s[22:23], s[20:21]
	s_xor_b64 s[20:21], exec, s[22:23]
; %bb.175:                              ;   in Loop: Header=BB148_2 Depth=1
	v_lshlrev_b32_e32 v13, 3, v18
	ds_read_b64 v[13:14], v13 offset:8
; %bb.176:                              ;   in Loop: Header=BB148_2 Depth=1
	s_or_saveexec_b64 s[20:21], s[20:21]
	v_mov_b32_e32 v16, v12
	v_mov_b32_e32 v15, v11
	s_xor_b64 exec, exec, s[20:21]
	s_cbranch_execz .LBB148_178
; %bb.177:                              ;   in Loop: Header=BB148_2 Depth=1
	s_waitcnt lgkmcnt(0)
	v_lshlrev_b32_e32 v13, 3, v17
	ds_read_b64 v[15:16], v13 offset:8
	v_mov_b32_e32 v14, v10
	v_mov_b32_e32 v13, v9
.LBB148_178:                            ;   in Loop: Header=BB148_2 Depth=1
	s_or_b64 exec, exec, s[20:21]
	v_add_u32_e32 v20, 1, v18
	v_add_u32_e32 v19, 1, v17
	v_cndmask_b32_e64 v22, v20, v18, s[18:19]
	s_waitcnt lgkmcnt(0)
	v_cmp_lt_i64_e64 s[22:23], v[15:16], v[13:14]
	v_cndmask_b32_e64 v21, v17, v19, s[18:19]
	v_cmp_ge_i32_e64 s[24:25], v22, v74
	v_cmp_lt_i32_e64 s[20:21], v21, v75
	s_or_b64 s[22:23], s[24:25], s[22:23]
	s_and_b64 s[20:21], s[20:21], s[22:23]
	s_xor_b64 s[22:23], s[20:21], -1
                                        ; implicit-def: $vgpr17_vgpr18
	s_and_saveexec_b64 s[24:25], s[22:23]
	s_xor_b64 s[22:23], exec, s[24:25]
; %bb.179:                              ;   in Loop: Header=BB148_2 Depth=1
	v_lshlrev_b32_e32 v17, 3, v22
	ds_read_b64 v[17:18], v17 offset:8
; %bb.180:                              ;   in Loop: Header=BB148_2 Depth=1
	s_or_saveexec_b64 s[22:23], s[22:23]
	v_mov_b32_e32 v20, v16
	v_mov_b32_e32 v19, v15
	s_xor_b64 exec, exec, s[22:23]
	s_cbranch_execz .LBB148_182
; %bb.181:                              ;   in Loop: Header=BB148_2 Depth=1
	s_waitcnt lgkmcnt(0)
	v_lshlrev_b32_e32 v17, 3, v21
	ds_read_b64 v[19:20], v17 offset:8
	v_mov_b32_e32 v18, v14
	v_mov_b32_e32 v17, v13
.LBB148_182:                            ;   in Loop: Header=BB148_2 Depth=1
	s_or_b64 exec, exec, s[22:23]
	v_add_u32_e32 v24, 1, v22
	v_add_u32_e32 v23, 1, v21
	v_cndmask_b32_e64 v26, v24, v22, s[20:21]
	s_waitcnt lgkmcnt(0)
	v_cmp_lt_i64_e64 s[24:25], v[19:20], v[17:18]
	v_cndmask_b32_e64 v25, v21, v23, s[20:21]
	v_cmp_ge_i32_e64 s[26:27], v26, v74
	v_cmp_lt_i32_e64 s[22:23], v25, v75
	s_or_b64 s[24:25], s[26:27], s[24:25]
	s_and_b64 s[22:23], s[22:23], s[24:25]
	s_xor_b64 s[24:25], s[22:23], -1
                                        ; implicit-def: $vgpr21_vgpr22
	s_and_saveexec_b64 s[26:27], s[24:25]
	s_xor_b64 s[24:25], exec, s[26:27]
; %bb.183:                              ;   in Loop: Header=BB148_2 Depth=1
	v_lshlrev_b32_e32 v21, 3, v26
	ds_read_b64 v[21:22], v21 offset:8
; %bb.184:                              ;   in Loop: Header=BB148_2 Depth=1
	s_or_saveexec_b64 s[24:25], s[24:25]
	v_mov_b32_e32 v24, v20
	v_mov_b32_e32 v23, v19
	s_xor_b64 exec, exec, s[24:25]
	s_cbranch_execz .LBB148_186
; %bb.185:                              ;   in Loop: Header=BB148_2 Depth=1
	s_waitcnt lgkmcnt(0)
	v_lshlrev_b32_e32 v21, 3, v25
	ds_read_b64 v[23:24], v21 offset:8
	v_mov_b32_e32 v22, v18
	v_mov_b32_e32 v21, v17
.LBB148_186:                            ;   in Loop: Header=BB148_2 Depth=1
	s_or_b64 exec, exec, s[24:25]
	v_add_u32_e32 v28, 1, v26
	v_add_u32_e32 v27, 1, v25
	v_cndmask_b32_e64 v30, v28, v26, s[22:23]
	s_waitcnt lgkmcnt(0)
	v_cmp_lt_i64_e64 s[26:27], v[23:24], v[21:22]
	v_cndmask_b32_e64 v29, v25, v27, s[22:23]
	v_cmp_ge_i32_e64 s[28:29], v30, v74
	v_cmp_lt_i32_e64 s[24:25], v29, v75
	s_or_b64 s[26:27], s[28:29], s[26:27]
	s_and_b64 s[24:25], s[24:25], s[26:27]
	s_xor_b64 s[26:27], s[24:25], -1
                                        ; implicit-def: $vgpr25_vgpr26
	s_and_saveexec_b64 s[28:29], s[26:27]
	s_xor_b64 s[26:27], exec, s[28:29]
; %bb.187:                              ;   in Loop: Header=BB148_2 Depth=1
	v_lshlrev_b32_e32 v25, 3, v30
	ds_read_b64 v[25:26], v25 offset:8
; %bb.188:                              ;   in Loop: Header=BB148_2 Depth=1
	s_or_saveexec_b64 s[26:27], s[26:27]
	v_mov_b32_e32 v28, v24
	v_mov_b32_e32 v27, v23
	s_xor_b64 exec, exec, s[26:27]
	s_cbranch_execz .LBB148_190
; %bb.189:                              ;   in Loop: Header=BB148_2 Depth=1
	s_waitcnt lgkmcnt(0)
	v_lshlrev_b32_e32 v25, 3, v29
	ds_read_b64 v[27:28], v25 offset:8
	v_mov_b32_e32 v26, v22
	v_mov_b32_e32 v25, v21
.LBB148_190:                            ;   in Loop: Header=BB148_2 Depth=1
	s_or_b64 exec, exec, s[26:27]
	v_add_u32_e32 v32, 1, v30
	v_add_u32_e32 v31, 1, v29
	v_cndmask_b32_e64 v34, v32, v30, s[24:25]
	s_waitcnt lgkmcnt(0)
	v_cmp_lt_i64_e64 s[28:29], v[27:28], v[25:26]
	v_cndmask_b32_e64 v33, v29, v31, s[24:25]
	v_cmp_ge_i32_e64 s[30:31], v34, v74
	v_cmp_lt_i32_e64 s[26:27], v33, v75
	s_or_b64 s[28:29], s[30:31], s[28:29]
	s_and_b64 s[26:27], s[26:27], s[28:29]
	s_xor_b64 s[28:29], s[26:27], -1
                                        ; implicit-def: $vgpr29_vgpr30
	s_and_saveexec_b64 s[30:31], s[28:29]
	s_xor_b64 s[28:29], exec, s[30:31]
; %bb.191:                              ;   in Loop: Header=BB148_2 Depth=1
	v_lshlrev_b32_e32 v29, 3, v34
	ds_read_b64 v[29:30], v29 offset:8
; %bb.192:                              ;   in Loop: Header=BB148_2 Depth=1
	s_or_saveexec_b64 s[28:29], s[28:29]
	v_mov_b32_e32 v32, v28
	v_mov_b32_e32 v31, v27
	s_xor_b64 exec, exec, s[28:29]
	s_cbranch_execz .LBB148_194
; %bb.193:                              ;   in Loop: Header=BB148_2 Depth=1
	s_waitcnt lgkmcnt(0)
	v_lshlrev_b32_e32 v29, 3, v33
	ds_read_b64 v[31:32], v29 offset:8
	v_mov_b32_e32 v30, v26
	v_mov_b32_e32 v29, v25
.LBB148_194:                            ;   in Loop: Header=BB148_2 Depth=1
	s_or_b64 exec, exec, s[28:29]
	v_cndmask_b32_e64 v26, v26, v28, s[26:27]
	v_add_u32_e32 v28, 1, v34
	v_cndmask_b32_e64 v25, v25, v27, s[26:27]
	v_add_u32_e32 v27, 1, v33
	v_cndmask_b32_e64 v28, v28, v34, s[26:27]
	v_cndmask_b32_e64 v6, v6, v8, s[16:17]
	;; [unrolled: 1-line block ×3, first 2 shown]
	s_waitcnt lgkmcnt(0)
	v_cmp_lt_i64_e64 s[16:17], v[31:32], v[29:30]
	v_cndmask_b32_e64 v27, v33, v27, s[26:27]
	v_cndmask_b32_e64 v10, v10, v12, s[18:19]
	v_cndmask_b32_e64 v9, v9, v11, s[18:19]
	v_cmp_ge_i32_e64 s[18:19], v28, v74
	v_cndmask_b32_e64 v2, v2, v4, s[14:15]
	v_cndmask_b32_e64 v1, v1, v3, s[14:15]
	v_cmp_lt_i32_e64 s[14:15], v27, v75
	s_or_b64 s[16:17], s[18:19], s[16:17]
	s_and_b64 s[14:15], s[14:15], s[16:17]
	v_cndmask_b32_e64 v22, v22, v24, s[24:25]
	v_cndmask_b32_e64 v21, v21, v23, s[24:25]
	v_cndmask_b32_e64 v18, v18, v20, s[22:23]
	v_cndmask_b32_e64 v17, v17, v19, s[22:23]
	v_cndmask_b32_e64 v14, v14, v16, s[20:21]
	v_cndmask_b32_e64 v13, v13, v15, s[20:21]
	v_cndmask_b32_e64 v4, v30, v32, s[14:15]
	v_cndmask_b32_e64 v3, v29, v31, s[14:15]
	s_barrier
	ds_write2_b64 v37, v[1:2], v[5:6] offset1:1
	ds_write2_b64 v37, v[9:10], v[13:14] offset0:2 offset1:3
	ds_write2_b64 v37, v[17:18], v[21:22] offset0:4 offset1:5
	;; [unrolled: 1-line block ×3, first 2 shown]
	v_mov_b32_e32 v5, v85
	s_waitcnt lgkmcnt(0)
	s_barrier
	s_and_saveexec_b64 s[16:17], s[10:11]
	s_cbranch_execz .LBB148_198
; %bb.195:                              ;   in Loop: Header=BB148_2 Depth=1
	s_mov_b64 s[18:19], 0
	v_mov_b32_e32 v5, v85
	v_mov_b32_e32 v1, v86
.LBB148_196:                            ;   Parent Loop BB148_2 Depth=1
                                        ; =>  This Inner Loop Header: Depth=2
	v_sub_u32_e32 v2, v1, v5
	v_lshrrev_b32_e32 v2, 1, v2
	v_add_u32_e32 v4, v2, v5
	v_not_b32_e32 v3, v4
	v_lshl_add_u32 v2, v4, 3, v84
	v_lshl_add_u32 v6, v3, 3, v97
	ds_read_b64 v[2:3], v2
	ds_read_b64 v[6:7], v6
	v_add_u32_e32 v8, 1, v4
	s_waitcnt lgkmcnt(0)
	v_cmp_lt_i64_e64 s[14:15], v[6:7], v[2:3]
	v_cndmask_b32_e64 v1, v1, v4, s[14:15]
	v_cndmask_b32_e64 v5, v8, v5, s[14:15]
	v_cmp_ge_i32_e64 s[14:15], v5, v1
	s_or_b64 s[18:19], s[14:15], s[18:19]
	s_andn2_b64 exec, exec, s[18:19]
	s_cbranch_execnz .LBB148_196
; %bb.197:                              ;   in Loop: Header=BB148_2 Depth=1
	s_or_b64 exec, exec, s[18:19]
.LBB148_198:                            ;   in Loop: Header=BB148_2 Depth=1
	s_or_b64 exec, exec, s[16:17]
	v_sub_u32_e32 v9, v87, v5
	v_lshl_add_u32 v7, v5, 3, v84
	v_lshlrev_b32_e32 v11, 3, v9
	ds_read_b64 v[1:2], v7
	ds_read_b64 v[3:4], v11
	v_add_u32_e32 v10, v5, v81
	v_cmp_le_i32_e64 s[18:19], v82, v10
	v_cmp_gt_i32_e64 s[14:15], v83, v9
                                        ; implicit-def: $vgpr5_vgpr6
	s_waitcnt lgkmcnt(0)
	v_cmp_lt_i64_e64 s[16:17], v[3:4], v[1:2]
	s_or_b64 s[16:17], s[18:19], s[16:17]
	s_and_b64 s[14:15], s[14:15], s[16:17]
	s_xor_b64 s[16:17], s[14:15], -1
	s_and_saveexec_b64 s[18:19], s[16:17]
	s_xor_b64 s[16:17], exec, s[18:19]
; %bb.199:                              ;   in Loop: Header=BB148_2 Depth=1
	ds_read_b64 v[5:6], v7 offset:8
                                        ; implicit-def: $vgpr11
; %bb.200:                              ;   in Loop: Header=BB148_2 Depth=1
	s_or_saveexec_b64 s[16:17], s[16:17]
	v_mov_b32_e32 v8, v4
	v_mov_b32_e32 v7, v3
	s_xor_b64 exec, exec, s[16:17]
	s_cbranch_execz .LBB148_202
; %bb.201:                              ;   in Loop: Header=BB148_2 Depth=1
	ds_read_b64 v[7:8], v11 offset:8
	s_waitcnt lgkmcnt(1)
	v_mov_b32_e32 v6, v2
	v_mov_b32_e32 v5, v1
.LBB148_202:                            ;   in Loop: Header=BB148_2 Depth=1
	s_or_b64 exec, exec, s[16:17]
	v_add_u32_e32 v12, 1, v10
	v_add_u32_e32 v11, 1, v9
	v_cndmask_b32_e64 v14, v12, v10, s[14:15]
	s_waitcnt lgkmcnt(0)
	v_cmp_lt_i64_e64 s[18:19], v[7:8], v[5:6]
	v_cndmask_b32_e64 v13, v9, v11, s[14:15]
	v_cmp_ge_i32_e64 s[20:21], v14, v82
	v_cmp_lt_i32_e64 s[16:17], v13, v83
	s_or_b64 s[18:19], s[20:21], s[18:19]
	s_and_b64 s[16:17], s[16:17], s[18:19]
	s_xor_b64 s[18:19], s[16:17], -1
                                        ; implicit-def: $vgpr9_vgpr10
	s_and_saveexec_b64 s[20:21], s[18:19]
	s_xor_b64 s[18:19], exec, s[20:21]
; %bb.203:                              ;   in Loop: Header=BB148_2 Depth=1
	v_lshlrev_b32_e32 v9, 3, v14
	ds_read_b64 v[9:10], v9 offset:8
; %bb.204:                              ;   in Loop: Header=BB148_2 Depth=1
	s_or_saveexec_b64 s[18:19], s[18:19]
	v_mov_b32_e32 v12, v8
	v_mov_b32_e32 v11, v7
	s_xor_b64 exec, exec, s[18:19]
	s_cbranch_execz .LBB148_206
; %bb.205:                              ;   in Loop: Header=BB148_2 Depth=1
	s_waitcnt lgkmcnt(0)
	v_lshlrev_b32_e32 v9, 3, v13
	ds_read_b64 v[11:12], v9 offset:8
	v_mov_b32_e32 v10, v6
	v_mov_b32_e32 v9, v5
.LBB148_206:                            ;   in Loop: Header=BB148_2 Depth=1
	s_or_b64 exec, exec, s[18:19]
	v_add_u32_e32 v16, 1, v14
	v_add_u32_e32 v15, 1, v13
	v_cndmask_b32_e64 v18, v16, v14, s[16:17]
	s_waitcnt lgkmcnt(0)
	v_cmp_lt_i64_e64 s[20:21], v[11:12], v[9:10]
	v_cndmask_b32_e64 v17, v13, v15, s[16:17]
	v_cmp_ge_i32_e64 s[22:23], v18, v82
	v_cmp_lt_i32_e64 s[18:19], v17, v83
	s_or_b64 s[20:21], s[22:23], s[20:21]
	s_and_b64 s[18:19], s[18:19], s[20:21]
	s_xor_b64 s[20:21], s[18:19], -1
                                        ; implicit-def: $vgpr13_vgpr14
	s_and_saveexec_b64 s[22:23], s[20:21]
	s_xor_b64 s[20:21], exec, s[22:23]
; %bb.207:                              ;   in Loop: Header=BB148_2 Depth=1
	v_lshlrev_b32_e32 v13, 3, v18
	ds_read_b64 v[13:14], v13 offset:8
; %bb.208:                              ;   in Loop: Header=BB148_2 Depth=1
	s_or_saveexec_b64 s[20:21], s[20:21]
	v_mov_b32_e32 v16, v12
	v_mov_b32_e32 v15, v11
	s_xor_b64 exec, exec, s[20:21]
	s_cbranch_execz .LBB148_210
; %bb.209:                              ;   in Loop: Header=BB148_2 Depth=1
	s_waitcnt lgkmcnt(0)
	v_lshlrev_b32_e32 v13, 3, v17
	ds_read_b64 v[15:16], v13 offset:8
	v_mov_b32_e32 v14, v10
	v_mov_b32_e32 v13, v9
.LBB148_210:                            ;   in Loop: Header=BB148_2 Depth=1
	s_or_b64 exec, exec, s[20:21]
	v_add_u32_e32 v20, 1, v18
	v_add_u32_e32 v19, 1, v17
	v_cndmask_b32_e64 v22, v20, v18, s[18:19]
	s_waitcnt lgkmcnt(0)
	v_cmp_lt_i64_e64 s[22:23], v[15:16], v[13:14]
	v_cndmask_b32_e64 v21, v17, v19, s[18:19]
	v_cmp_ge_i32_e64 s[24:25], v22, v82
	v_cmp_lt_i32_e64 s[20:21], v21, v83
	s_or_b64 s[22:23], s[24:25], s[22:23]
	s_and_b64 s[20:21], s[20:21], s[22:23]
	s_xor_b64 s[22:23], s[20:21], -1
                                        ; implicit-def: $vgpr17_vgpr18
	s_and_saveexec_b64 s[24:25], s[22:23]
	s_xor_b64 s[22:23], exec, s[24:25]
; %bb.211:                              ;   in Loop: Header=BB148_2 Depth=1
	v_lshlrev_b32_e32 v17, 3, v22
	ds_read_b64 v[17:18], v17 offset:8
; %bb.212:                              ;   in Loop: Header=BB148_2 Depth=1
	s_or_saveexec_b64 s[22:23], s[22:23]
	v_mov_b32_e32 v20, v16
	v_mov_b32_e32 v19, v15
	s_xor_b64 exec, exec, s[22:23]
	s_cbranch_execz .LBB148_214
; %bb.213:                              ;   in Loop: Header=BB148_2 Depth=1
	s_waitcnt lgkmcnt(0)
	v_lshlrev_b32_e32 v17, 3, v21
	ds_read_b64 v[19:20], v17 offset:8
	v_mov_b32_e32 v18, v14
	v_mov_b32_e32 v17, v13
.LBB148_214:                            ;   in Loop: Header=BB148_2 Depth=1
	s_or_b64 exec, exec, s[22:23]
	v_add_u32_e32 v24, 1, v22
	v_add_u32_e32 v23, 1, v21
	v_cndmask_b32_e64 v26, v24, v22, s[20:21]
	s_waitcnt lgkmcnt(0)
	v_cmp_lt_i64_e64 s[24:25], v[19:20], v[17:18]
	v_cndmask_b32_e64 v25, v21, v23, s[20:21]
	v_cmp_ge_i32_e64 s[26:27], v26, v82
	v_cmp_lt_i32_e64 s[22:23], v25, v83
	s_or_b64 s[24:25], s[26:27], s[24:25]
	s_and_b64 s[22:23], s[22:23], s[24:25]
	s_xor_b64 s[24:25], s[22:23], -1
                                        ; implicit-def: $vgpr21_vgpr22
	s_and_saveexec_b64 s[26:27], s[24:25]
	s_xor_b64 s[24:25], exec, s[26:27]
; %bb.215:                              ;   in Loop: Header=BB148_2 Depth=1
	v_lshlrev_b32_e32 v21, 3, v26
	ds_read_b64 v[21:22], v21 offset:8
; %bb.216:                              ;   in Loop: Header=BB148_2 Depth=1
	s_or_saveexec_b64 s[24:25], s[24:25]
	v_mov_b32_e32 v24, v20
	v_mov_b32_e32 v23, v19
	s_xor_b64 exec, exec, s[24:25]
	s_cbranch_execz .LBB148_218
; %bb.217:                              ;   in Loop: Header=BB148_2 Depth=1
	s_waitcnt lgkmcnt(0)
	v_lshlrev_b32_e32 v21, 3, v25
	ds_read_b64 v[23:24], v21 offset:8
	v_mov_b32_e32 v22, v18
	v_mov_b32_e32 v21, v17
.LBB148_218:                            ;   in Loop: Header=BB148_2 Depth=1
	s_or_b64 exec, exec, s[24:25]
	v_add_u32_e32 v28, 1, v26
	v_add_u32_e32 v27, 1, v25
	v_cndmask_b32_e64 v30, v28, v26, s[22:23]
	s_waitcnt lgkmcnt(0)
	v_cmp_lt_i64_e64 s[26:27], v[23:24], v[21:22]
	v_cndmask_b32_e64 v29, v25, v27, s[22:23]
	v_cmp_ge_i32_e64 s[28:29], v30, v82
	v_cmp_lt_i32_e64 s[24:25], v29, v83
	s_or_b64 s[26:27], s[28:29], s[26:27]
	s_and_b64 s[24:25], s[24:25], s[26:27]
	s_xor_b64 s[26:27], s[24:25], -1
                                        ; implicit-def: $vgpr25_vgpr26
	s_and_saveexec_b64 s[28:29], s[26:27]
	s_xor_b64 s[26:27], exec, s[28:29]
; %bb.219:                              ;   in Loop: Header=BB148_2 Depth=1
	v_lshlrev_b32_e32 v25, 3, v30
	ds_read_b64 v[25:26], v25 offset:8
; %bb.220:                              ;   in Loop: Header=BB148_2 Depth=1
	s_or_saveexec_b64 s[26:27], s[26:27]
	v_mov_b32_e32 v28, v24
	v_mov_b32_e32 v27, v23
	s_xor_b64 exec, exec, s[26:27]
	s_cbranch_execz .LBB148_222
; %bb.221:                              ;   in Loop: Header=BB148_2 Depth=1
	s_waitcnt lgkmcnt(0)
	v_lshlrev_b32_e32 v25, 3, v29
	ds_read_b64 v[27:28], v25 offset:8
	v_mov_b32_e32 v26, v22
	v_mov_b32_e32 v25, v21
.LBB148_222:                            ;   in Loop: Header=BB148_2 Depth=1
	s_or_b64 exec, exec, s[26:27]
	v_add_u32_e32 v32, 1, v30
	v_add_u32_e32 v31, 1, v29
	v_cndmask_b32_e64 v34, v32, v30, s[24:25]
	s_waitcnt lgkmcnt(0)
	v_cmp_lt_i64_e64 s[28:29], v[27:28], v[25:26]
	v_cndmask_b32_e64 v33, v29, v31, s[24:25]
	v_cmp_ge_i32_e64 s[30:31], v34, v82
	v_cmp_lt_i32_e64 s[26:27], v33, v83
	s_or_b64 s[28:29], s[30:31], s[28:29]
	s_and_b64 s[26:27], s[26:27], s[28:29]
	s_xor_b64 s[28:29], s[26:27], -1
                                        ; implicit-def: $vgpr29_vgpr30
	s_and_saveexec_b64 s[30:31], s[28:29]
	s_xor_b64 s[28:29], exec, s[30:31]
; %bb.223:                              ;   in Loop: Header=BB148_2 Depth=1
	v_lshlrev_b32_e32 v29, 3, v34
	ds_read_b64 v[29:30], v29 offset:8
; %bb.224:                              ;   in Loop: Header=BB148_2 Depth=1
	s_or_saveexec_b64 s[28:29], s[28:29]
	v_mov_b32_e32 v32, v28
	v_mov_b32_e32 v31, v27
	s_xor_b64 exec, exec, s[28:29]
	s_cbranch_execz .LBB148_226
; %bb.225:                              ;   in Loop: Header=BB148_2 Depth=1
	s_waitcnt lgkmcnt(0)
	v_lshlrev_b32_e32 v29, 3, v33
	ds_read_b64 v[31:32], v29 offset:8
	v_mov_b32_e32 v30, v26
	v_mov_b32_e32 v29, v25
.LBB148_226:                            ;   in Loop: Header=BB148_2 Depth=1
	s_or_b64 exec, exec, s[28:29]
	v_cndmask_b32_e64 v26, v26, v28, s[26:27]
	v_add_u32_e32 v28, 1, v34
	v_cndmask_b32_e64 v25, v25, v27, s[26:27]
	v_add_u32_e32 v27, 1, v33
	v_cndmask_b32_e64 v28, v28, v34, s[26:27]
	v_cndmask_b32_e64 v6, v6, v8, s[16:17]
	v_cndmask_b32_e64 v5, v5, v7, s[16:17]
	s_waitcnt lgkmcnt(0)
	v_cmp_lt_i64_e64 s[16:17], v[31:32], v[29:30]
	v_cndmask_b32_e64 v27, v33, v27, s[26:27]
	v_cndmask_b32_e64 v10, v10, v12, s[18:19]
	;; [unrolled: 1-line block ×3, first 2 shown]
	v_cmp_ge_i32_e64 s[18:19], v28, v82
	v_cndmask_b32_e64 v2, v2, v4, s[14:15]
	v_cndmask_b32_e64 v1, v1, v3, s[14:15]
	v_cmp_lt_i32_e64 s[14:15], v27, v83
	s_or_b64 s[16:17], s[18:19], s[16:17]
	s_and_b64 s[14:15], s[14:15], s[16:17]
	v_cndmask_b32_e64 v22, v22, v24, s[24:25]
	v_cndmask_b32_e64 v21, v21, v23, s[24:25]
	;; [unrolled: 1-line block ×8, first 2 shown]
	s_barrier
	ds_write2_b64 v37, v[1:2], v[5:6] offset1:1
	ds_write2_b64 v37, v[9:10], v[13:14] offset0:2 offset1:3
	ds_write2_b64 v37, v[17:18], v[21:22] offset0:4 offset1:5
	;; [unrolled: 1-line block ×3, first 2 shown]
	v_mov_b32_e32 v9, v88
	s_waitcnt lgkmcnt(0)
	s_barrier
	s_and_saveexec_b64 s[16:17], s[12:13]
	s_cbranch_execz .LBB148_230
; %bb.227:                              ;   in Loop: Header=BB148_2 Depth=1
	s_mov_b64 s[18:19], 0
	v_mov_b32_e32 v9, v88
	v_mov_b32_e32 v1, v89
.LBB148_228:                            ;   Parent Loop BB148_2 Depth=1
                                        ; =>  This Inner Loop Header: Depth=2
	v_sub_u32_e32 v2, v1, v9
	v_lshrrev_b32_e32 v2, 1, v2
	v_add_u32_e32 v6, v2, v9
	v_not_b32_e32 v3, v6
	v_lshlrev_b32_e32 v2, 3, v6
	v_lshl_add_u32 v4, v3, 3, v98
	ds_read_b64 v[2:3], v2
	ds_read_b64 v[4:5], v4
	v_add_u32_e32 v7, 1, v6
	s_waitcnt lgkmcnt(0)
	v_cmp_lt_i64_e64 s[14:15], v[4:5], v[2:3]
	v_cndmask_b32_e64 v1, v1, v6, s[14:15]
	v_cndmask_b32_e64 v9, v7, v9, s[14:15]
	v_cmp_ge_i32_e64 s[14:15], v9, v1
	s_or_b64 s[18:19], s[14:15], s[18:19]
	s_andn2_b64 exec, exec, s[18:19]
	s_cbranch_execnz .LBB148_228
; %bb.229:                              ;   in Loop: Header=BB148_2 Depth=1
	s_or_b64 exec, exec, s[18:19]
.LBB148_230:                            ;   in Loop: Header=BB148_2 Depth=1
	s_or_b64 exec, exec, s[16:17]
	v_sub_u32_e32 v10, v90, v9
	v_lshlrev_b32_e32 v7, 3, v9
	v_lshlrev_b32_e32 v11, 3, v10
	ds_read_b64 v[1:2], v7
	ds_read_b64 v[3:4], v11
	v_cmp_le_i32_e64 s[18:19], v80, v9
	v_cmp_gt_i32_e64 s[14:15], s33, v10
                                        ; implicit-def: $vgpr5_vgpr6
	s_waitcnt lgkmcnt(0)
	v_cmp_lt_i64_e64 s[16:17], v[3:4], v[1:2]
	s_or_b64 s[16:17], s[18:19], s[16:17]
	s_and_b64 s[14:15], s[14:15], s[16:17]
	s_xor_b64 s[16:17], s[14:15], -1
	s_and_saveexec_b64 s[18:19], s[16:17]
	s_xor_b64 s[16:17], exec, s[18:19]
; %bb.231:                              ;   in Loop: Header=BB148_2 Depth=1
	ds_read_b64 v[5:6], v7 offset:8
                                        ; implicit-def: $vgpr11
; %bb.232:                              ;   in Loop: Header=BB148_2 Depth=1
	s_or_saveexec_b64 s[16:17], s[16:17]
	v_mov_b32_e32 v8, v4
	v_mov_b32_e32 v7, v3
	s_xor_b64 exec, exec, s[16:17]
	s_cbranch_execz .LBB148_234
; %bb.233:                              ;   in Loop: Header=BB148_2 Depth=1
	ds_read_b64 v[7:8], v11 offset:8
	s_waitcnt lgkmcnt(1)
	v_mov_b32_e32 v6, v2
	v_mov_b32_e32 v5, v1
.LBB148_234:                            ;   in Loop: Header=BB148_2 Depth=1
	s_or_b64 exec, exec, s[16:17]
	v_add_u32_e32 v12, 1, v9
	v_add_u32_e32 v11, 1, v10
	v_cndmask_b32_e64 v14, v12, v9, s[14:15]
	s_waitcnt lgkmcnt(0)
	v_cmp_lt_i64_e64 s[18:19], v[7:8], v[5:6]
	v_cndmask_b32_e64 v13, v10, v11, s[14:15]
	v_cmp_ge_i32_e64 s[20:21], v14, v80
	v_cmp_gt_i32_e64 s[16:17], s33, v13
	s_or_b64 s[18:19], s[20:21], s[18:19]
	s_and_b64 s[16:17], s[16:17], s[18:19]
	s_xor_b64 s[18:19], s[16:17], -1
                                        ; implicit-def: $vgpr9_vgpr10
	s_and_saveexec_b64 s[20:21], s[18:19]
	s_xor_b64 s[18:19], exec, s[20:21]
; %bb.235:                              ;   in Loop: Header=BB148_2 Depth=1
	v_lshlrev_b32_e32 v9, 3, v14
	ds_read_b64 v[9:10], v9 offset:8
; %bb.236:                              ;   in Loop: Header=BB148_2 Depth=1
	s_or_saveexec_b64 s[18:19], s[18:19]
	v_mov_b32_e32 v12, v8
	v_mov_b32_e32 v11, v7
	s_xor_b64 exec, exec, s[18:19]
	s_cbranch_execz .LBB148_238
; %bb.237:                              ;   in Loop: Header=BB148_2 Depth=1
	s_waitcnt lgkmcnt(0)
	v_lshlrev_b32_e32 v9, 3, v13
	ds_read_b64 v[11:12], v9 offset:8
	v_mov_b32_e32 v10, v6
	v_mov_b32_e32 v9, v5
.LBB148_238:                            ;   in Loop: Header=BB148_2 Depth=1
	s_or_b64 exec, exec, s[18:19]
	v_add_u32_e32 v16, 1, v14
	v_add_u32_e32 v15, 1, v13
	v_cndmask_b32_e64 v14, v16, v14, s[16:17]
	s_waitcnt lgkmcnt(0)
	v_cmp_lt_i64_e64 s[20:21], v[11:12], v[9:10]
	v_cndmask_b32_e64 v13, v13, v15, s[16:17]
	v_cmp_ge_i32_e64 s[22:23], v14, v80
	v_cmp_gt_i32_e64 s[18:19], s33, v13
	s_or_b64 s[20:21], s[22:23], s[20:21]
	s_and_b64 s[18:19], s[18:19], s[20:21]
	s_xor_b64 s[20:21], s[18:19], -1
                                        ; implicit-def: $vgpr15_vgpr16
	s_and_saveexec_b64 s[22:23], s[20:21]
	s_xor_b64 s[20:21], exec, s[22:23]
; %bb.239:                              ;   in Loop: Header=BB148_2 Depth=1
	v_lshlrev_b32_e32 v15, 3, v14
	ds_read_b64 v[15:16], v15 offset:8
; %bb.240:                              ;   in Loop: Header=BB148_2 Depth=1
	s_or_saveexec_b64 s[20:21], s[20:21]
	v_mov_b32_e32 v20, v12
	v_mov_b32_e32 v19, v11
	s_xor_b64 exec, exec, s[20:21]
	s_cbranch_execz .LBB148_242
; %bb.241:                              ;   in Loop: Header=BB148_2 Depth=1
	s_waitcnt lgkmcnt(0)
	v_lshlrev_b32_e32 v15, 3, v13
	ds_read_b64 v[19:20], v15 offset:8
	v_mov_b32_e32 v16, v10
	v_mov_b32_e32 v15, v9
.LBB148_242:                            ;   in Loop: Header=BB148_2 Depth=1
	s_or_b64 exec, exec, s[20:21]
	v_add_u32_e32 v18, 1, v14
	v_add_u32_e32 v17, 1, v13
	v_cndmask_b32_e64 v14, v18, v14, s[18:19]
	s_waitcnt lgkmcnt(0)
	v_cmp_lt_i64_e64 s[22:23], v[19:20], v[15:16]
	v_cndmask_b32_e64 v13, v13, v17, s[18:19]
	v_cmp_ge_i32_e64 s[24:25], v14, v80
	v_cmp_gt_i32_e64 s[20:21], s33, v13
	s_or_b64 s[22:23], s[24:25], s[22:23]
	s_and_b64 s[20:21], s[20:21], s[22:23]
	s_xor_b64 s[22:23], s[20:21], -1
                                        ; implicit-def: $vgpr21_vgpr22
	s_and_saveexec_b64 s[24:25], s[22:23]
	s_xor_b64 s[22:23], exec, s[24:25]
; %bb.243:                              ;   in Loop: Header=BB148_2 Depth=1
	v_lshlrev_b32_e32 v17, 3, v14
	ds_read_b64 v[21:22], v17 offset:8
; %bb.244:                              ;   in Loop: Header=BB148_2 Depth=1
	s_or_saveexec_b64 s[22:23], s[22:23]
	v_mov_b32_e32 v24, v20
	v_mov_b32_e32 v23, v19
	s_xor_b64 exec, exec, s[22:23]
	s_cbranch_execz .LBB148_246
; %bb.245:                              ;   in Loop: Header=BB148_2 Depth=1
	v_lshlrev_b32_e32 v17, 3, v13
	ds_read_b64 v[23:24], v17 offset:8
	s_waitcnt lgkmcnt(1)
	v_mov_b32_e32 v22, v16
	v_mov_b32_e32 v21, v15
.LBB148_246:                            ;   in Loop: Header=BB148_2 Depth=1
	s_or_b64 exec, exec, s[22:23]
	v_add_u32_e32 v18, 1, v14
	v_add_u32_e32 v17, 1, v13
	v_cndmask_b32_e64 v14, v18, v14, s[20:21]
	s_waitcnt lgkmcnt(0)
	v_cmp_lt_i64_e64 s[24:25], v[23:24], v[21:22]
	v_cndmask_b32_e64 v13, v13, v17, s[20:21]
	v_cmp_ge_i32_e64 s[26:27], v14, v80
	v_cmp_gt_i32_e64 s[22:23], s33, v13
	s_or_b64 s[24:25], s[26:27], s[24:25]
	s_and_b64 s[22:23], s[22:23], s[24:25]
	s_xor_b64 s[24:25], s[22:23], -1
                                        ; implicit-def: $vgpr25_vgpr26
	s_and_saveexec_b64 s[26:27], s[24:25]
	s_xor_b64 s[24:25], exec, s[26:27]
; %bb.247:                              ;   in Loop: Header=BB148_2 Depth=1
	v_lshlrev_b32_e32 v17, 3, v14
	ds_read_b64 v[25:26], v17 offset:8
; %bb.248:                              ;   in Loop: Header=BB148_2 Depth=1
	s_or_saveexec_b64 s[24:25], s[24:25]
	v_mov_b32_e32 v28, v24
	v_mov_b32_e32 v27, v23
	s_xor_b64 exec, exec, s[24:25]
	s_cbranch_execz .LBB148_250
; %bb.249:                              ;   in Loop: Header=BB148_2 Depth=1
	v_lshlrev_b32_e32 v17, 3, v13
	ds_read_b64 v[27:28], v17 offset:8
	s_waitcnt lgkmcnt(1)
	v_mov_b32_e32 v26, v22
	v_mov_b32_e32 v25, v21
.LBB148_250:                            ;   in Loop: Header=BB148_2 Depth=1
	s_or_b64 exec, exec, s[24:25]
	v_add_u32_e32 v18, 1, v14
	v_add_u32_e32 v17, 1, v13
	v_cndmask_b32_e64 v14, v18, v14, s[22:23]
	s_waitcnt lgkmcnt(0)
	v_cmp_lt_i64_e64 s[26:27], v[27:28], v[25:26]
	v_cndmask_b32_e64 v13, v13, v17, s[22:23]
	v_cmp_ge_i32_e64 s[28:29], v14, v80
	v_cmp_gt_i32_e64 s[24:25], s33, v13
	s_or_b64 s[26:27], s[28:29], s[26:27]
	s_and_b64 s[24:25], s[24:25], s[26:27]
	s_xor_b64 s[26:27], s[24:25], -1
                                        ; implicit-def: $vgpr29_vgpr30
	s_and_saveexec_b64 s[28:29], s[26:27]
	s_xor_b64 s[26:27], exec, s[28:29]
; %bb.251:                              ;   in Loop: Header=BB148_2 Depth=1
	v_lshlrev_b32_e32 v17, 3, v14
	ds_read_b64 v[29:30], v17 offset:8
; %bb.252:                              ;   in Loop: Header=BB148_2 Depth=1
	s_or_saveexec_b64 s[26:27], s[26:27]
	v_mov_b32_e32 v32, v28
	v_mov_b32_e32 v31, v27
	s_xor_b64 exec, exec, s[26:27]
	s_cbranch_execz .LBB148_254
; %bb.253:                              ;   in Loop: Header=BB148_2 Depth=1
	v_lshlrev_b32_e32 v17, 3, v13
	ds_read_b64 v[31:32], v17 offset:8
	s_waitcnt lgkmcnt(1)
	v_mov_b32_e32 v30, v26
	v_mov_b32_e32 v29, v25
.LBB148_254:                            ;   in Loop: Header=BB148_2 Depth=1
	s_or_b64 exec, exec, s[26:27]
	v_add_u32_e32 v17, 1, v13
	v_add_u32_e32 v18, 1, v14
	v_cndmask_b32_e64 v99, v13, v17, s[24:25]
	v_cndmask_b32_e64 v13, v18, v14, s[24:25]
	s_waitcnt lgkmcnt(0)
	v_cmp_lt_i64_e64 s[28:29], v[31:32], v[29:30]
	v_cmp_ge_i32_e64 s[30:31], v13, v80
	v_cmp_gt_i32_e64 s[26:27], s33, v99
	s_or_b64 s[28:29], s[30:31], s[28:29]
	s_and_b64 s[26:27], s[26:27], s[28:29]
	s_xor_b64 s[28:29], s[26:27], -1
                                        ; implicit-def: $vgpr33_vgpr34
                                        ; implicit-def: $vgpr100
	s_and_saveexec_b64 s[30:31], s[28:29]
	s_xor_b64 s[28:29], exec, s[30:31]
; %bb.255:                              ;   in Loop: Header=BB148_2 Depth=1
	v_lshlrev_b32_e32 v14, 3, v13
	ds_read_b64 v[33:34], v14 offset:8
	v_add_u32_e32 v100, 1, v13
                                        ; implicit-def: $vgpr13
; %bb.256:                              ;   in Loop: Header=BB148_2 Depth=1
	s_or_saveexec_b64 s[28:29], s[28:29]
	v_mov_b32_e32 v36, v32
	v_mov_b32_e32 v35, v31
	s_xor_b64 exec, exec, s[28:29]
	s_cbranch_execz .LBB148_1
; %bb.257:                              ;   in Loop: Header=BB148_2 Depth=1
	v_lshlrev_b32_e32 v14, 3, v99
	ds_read_b64 v[35:36], v14 offset:8
	s_waitcnt lgkmcnt(1)
	v_mov_b32_e32 v34, v30
	v_add_u32_e32 v99, 1, v99
	v_mov_b32_e32 v100, v13
	v_mov_b32_e32 v33, v29
	s_branch .LBB148_1
.LBB148_258:
	s_add_u32 s0, s38, s40
	s_addc_u32 s1, s39, s41
	v_lshlrev_b32_e32 v0, 3, v0
	v_mov_b32_e32 v15, s1
	v_add_co_u32_e32 v16, vcc, s0, v0
	v_addc_co_u32_e32 v15, vcc, 0, v15, vcc
	global_store_dwordx2 v0, v[13:14], s[0:1]
	global_store_dwordx2 v0, v[17:18], s[0:1] offset:2048
	v_add_co_u32_e32 v13, vcc, 0x1000, v16
	v_addc_co_u32_e32 v14, vcc, 0, v15, vcc
	global_store_dwordx2 v[13:14], v[9:10], off
	global_store_dwordx2 v[13:14], v[11:12], off offset:2048
	v_add_co_u32_e32 v9, vcc, 0x2000, v16
	v_addc_co_u32_e32 v10, vcc, 0, v15, vcc
	global_store_dwordx2 v[9:10], v[3:4], off
	global_store_dwordx2 v[9:10], v[7:8], off offset:2048
	v_add_co_u32_e32 v3, vcc, 0x3000, v16
	v_addc_co_u32_e32 v4, vcc, 0, v15, vcc
	global_store_dwordx2 v[3:4], v[1:2], off
	global_store_dwordx2 v[3:4], v[5:6], off offset:2048
	s_endpgm
	.section	.rodata,"a",@progbits
	.p2align	6, 0x0
	.amdhsa_kernel _Z16sort_keys_kernelIxLj256ELj8EN10test_utils4lessELj10EEvPKT_PS2_T2_
		.amdhsa_group_segment_fixed_size 16392
		.amdhsa_private_segment_fixed_size 0
		.amdhsa_kernarg_size 20
		.amdhsa_user_sgpr_count 6
		.amdhsa_user_sgpr_private_segment_buffer 1
		.amdhsa_user_sgpr_dispatch_ptr 0
		.amdhsa_user_sgpr_queue_ptr 0
		.amdhsa_user_sgpr_kernarg_segment_ptr 1
		.amdhsa_user_sgpr_dispatch_id 0
		.amdhsa_user_sgpr_flat_scratch_init 0
		.amdhsa_user_sgpr_private_segment_size 0
		.amdhsa_uses_dynamic_stack 0
		.amdhsa_system_sgpr_private_segment_wavefront_offset 0
		.amdhsa_system_sgpr_workgroup_id_x 1
		.amdhsa_system_sgpr_workgroup_id_y 0
		.amdhsa_system_sgpr_workgroup_id_z 0
		.amdhsa_system_sgpr_workgroup_info 0
		.amdhsa_system_vgpr_workitem_id 0
		.amdhsa_next_free_vgpr 101
		.amdhsa_next_free_sgpr 98
		.amdhsa_reserve_vcc 1
		.amdhsa_reserve_flat_scratch 0
		.amdhsa_float_round_mode_32 0
		.amdhsa_float_round_mode_16_64 0
		.amdhsa_float_denorm_mode_32 3
		.amdhsa_float_denorm_mode_16_64 3
		.amdhsa_dx10_clamp 1
		.amdhsa_ieee_mode 1
		.amdhsa_fp16_overflow 0
		.amdhsa_exception_fp_ieee_invalid_op 0
		.amdhsa_exception_fp_denorm_src 0
		.amdhsa_exception_fp_ieee_div_zero 0
		.amdhsa_exception_fp_ieee_overflow 0
		.amdhsa_exception_fp_ieee_underflow 0
		.amdhsa_exception_fp_ieee_inexact 0
		.amdhsa_exception_int_div_zero 0
	.end_amdhsa_kernel
	.section	.text._Z16sort_keys_kernelIxLj256ELj8EN10test_utils4lessELj10EEvPKT_PS2_T2_,"axG",@progbits,_Z16sort_keys_kernelIxLj256ELj8EN10test_utils4lessELj10EEvPKT_PS2_T2_,comdat
.Lfunc_end148:
	.size	_Z16sort_keys_kernelIxLj256ELj8EN10test_utils4lessELj10EEvPKT_PS2_T2_, .Lfunc_end148-_Z16sort_keys_kernelIxLj256ELj8EN10test_utils4lessELj10EEvPKT_PS2_T2_
                                        ; -- End function
	.set _Z16sort_keys_kernelIxLj256ELj8EN10test_utils4lessELj10EEvPKT_PS2_T2_.num_vgpr, 101
	.set _Z16sort_keys_kernelIxLj256ELj8EN10test_utils4lessELj10EEvPKT_PS2_T2_.num_agpr, 0
	.set _Z16sort_keys_kernelIxLj256ELj8EN10test_utils4lessELj10EEvPKT_PS2_T2_.numbered_sgpr, 42
	.set _Z16sort_keys_kernelIxLj256ELj8EN10test_utils4lessELj10EEvPKT_PS2_T2_.num_named_barrier, 0
	.set _Z16sort_keys_kernelIxLj256ELj8EN10test_utils4lessELj10EEvPKT_PS2_T2_.private_seg_size, 0
	.set _Z16sort_keys_kernelIxLj256ELj8EN10test_utils4lessELj10EEvPKT_PS2_T2_.uses_vcc, 1
	.set _Z16sort_keys_kernelIxLj256ELj8EN10test_utils4lessELj10EEvPKT_PS2_T2_.uses_flat_scratch, 0
	.set _Z16sort_keys_kernelIxLj256ELj8EN10test_utils4lessELj10EEvPKT_PS2_T2_.has_dyn_sized_stack, 0
	.set _Z16sort_keys_kernelIxLj256ELj8EN10test_utils4lessELj10EEvPKT_PS2_T2_.has_recursion, 0
	.set _Z16sort_keys_kernelIxLj256ELj8EN10test_utils4lessELj10EEvPKT_PS2_T2_.has_indirect_call, 0
	.section	.AMDGPU.csdata,"",@progbits
; Kernel info:
; codeLenInByte = 13224
; TotalNumSgprs: 46
; NumVgprs: 101
; ScratchSize: 0
; MemoryBound: 0
; FloatMode: 240
; IeeeMode: 1
; LDSByteSize: 16392 bytes/workgroup (compile time only)
; SGPRBlocks: 12
; VGPRBlocks: 25
; NumSGPRsForWavesPerEU: 102
; NumVGPRsForWavesPerEU: 101
; Occupancy: 2
; WaveLimiterHint : 1
; COMPUTE_PGM_RSRC2:SCRATCH_EN: 0
; COMPUTE_PGM_RSRC2:USER_SGPR: 6
; COMPUTE_PGM_RSRC2:TRAP_HANDLER: 0
; COMPUTE_PGM_RSRC2:TGID_X_EN: 1
; COMPUTE_PGM_RSRC2:TGID_Y_EN: 0
; COMPUTE_PGM_RSRC2:TGID_Z_EN: 0
; COMPUTE_PGM_RSRC2:TIDIG_COMP_CNT: 0
	.section	.text._Z17sort_pairs_kernelIxLj256ELj8EN10test_utils4lessELj10EEvPKT_PS2_T2_,"axG",@progbits,_Z17sort_pairs_kernelIxLj256ELj8EN10test_utils4lessELj10EEvPKT_PS2_T2_,comdat
	.protected	_Z17sort_pairs_kernelIxLj256ELj8EN10test_utils4lessELj10EEvPKT_PS2_T2_ ; -- Begin function _Z17sort_pairs_kernelIxLj256ELj8EN10test_utils4lessELj10EEvPKT_PS2_T2_
	.globl	_Z17sort_pairs_kernelIxLj256ELj8EN10test_utils4lessELj10EEvPKT_PS2_T2_
	.p2align	8
	.type	_Z17sort_pairs_kernelIxLj256ELj8EN10test_utils4lessELj10EEvPKT_PS2_T2_,@function
_Z17sort_pairs_kernelIxLj256ELj8EN10test_utils4lessELj10EEvPKT_PS2_T2_: ; @_Z17sort_pairs_kernelIxLj256ELj8EN10test_utils4lessELj10EEvPKT_PS2_T2_
; %bb.0:
	s_load_dwordx4 s[0:3], s[4:5], 0x0
	s_lshl_b32 s94, s6, 11
	s_mov_b32 s95, 0
	s_lshl_b64 s[92:93], s[94:95], 3
                                        ; implicit-def: $vgpr127 : SGPR spill to VGPR lane
	v_lshlrev_b32_e32 v33, 3, v0
	s_waitcnt lgkmcnt(0)
	s_add_u32 s0, s0, s92
	v_writelane_b32 v127, s0, 0
	v_writelane_b32 v127, s1, 1
	;; [unrolled: 1-line block ×4, first 2 shown]
	s_addc_u32 s1, s1, s93
	v_mov_b32_e32 v1, s1
	v_add_co_u32_e32 v5, vcc, s0, v33
	v_addc_co_u32_e32 v6, vcc, 0, v1, vcc
	global_load_dwordx2 v[17:18], v33, s[0:1]
	global_load_dwordx2 v[19:20], v33, s[0:1] offset:2048
	s_movk_i32 s1, 0x2000
	v_add_co_u32_e32 v1, vcc, s1, v5
	v_addc_co_u32_e32 v2, vcc, 0, v6, vcc
	global_load_dwordx2 v[27:28], v[1:2], off offset:-4096
	s_movk_i32 s0, 0x1000
	v_add_co_u32_e32 v3, vcc, s0, v5
	v_addc_co_u32_e32 v4, vcc, 0, v6, vcc
	global_load_dwordx2 v[29:30], v[3:4], off offset:2048
	global_load_dwordx2 v[21:22], v[1:2], off
	global_load_dwordx2 v[23:24], v[1:2], off offset:2048
	s_movk_i32 s0, 0x3000
	v_add_co_u32_e32 v1, vcc, s0, v5
	v_addc_co_u32_e32 v2, vcc, 0, v6, vcc
	global_load_dwordx2 v[25:26], v[1:2], off
	global_load_dwordx2 v[31:32], v[1:2], off offset:2048
	v_and_b32_e32 v49, 0x7f0, v33
	v_and_b32_e32 v50, 0x7e0, v33
	v_or_b32_e32 v52, 8, v49
	v_add_u32_e32 v53, 16, v49
	v_or_b32_e32 v54, 16, v50
	v_and_b32_e32 v34, 8, v33
	v_and_b32_e32 v35, 24, v33
	v_add_u32_e32 v55, 32, v50
	v_sub_u32_e32 v2, v53, v52
	v_sub_u32_e32 v3, v54, v50
	v_sub_u32_e32 v1, v52, v49
	v_sub_u32_e32 v4, v55, v54
	v_sub_u32_e32 v5, v34, v2
	v_min_i32_e32 v57, v35, v3
	v_cmp_ge_i32_e32 vcc, v34, v2
	v_min_i32_e32 v56, v34, v1
	v_sub_u32_e32 v1, v35, v4
	v_cndmask_b32_e32 v58, 0, v5, vcc
	v_cmp_ge_i32_e32 vcc, v35, v4
	v_and_b32_e32 v51, 0x7c0, v33
	v_cndmask_b32_e32 v59, 0, v1, vcc
	v_or_b32_e32 v60, 32, v51
	v_add_u32_e32 v61, 64, v51
	v_and_b32_e32 v36, 56, v33
	v_sub_u32_e32 v38, v61, v60
	v_and_b32_e32 v64, 0x780, v33
	v_sub_u32_e32 v37, v60, v51
	v_sub_u32_e32 v39, v36, v38
	v_or_b32_e32 v65, 64, v64
	v_add_u32_e32 v66, 0x80, v64
	v_min_i32_e32 v63, v36, v37
	v_and_b32_e32 v37, 0x78, v33
	v_and_b32_e32 v69, 0x700, v33
	v_or_b32_e32 v70, 0x80, v69
	v_add_u32_e32 v71, 0x100, v69
	v_and_b32_e32 v74, 0x600, v33
	v_or_b32_e32 v75, 0x100, v74
	v_mov_b32_e32 v84, 0x400
	v_and_b32_e32 v79, 0x400, v33
	v_sub_u32_e64 v85, v33, v84 clamp
	v_min_i32_e32 v86, 0x400, v33
	v_add_u32_e32 v87, 0x400, v33
	v_add_u32_e32 v76, 0x200, v74
	v_or_b32_e32 v80, 0x200, v79
	v_add_u32_e32 v81, 0x400, v79
	v_lshlrev_b32_e32 v102, 6, v0
	v_cmp_lt_i32_e32 vcc, v58, v56
	v_cmp_lt_i32_e64 s[0:1], v59, v57
	v_cmp_lt_i32_e64 s[12:13], v85, v86
	v_add_u32_e32 v88, v52, v34
	v_add_u32_e32 v90, v54, v35
	;; [unrolled: 1-line block ×4, first 2 shown]
	s_movk_i32 s33, 0x800
	v_lshlrev_b32_e32 v103, 3, v49
	v_lshlrev_b32_e32 v104, 3, v50
	;; [unrolled: 1-line block ×6, first 2 shown]
	s_waitcnt vmcnt(7)
	v_add_co_u32_e64 v9, s[2:3], 1, v17
	v_addc_co_u32_e64 v10, s[2:3], 0, v18, s[2:3]
	s_waitcnt vmcnt(6)
	v_add_co_u32_e64 v11, s[2:3], 1, v19
	v_addc_co_u32_e64 v12, s[2:3], 0, v20, s[2:3]
	;; [unrolled: 3-line block ×8, first 2 shown]
	v_cmp_ge_i32_e64 s[2:3], v36, v38
	v_cndmask_b32_e64 v62, 0, v39, s[2:3]
	v_sub_u32_e32 v39, v66, v65
	v_sub_u32_e32 v38, v65, v64
	v_sub_u32_e32 v40, v37, v39
	v_cmp_ge_i32_e64 s[4:5], v37, v39
	v_cndmask_b32_e64 v67, 0, v40, s[4:5]
	v_min_i32_e32 v68, v37, v38
	v_and_b32_e32 v38, 0xf8, v33
	v_sub_u32_e32 v39, v70, v69
	v_sub_u32_e32 v40, v71, v70
	;; [unrolled: 1-line block ×3, first 2 shown]
	v_cmp_ge_i32_e64 s[6:7], v38, v40
	v_min_i32_e32 v73, v38, v39
	v_and_b32_e32 v39, 0x1f8, v33
	v_sub_u32_e32 v40, v75, v74
	v_min_i32_e32 v78, v39, v40
	v_and_b32_e32 v40, 0x3f8, v33
	v_lshlrev_b32_e32 v33, 3, v34
	v_lshl_add_u32 v89, v52, 3, v33
	v_lshlrev_b32_e32 v33, 3, v35
	v_lshl_add_u32 v91, v54, 3, v33
	v_lshlrev_b32_e32 v33, 3, v36
	v_cndmask_b32_e64 v72, 0, v41, s[6:7]
	v_sub_u32_e32 v41, v76, v75
	v_lshl_add_u32 v93, v60, 3, v33
	v_lshlrev_b32_e32 v33, 3, v37
	v_sub_u32_e32 v42, v39, v41
	v_cmp_ge_i32_e64 s[8:9], v39, v41
	v_sub_u32_e32 v41, v81, v80
	v_lshl_add_u32 v95, v65, 3, v33
	v_lshlrev_b32_e32 v33, 3, v38
	v_cndmask_b32_e64 v77, 0, v42, s[8:9]
	v_sub_u32_e32 v42, v40, v41
	v_cmp_ge_i32_e64 s[10:11], v40, v41
	v_sub_u32_e32 v41, v80, v79
	v_lshl_add_u32 v97, v70, 3, v33
	v_lshlrev_b32_e32 v33, 3, v39
	v_cndmask_b32_e64 v82, 0, v42, s[10:11]
	v_min_i32_e32 v83, v40, v41
	v_lshl_add_u32 v99, v75, 3, v33
	v_lshlrev_b32_e32 v33, 3, v40
	v_cmp_lt_i32_e64 s[2:3], v62, v63
	v_cmp_lt_i32_e64 s[4:5], v67, v68
	;; [unrolled: 1-line block ×5, first 2 shown]
	v_add_u32_e32 v96, v70, v38
	v_add_u32_e32 v98, v75, v39
	;; [unrolled: 1-line block ×3, first 2 shown]
	v_lshl_add_u32 v101, v80, 3, v33
	v_lshlrev_b32_e32 v109, 3, v79
	v_add_u32_e32 v110, 0x2000, v102
	s_branch .LBB149_2
.LBB149_1:                              ;   in Loop: Header=BB149_2 Depth=1
	s_or_b64 exec, exec, s[28:29]
	v_cndmask_b32_e64 v18, v18, v20, s[14:15]
	v_cndmask_b32_e64 v17, v17, v19, s[14:15]
	;; [unrolled: 1-line block ×7, first 2 shown]
	s_waitcnt lgkmcnt(0)
	v_cmp_lt_i64_e64 s[16:17], v[47:48], v[43:44]
	v_cndmask_b32_e64 v27, v25, v27, s[18:19]
	v_cndmask_b32_e64 v22, v34, v38, s[22:23]
	;; [unrolled: 1-line block ×3, first 2 shown]
	v_cmp_ge_i32_e64 s[18:19], v125, v84
	v_cndmask_b32_e64 v21, v33, v37, s[22:23]
	v_cndmask_b32_e64 v33, v118, v117, s[20:21]
	;; [unrolled: 1-line block ×3, first 2 shown]
	v_cmp_gt_i32_e64 s[14:15], s33, v124
	s_or_b64 s[16:17], s[18:19], s[16:17]
	v_cndmask_b32_e64 v29, v29, v31, s[20:21]
	v_cndmask_b32_e64 v25, v122, v121, s[26:27]
	;; [unrolled: 1-line block ×3, first 2 shown]
	s_and_b64 s[14:15], s[14:15], s[16:17]
	s_barrier
	ds_write2_b64 v102, v[9:10], v[13:14] offset1:1
	ds_write2_b64 v102, v[1:2], v[5:6] offset0:2 offset1:3
	ds_write2_b64 v102, v[11:12], v[15:16] offset0:4 offset1:5
	;; [unrolled: 1-line block ×3, first 2 shown]
	v_lshlrev_b32_e32 v1, 3, v37
	v_lshlrev_b32_e32 v2, 3, v36
	;; [unrolled: 1-line block ×4, first 2 shown]
	v_cndmask_b32_e64 v38, v125, v124, s[14:15]
	s_waitcnt lgkmcnt(0)
	s_barrier
	ds_read_b64 v[9:10], v1
	ds_read_b64 v[11:12], v2
	ds_read_b64 v[3:4], v3
	ds_read_b64 v[7:8], v5
	v_lshlrev_b32_e32 v1, 3, v31
	v_lshlrev_b32_e32 v2, 3, v25
	;; [unrolled: 1-line block ×4, first 2 shown]
	ds_read_b64 v[15:16], v1
	ds_read_b64 v[13:14], v2
	;; [unrolled: 1-line block ×4, first 2 shown]
	s_add_i32 s95, s95, 1
	v_cndmask_b32_e64 v30, v30, v32, s[20:21]
	v_cndmask_b32_e64 v24, v42, v46, s[26:27]
	;; [unrolled: 1-line block ×5, first 2 shown]
	s_cmp_eq_u32 s95, 10
	v_cndmask_b32_e64 v31, v43, v47, s[14:15]
	s_cbranch_scc1 .LBB149_258
.LBB149_2:                              ; =>This Loop Header: Depth=1
                                        ;     Child Loop BB149_4 Depth 2
                                        ;     Child Loop BB149_36 Depth 2
	;; [unrolled: 1-line block ×8, first 2 shown]
	v_cmp_lt_i64_e64 s[14:15], v[19:20], v[17:18]
	v_cmp_lt_i64_e64 s[16:17], v[29:30], v[27:28]
	v_cmp_lt_i64_e64 s[18:19], v[23:24], v[21:22]
	v_cmp_lt_i64_e64 s[20:21], v[31:32], v[25:26]
	v_cndmask_b32_e64 v34, v18, v20, s[14:15]
	v_cndmask_b32_e64 v33, v17, v19, s[14:15]
	v_cndmask_b32_e64 v18, v20, v18, s[14:15]
	v_cndmask_b32_e64 v17, v19, v17, s[14:15]
	v_cndmask_b32_e64 v20, v30, v28, s[16:17]
	v_cndmask_b32_e64 v19, v29, v27, s[16:17]
	v_cndmask_b32_e64 v28, v28, v30, s[16:17]
	v_cndmask_b32_e64 v27, v27, v29, s[16:17]
	v_cndmask_b32_e64 v30, v24, v22, s[18:19]
	v_cndmask_b32_e64 v29, v23, v21, s[18:19]
	v_cndmask_b32_e64 v22, v22, v24, s[18:19]
	v_cndmask_b32_e64 v21, v21, v23, s[18:19]
	v_cndmask_b32_e64 v24, v32, v26, s[20:21]
	v_cndmask_b32_e64 v23, v31, v25, s[20:21]
	v_cndmask_b32_e64 v26, v26, v32, s[20:21]
	v_cndmask_b32_e64 v25, v25, v31, s[20:21]
	v_cmp_lt_i64_e64 s[22:23], v[27:28], v[17:18]
	v_cmp_lt_i64_e64 s[24:25], v[21:22], v[19:20]
	v_cmp_lt_i64_e64 s[26:27], v[25:26], v[29:30]
	v_cndmask_b32_e64 v32, v28, v18, s[22:23]
	v_cndmask_b32_e64 v31, v27, v17, s[22:23]
	v_cndmask_b32_e64 v18, v18, v28, s[22:23]
	v_cndmask_b32_e64 v17, v17, v27, s[22:23]
	v_cndmask_b32_e64 v28, v22, v20, s[24:25]
	v_cndmask_b32_e64 v27, v21, v19, s[24:25]
	v_cndmask_b32_e64 v20, v20, v22, s[24:25]
	v_cndmask_b32_e64 v19, v19, v21, s[24:25]
	v_cndmask_b32_e64 v22, v26, v30, s[26:27]
	v_cndmask_b32_e64 v21, v25, v29, s[26:27]
	v_cndmask_b32_e64 v26, v30, v26, s[26:27]
	v_cndmask_b32_e64 v25, v29, v25, s[26:27]
	v_cmp_lt_i64_e64 s[28:29], v[17:18], v[33:34]
	v_cmp_lt_i64_e64 s[30:31], v[19:20], v[31:32]
	v_cmp_lt_i64_e64 s[34:35], v[25:26], v[27:28]
	v_cmp_lt_i64_e64 s[36:37], v[23:24], v[21:22]
	v_cndmask_b32_e64 v30, v34, v18, s[28:29]
	v_cndmask_b32_e64 v29, v33, v17, s[28:29]
	v_cndmask_b32_e64 v18, v18, v34, s[28:29]
	v_cndmask_b32_e64 v17, v17, v33, s[28:29]
	v_cndmask_b32_e64 v34, v20, v32, s[30:31]
	v_cndmask_b32_e64 v33, v19, v31, s[30:31]
	v_cndmask_b32_e64 v20, v32, v20, s[30:31]
	v_cndmask_b32_e64 v19, v31, v19, s[30:31]
	v_cndmask_b32_e64 v32, v26, v28, s[34:35]
	v_cndmask_b32_e64 v31, v25, v27, s[34:35]
	v_cndmask_b32_e64 v26, v28, v26, s[34:35]
	v_cndmask_b32_e64 v25, v27, v25, s[34:35]
	v_cndmask_b32_e64 v28, v24, v22, s[36:37]
	v_cndmask_b32_e64 v27, v23, v21, s[36:37]
	v_cndmask_b32_e64 v22, v22, v24, s[36:37]
	v_cndmask_b32_e64 v21, v21, v23, s[36:37]
	v_cmp_lt_i64_e64 s[38:39], v[19:20], v[17:18]
	v_cmp_lt_i64_e64 s[40:41], v[25:26], v[33:34]
	v_cmp_lt_i64_e64 s[42:43], v[21:22], v[31:32]
	v_cndmask_b32_e64 v24, v20, v18, s[38:39]
	v_cndmask_b32_e64 v23, v19, v17, s[38:39]
	v_cndmask_b32_e64 v18, v18, v20, s[38:39]
	v_cndmask_b32_e64 v17, v17, v19, s[38:39]
	v_cndmask_b32_e64 v20, v26, v34, s[40:41]
	v_cndmask_b32_e64 v19, v25, v33, s[40:41]
	v_cndmask_b32_e64 v26, v34, v26, s[40:41]
	v_cndmask_b32_e64 v25, v33, v25, s[40:41]
	v_cndmask_b32_e64 v34, v22, v32, s[42:43]
	v_cndmask_b32_e64 v33, v21, v31, s[42:43]
	v_cndmask_b32_e64 v22, v32, v22, s[42:43]
	v_cndmask_b32_e64 v21, v31, v21, s[42:43]
	v_cmp_lt_i64_e64 s[44:45], v[17:18], v[29:30]
	v_cmp_lt_i64_e64 s[46:47], v[25:26], v[23:24]
	v_cmp_lt_i64_e64 s[48:49], v[21:22], v[19:20]
	v_cmp_lt_i64_e64 s[50:51], v[27:28], v[33:34]
	v_cndmask_b32_e64 v32, v30, v18, s[44:45]
	v_cndmask_b32_e64 v31, v29, v17, s[44:45]
	v_cndmask_b32_e64 v18, v18, v30, s[44:45]
	v_cndmask_b32_e64 v17, v17, v29, s[44:45]
	v_cndmask_b32_e64 v30, v26, v24, s[46:47]
	v_cndmask_b32_e64 v29, v25, v23, s[46:47]
	v_cndmask_b32_e64 v24, v24, v26, s[46:47]
	v_cndmask_b32_e64 v23, v23, v25, s[46:47]
	v_cndmask_b32_e64 v26, v22, v20, s[48:49]
	v_cndmask_b32_e64 v25, v21, v19, s[48:49]
	v_cndmask_b32_e64 v20, v20, v22, s[48:49]
	v_cndmask_b32_e64 v19, v19, v21, s[48:49]
	v_cndmask_b32_e64 v22, v28, v34, s[50:51]
	v_cndmask_b32_e64 v21, v27, v33, s[50:51]
	v_cndmask_b32_e64 v28, v34, v28, s[50:51]
	v_cndmask_b32_e64 v27, v33, v27, s[50:51]
	v_cmp_lt_i64_e64 s[52:53], v[23:24], v[17:18]
	v_cmp_lt_i64_e64 s[54:55], v[19:20], v[29:30]
	v_cmp_lt_i64_e64 s[56:57], v[27:28], v[25:26]
	v_cndmask_b32_e64 v34, v24, v18, s[52:53]
	v_cndmask_b32_e64 v33, v23, v17, s[52:53]
	v_cndmask_b32_e64 v18, v18, v24, s[52:53]
	v_cndmask_b32_e64 v17, v17, v23, s[52:53]
	v_cndmask_b32_e64 v24, v20, v30, s[54:55]
	v_cndmask_b32_e64 v23, v19, v29, s[54:55]
	v_cndmask_b32_e64 v20, v30, v20, s[54:55]
	v_cndmask_b32_e64 v19, v29, v19, s[54:55]
	v_cndmask_b32_e64 v30, v28, v26, s[56:57]
	v_cndmask_b32_e64 v29, v27, v25, s[56:57]
	v_cndmask_b32_e64 v26, v26, v28, s[56:57]
	v_cndmask_b32_e64 v25, v25, v27, s[56:57]
	v_cmp_lt_i64_e64 s[58:59], v[17:18], v[31:32]
	v_cmp_lt_i64_e64 s[60:61], v[19:20], v[33:34]
	v_cmp_lt_i64_e64 s[62:63], v[25:26], v[23:24]
	v_cmp_lt_i64_e64 s[64:65], v[21:22], v[29:30]
	v_cndmask_b32_e64 v28, v18, v32, s[58:59]
	v_cndmask_b32_e64 v27, v17, v31, s[58:59]
	;; [unrolled: 1-line block ×14, first 2 shown]
	v_cmp_lt_i64_e64 s[66:67], v[19:20], v[27:28]
	v_cmp_lt_i64_e64 s[68:69], v[23:24], v[31:32]
	;; [unrolled: 1-line block ×3, first 2 shown]
	v_cndmask_b32_e64 v22, v22, v30, s[64:65]
	v_cndmask_b32_e64 v21, v21, v29, s[64:65]
	;; [unrolled: 1-line block ×14, first 2 shown]
	s_waitcnt lgkmcnt(0)
	s_barrier
	ds_write2_b64 v102, v[17:18], v[19:20] offset1:1
	ds_write2_b64 v102, v[29:30], v[23:24] offset0:2 offset1:3
	ds_write2_b64 v102, v[27:28], v[25:26] offset0:4 offset1:5
	;; [unrolled: 1-line block ×3, first 2 shown]
	v_mov_b32_e32 v21, v58
	s_waitcnt lgkmcnt(0)
	s_barrier
	s_and_saveexec_b64 s[74:75], vcc
	s_cbranch_execz .LBB149_6
; %bb.3:                                ;   in Loop: Header=BB149_2 Depth=1
	s_mov_b64 s[76:77], 0
	v_mov_b32_e32 v21, v58
	v_mov_b32_e32 v17, v56
.LBB149_4:                              ;   Parent Loop BB149_2 Depth=1
                                        ; =>  This Inner Loop Header: Depth=2
	v_sub_u32_e32 v18, v17, v21
	v_lshrrev_b32_e32 v18, 1, v18
	v_add_u32_e32 v20, v18, v21
	v_not_b32_e32 v19, v20
	v_lshl_add_u32 v18, v20, 3, v103
	v_lshl_add_u32 v22, v19, 3, v89
	ds_read_b64 v[18:19], v18
	ds_read_b64 v[22:23], v22
	v_add_u32_e32 v24, 1, v20
	s_waitcnt lgkmcnt(0)
	v_cmp_lt_i64_e64 s[72:73], v[22:23], v[18:19]
	v_cndmask_b32_e64 v17, v17, v20, s[72:73]
	v_cndmask_b32_e64 v21, v24, v21, s[72:73]
	v_cmp_ge_i32_e64 s[72:73], v21, v17
	s_or_b64 s[76:77], s[72:73], s[76:77]
	s_andn2_b64 exec, exec, s[76:77]
	s_cbranch_execnz .LBB149_4
; %bb.5:                                ;   in Loop: Header=BB149_2 Depth=1
	s_or_b64 exec, exec, s[76:77]
.LBB149_6:                              ;   in Loop: Header=BB149_2 Depth=1
	s_or_b64 exec, exec, s[74:75]
	v_sub_u32_e32 v111, v88, v21
	v_lshl_add_u32 v23, v21, 3, v103
	v_lshlrev_b32_e32 v25, 3, v111
	ds_read_b64 v[17:18], v23
	ds_read_b64 v[19:20], v25
	v_add_u32_e32 v112, v21, v49
	v_cmp_le_i32_e64 s[76:77], v52, v112
	v_cmp_gt_i32_e64 s[72:73], v53, v111
                                        ; implicit-def: $vgpr21_vgpr22
	s_waitcnt lgkmcnt(0)
	v_cmp_lt_i64_e64 s[74:75], v[19:20], v[17:18]
	s_or_b64 s[74:75], s[76:77], s[74:75]
	s_and_b64 s[72:73], s[72:73], s[74:75]
	s_xor_b64 s[74:75], s[72:73], -1
	s_and_saveexec_b64 s[76:77], s[74:75]
	s_xor_b64 s[74:75], exec, s[76:77]
; %bb.7:                                ;   in Loop: Header=BB149_2 Depth=1
	ds_read_b64 v[21:22], v23 offset:8
                                        ; implicit-def: $vgpr25
; %bb.8:                                ;   in Loop: Header=BB149_2 Depth=1
	s_or_saveexec_b64 s[74:75], s[74:75]
	v_mov_b32_e32 v24, v20
	v_mov_b32_e32 v23, v19
	s_xor_b64 exec, exec, s[74:75]
	s_cbranch_execz .LBB149_10
; %bb.9:                                ;   in Loop: Header=BB149_2 Depth=1
	ds_read_b64 v[23:24], v25 offset:8
	s_waitcnt lgkmcnt(1)
	v_mov_b32_e32 v22, v18
	v_mov_b32_e32 v21, v17
.LBB149_10:                             ;   in Loop: Header=BB149_2 Depth=1
	s_or_b64 exec, exec, s[74:75]
	v_add_u32_e32 v26, 1, v112
	v_add_u32_e32 v25, 1, v111
	v_cndmask_b32_e64 v114, v26, v112, s[72:73]
	s_waitcnt lgkmcnt(0)
	v_cmp_lt_i64_e64 s[76:77], v[23:24], v[21:22]
	v_cndmask_b32_e64 v113, v111, v25, s[72:73]
	v_cmp_ge_i32_e64 s[78:79], v114, v52
	v_cmp_lt_i32_e64 s[74:75], v113, v53
	s_or_b64 s[76:77], s[78:79], s[76:77]
	s_and_b64 s[74:75], s[74:75], s[76:77]
	s_xor_b64 s[76:77], s[74:75], -1
                                        ; implicit-def: $vgpr25_vgpr26
	s_and_saveexec_b64 s[78:79], s[76:77]
	s_xor_b64 s[76:77], exec, s[78:79]
; %bb.11:                               ;   in Loop: Header=BB149_2 Depth=1
	v_lshlrev_b32_e32 v25, 3, v114
	ds_read_b64 v[25:26], v25 offset:8
; %bb.12:                               ;   in Loop: Header=BB149_2 Depth=1
	s_or_saveexec_b64 s[76:77], s[76:77]
	v_mov_b32_e32 v28, v24
	v_mov_b32_e32 v27, v23
	s_xor_b64 exec, exec, s[76:77]
	s_cbranch_execz .LBB149_14
; %bb.13:                               ;   in Loop: Header=BB149_2 Depth=1
	s_waitcnt lgkmcnt(0)
	v_lshlrev_b32_e32 v25, 3, v113
	ds_read_b64 v[27:28], v25 offset:8
	v_mov_b32_e32 v26, v22
	v_mov_b32_e32 v25, v21
.LBB149_14:                             ;   in Loop: Header=BB149_2 Depth=1
	s_or_b64 exec, exec, s[76:77]
	v_add_u32_e32 v30, 1, v114
	v_add_u32_e32 v29, 1, v113
	v_cndmask_b32_e64 v116, v30, v114, s[74:75]
	s_waitcnt lgkmcnt(0)
	v_cmp_lt_i64_e64 s[78:79], v[27:28], v[25:26]
	v_cndmask_b32_e64 v115, v113, v29, s[74:75]
	v_cmp_ge_i32_e64 s[80:81], v116, v52
	v_cmp_lt_i32_e64 s[76:77], v115, v53
	s_or_b64 s[78:79], s[80:81], s[78:79]
	s_and_b64 s[76:77], s[76:77], s[78:79]
	s_xor_b64 s[78:79], s[76:77], -1
                                        ; implicit-def: $vgpr29_vgpr30
	s_and_saveexec_b64 s[80:81], s[78:79]
	s_xor_b64 s[78:79], exec, s[80:81]
; %bb.15:                               ;   in Loop: Header=BB149_2 Depth=1
	v_lshlrev_b32_e32 v29, 3, v116
	ds_read_b64 v[29:30], v29 offset:8
; %bb.16:                               ;   in Loop: Header=BB149_2 Depth=1
	s_or_saveexec_b64 s[78:79], s[78:79]
	v_mov_b32_e32 v32, v28
	v_mov_b32_e32 v31, v27
	s_xor_b64 exec, exec, s[78:79]
	s_cbranch_execz .LBB149_18
; %bb.17:                               ;   in Loop: Header=BB149_2 Depth=1
	s_waitcnt lgkmcnt(0)
	v_lshlrev_b32_e32 v29, 3, v115
	ds_read_b64 v[31:32], v29 offset:8
	v_mov_b32_e32 v30, v26
	v_mov_b32_e32 v29, v25
.LBB149_18:                             ;   in Loop: Header=BB149_2 Depth=1
	s_or_b64 exec, exec, s[78:79]
	v_add_u32_e32 v34, 1, v116
	v_add_u32_e32 v33, 1, v115
	v_cndmask_b32_e64 v118, v34, v116, s[76:77]
	s_waitcnt lgkmcnt(0)
	v_cmp_lt_i64_e64 s[80:81], v[31:32], v[29:30]
	v_cndmask_b32_e64 v117, v115, v33, s[76:77]
	v_cmp_ge_i32_e64 s[82:83], v118, v52
	v_cmp_lt_i32_e64 s[78:79], v117, v53
	s_or_b64 s[80:81], s[82:83], s[80:81]
	s_and_b64 s[78:79], s[78:79], s[80:81]
	s_xor_b64 s[80:81], s[78:79], -1
                                        ; implicit-def: $vgpr35_vgpr36
	s_and_saveexec_b64 s[82:83], s[80:81]
	s_xor_b64 s[80:81], exec, s[82:83]
; %bb.19:                               ;   in Loop: Header=BB149_2 Depth=1
	v_lshlrev_b32_e32 v33, 3, v118
	ds_read_b64 v[35:36], v33 offset:8
; %bb.20:                               ;   in Loop: Header=BB149_2 Depth=1
	s_or_saveexec_b64 s[80:81], s[80:81]
	v_mov_b32_e32 v40, v32
	v_mov_b32_e32 v39, v31
	s_xor_b64 exec, exec, s[80:81]
	s_cbranch_execz .LBB149_22
; %bb.21:                               ;   in Loop: Header=BB149_2 Depth=1
	v_lshlrev_b32_e32 v33, 3, v117
	ds_read_b64 v[39:40], v33 offset:8
	s_waitcnt lgkmcnt(1)
	v_mov_b32_e32 v36, v30
	v_mov_b32_e32 v35, v29
.LBB149_22:                             ;   in Loop: Header=BB149_2 Depth=1
	s_or_b64 exec, exec, s[80:81]
	v_add_u32_e32 v34, 1, v118
	v_add_u32_e32 v33, 1, v117
	v_cndmask_b32_e64 v120, v34, v118, s[78:79]
	s_waitcnt lgkmcnt(0)
	v_cmp_lt_i64_e64 s[82:83], v[39:40], v[35:36]
	v_cndmask_b32_e64 v119, v117, v33, s[78:79]
	v_cmp_ge_i32_e64 s[84:85], v120, v52
	v_cmp_lt_i32_e64 s[80:81], v119, v53
	s_or_b64 s[82:83], s[84:85], s[82:83]
	s_and_b64 s[80:81], s[80:81], s[82:83]
	s_xor_b64 s[82:83], s[80:81], -1
                                        ; implicit-def: $vgpr41_vgpr42
	s_and_saveexec_b64 s[84:85], s[82:83]
	s_xor_b64 s[82:83], exec, s[84:85]
; %bb.23:                               ;   in Loop: Header=BB149_2 Depth=1
	v_lshlrev_b32_e32 v33, 3, v120
	ds_read_b64 v[41:42], v33 offset:8
; %bb.24:                               ;   in Loop: Header=BB149_2 Depth=1
	s_or_saveexec_b64 s[82:83], s[82:83]
	v_mov_b32_e32 v44, v40
	v_mov_b32_e32 v43, v39
	s_xor_b64 exec, exec, s[82:83]
	s_cbranch_execz .LBB149_26
; %bb.25:                               ;   in Loop: Header=BB149_2 Depth=1
	v_lshlrev_b32_e32 v33, 3, v119
	ds_read_b64 v[43:44], v33 offset:8
	s_waitcnt lgkmcnt(1)
	v_mov_b32_e32 v42, v36
	v_mov_b32_e32 v41, v35
.LBB149_26:                             ;   in Loop: Header=BB149_2 Depth=1
	s_or_b64 exec, exec, s[82:83]
	v_add_u32_e32 v34, 1, v120
	v_add_u32_e32 v33, 1, v119
	v_cndmask_b32_e64 v122, v34, v120, s[80:81]
	s_waitcnt lgkmcnt(0)
	v_cmp_lt_i64_e64 s[84:85], v[43:44], v[41:42]
	v_cndmask_b32_e64 v121, v119, v33, s[80:81]
	v_cmp_ge_i32_e64 s[86:87], v122, v52
	v_cmp_lt_i32_e64 s[82:83], v121, v53
	s_or_b64 s[84:85], s[86:87], s[84:85]
	s_and_b64 s[82:83], s[82:83], s[84:85]
	s_xor_b64 s[84:85], s[82:83], -1
                                        ; implicit-def: $vgpr45_vgpr46
	s_and_saveexec_b64 s[86:87], s[84:85]
	s_xor_b64 s[84:85], exec, s[86:87]
; %bb.27:                               ;   in Loop: Header=BB149_2 Depth=1
	v_lshlrev_b32_e32 v33, 3, v122
	ds_read_b64 v[45:46], v33 offset:8
; %bb.28:                               ;   in Loop: Header=BB149_2 Depth=1
	s_or_saveexec_b64 s[84:85], s[84:85]
	v_mov_b32_e32 v48, v44
	v_mov_b32_e32 v47, v43
	s_xor_b64 exec, exec, s[84:85]
	s_cbranch_execz .LBB149_30
; %bb.29:                               ;   in Loop: Header=BB149_2 Depth=1
	v_lshlrev_b32_e32 v33, 3, v121
	ds_read_b64 v[47:48], v33 offset:8
	s_waitcnt lgkmcnt(1)
	v_mov_b32_e32 v46, v42
	v_mov_b32_e32 v45, v41
.LBB149_30:                             ;   in Loop: Header=BB149_2 Depth=1
	s_or_b64 exec, exec, s[84:85]
	v_add_u32_e32 v34, 1, v122
	v_add_u32_e32 v33, 1, v121
	v_cndmask_b32_e64 v124, v34, v122, s[82:83]
	s_waitcnt lgkmcnt(0)
	v_cmp_lt_i64_e64 s[86:87], v[47:48], v[45:46]
	v_cndmask_b32_e64 v123, v121, v33, s[82:83]
	v_cmp_ge_i32_e64 s[88:89], v124, v52
	v_cmp_lt_i32_e64 s[84:85], v123, v53
	s_or_b64 s[86:87], s[88:89], s[86:87]
	s_and_b64 s[84:85], s[84:85], s[86:87]
	s_xor_b64 s[86:87], s[84:85], -1
                                        ; implicit-def: $vgpr33_vgpr34
	s_and_saveexec_b64 s[88:89], s[86:87]
	s_xor_b64 s[86:87], exec, s[88:89]
; %bb.31:                               ;   in Loop: Header=BB149_2 Depth=1
	v_lshlrev_b32_e32 v33, 3, v124
	ds_read_b64 v[33:34], v33 offset:8
; %bb.32:                               ;   in Loop: Header=BB149_2 Depth=1
	s_or_saveexec_b64 s[86:87], s[86:87]
	v_mov_b32_e32 v37, v47
	v_mov_b32_e32 v38, v48
	s_xor_b64 exec, exec, s[86:87]
	s_cbranch_execz .LBB149_34
; %bb.33:                               ;   in Loop: Header=BB149_2 Depth=1
	s_waitcnt lgkmcnt(0)
	v_lshlrev_b32_e32 v33, 3, v123
	ds_read_b64 v[37:38], v33 offset:8
	v_mov_b32_e32 v33, v45
	v_mov_b32_e32 v34, v46
.LBB149_34:                             ;   in Loop: Header=BB149_2 Depth=1
	s_or_b64 exec, exec, s[86:87]
	v_cndmask_b32_e64 v18, v18, v20, s[72:73]
	v_cndmask_b32_e64 v17, v17, v19, s[72:73]
	;; [unrolled: 1-line block ×47, first 2 shown]
	v_add_u32_e32 v48, 1, v124
	v_cndmask_b32_e64 v15, v6, v4, s[38:39]
	v_cndmask_b32_e64 v16, v5, v3, s[38:39]
	;; [unrolled: 1-line block ×13, first 2 shown]
	v_add_u32_e32 v47, 1, v123
	v_cndmask_b32_e64 v48, v48, v124, s[84:85]
	v_cndmask_b32_e64 v13, v8, v3, s[44:45]
	v_cndmask_b32_e64 v14, v7, v4, s[44:45]
	v_cndmask_b32_e64 v3, v3, v8, s[44:45]
	v_cndmask_b32_e64 v4, v4, v7, s[44:45]
	v_cndmask_b32_e64 v7, v1, v16, s[46:47]
	v_cndmask_b32_e64 v8, v2, v15, s[46:47]
	v_cndmask_b32_e64 v1, v16, v1, s[46:47]
	v_cndmask_b32_e64 v2, v15, v2, s[46:47]
	v_cndmask_b32_e64 v15, v12, v6, s[48:49]
	v_cndmask_b32_e64 v16, v11, v5, s[48:49]
	v_cndmask_b32_e64 v5, v5, v11, s[48:49]
	v_cndmask_b32_e64 v6, v6, v12, s[48:49]
	s_waitcnt lgkmcnt(0)
	v_cmp_lt_i64_e64 s[16:17], v[37:38], v[33:34]
	v_cndmask_b32_e64 v47, v123, v47, s[84:85]
	v_cndmask_b32_e64 v30, v30, v32, s[78:79]
	;; [unrolled: 1-line block ×15, first 2 shown]
	v_cmp_ge_i32_e64 s[18:19], v48, v52
	v_cndmask_b32_e64 v7, v10, v16, s[56:57]
	v_cndmask_b32_e64 v8, v9, v15, s[56:57]
	;; [unrolled: 1-line block ×12, first 2 shown]
	v_cmp_lt_i32_e64 s[14:15], v47, v53
	s_or_b64 s[16:17], s[18:19], s[16:17]
	v_cndmask_b32_e64 v42, v42, v44, s[82:83]
	v_cndmask_b32_e64 v36, v36, v40, s[80:81]
	;; [unrolled: 1-line block ×20, first 2 shown]
	s_and_b64 s[14:15], s[14:15], s[16:17]
	v_cndmask_b32_e64 v123, v124, v123, s[84:85]
	v_cndmask_b32_e64 v41, v41, v43, s[82:83]
	;; [unrolled: 1-line block ×16, first 2 shown]
	s_barrier
	ds_write2_b64 v102, v[1:2], v[7:8] offset1:1
	ds_write2_b64 v102, v[5:6], v[11:12] offset0:2 offset1:3
	ds_write2_b64 v102, v[9:10], v[15:16] offset0:4 offset1:5
	;; [unrolled: 1-line block ×3, first 2 shown]
	v_lshlrev_b32_e32 v1, 3, v24
	v_lshlrev_b32_e32 v2, 3, v23
	;; [unrolled: 1-line block ×4, first 2 shown]
	s_waitcnt lgkmcnt(0)
	s_barrier
	ds_read_b64 v[9:10], v1
	ds_read_b64 v[13:14], v2
	;; [unrolled: 1-line block ×4, first 2 shown]
	v_lshlrev_b32_e32 v3, 3, v39
	v_lshlrev_b32_e32 v4, 3, v43
	;; [unrolled: 1-line block ×4, first 2 shown]
	ds_read_b64 v[11:12], v3
	ds_read_b64 v[15:16], v4
	;; [unrolled: 1-line block ×4, first 2 shown]
	v_cndmask_b32_e64 v20, v34, v38, s[14:15]
	v_cndmask_b32_e64 v19, v33, v37, s[14:15]
	s_waitcnt lgkmcnt(0)
	s_barrier
	ds_write2_b64 v102, v[17:18], v[21:22] offset1:1
	ds_write2_b64 v102, v[25:26], v[29:30] offset0:2 offset1:3
	ds_write2_b64 v102, v[35:36], v[41:42] offset0:4 offset1:5
	;; [unrolled: 1-line block ×3, first 2 shown]
	v_mov_b32_e32 v21, v59
	s_waitcnt lgkmcnt(0)
	s_barrier
	s_and_saveexec_b64 s[16:17], s[0:1]
	s_cbranch_execz .LBB149_38
; %bb.35:                               ;   in Loop: Header=BB149_2 Depth=1
	s_mov_b64 s[18:19], 0
	v_mov_b32_e32 v21, v59
	v_mov_b32_e32 v17, v57
.LBB149_36:                             ;   Parent Loop BB149_2 Depth=1
                                        ; =>  This Inner Loop Header: Depth=2
	v_sub_u32_e32 v18, v17, v21
	v_lshrrev_b32_e32 v18, 1, v18
	v_add_u32_e32 v20, v18, v21
	v_not_b32_e32 v19, v20
	v_lshl_add_u32 v18, v20, 3, v104
	v_lshl_add_u32 v22, v19, 3, v91
	ds_read_b64 v[18:19], v18
	ds_read_b64 v[22:23], v22
	v_add_u32_e32 v24, 1, v20
	s_waitcnt lgkmcnt(0)
	v_cmp_lt_i64_e64 s[14:15], v[22:23], v[18:19]
	v_cndmask_b32_e64 v17, v17, v20, s[14:15]
	v_cndmask_b32_e64 v21, v24, v21, s[14:15]
	v_cmp_ge_i32_e64 s[14:15], v21, v17
	s_or_b64 s[18:19], s[14:15], s[18:19]
	s_andn2_b64 exec, exec, s[18:19]
	s_cbranch_execnz .LBB149_36
; %bb.37:                               ;   in Loop: Header=BB149_2 Depth=1
	s_or_b64 exec, exec, s[18:19]
.LBB149_38:                             ;   in Loop: Header=BB149_2 Depth=1
	s_or_b64 exec, exec, s[16:17]
	v_sub_u32_e32 v111, v90, v21
	v_lshl_add_u32 v23, v21, 3, v104
	v_lshlrev_b32_e32 v25, 3, v111
	ds_read_b64 v[17:18], v23
	ds_read_b64 v[19:20], v25
	v_add_u32_e32 v112, v21, v50
	v_cmp_le_i32_e64 s[18:19], v54, v112
	v_cmp_gt_i32_e64 s[14:15], v55, v111
                                        ; implicit-def: $vgpr21_vgpr22
	s_waitcnt lgkmcnt(0)
	v_cmp_lt_i64_e64 s[16:17], v[19:20], v[17:18]
	s_or_b64 s[16:17], s[18:19], s[16:17]
	s_and_b64 s[14:15], s[14:15], s[16:17]
	s_xor_b64 s[16:17], s[14:15], -1
	s_and_saveexec_b64 s[18:19], s[16:17]
	s_xor_b64 s[16:17], exec, s[18:19]
; %bb.39:                               ;   in Loop: Header=BB149_2 Depth=1
	ds_read_b64 v[21:22], v23 offset:8
                                        ; implicit-def: $vgpr25
; %bb.40:                               ;   in Loop: Header=BB149_2 Depth=1
	s_or_saveexec_b64 s[16:17], s[16:17]
	v_mov_b32_e32 v24, v20
	v_mov_b32_e32 v23, v19
	s_xor_b64 exec, exec, s[16:17]
	s_cbranch_execz .LBB149_42
; %bb.41:                               ;   in Loop: Header=BB149_2 Depth=1
	ds_read_b64 v[23:24], v25 offset:8
	s_waitcnt lgkmcnt(1)
	v_mov_b32_e32 v22, v18
	v_mov_b32_e32 v21, v17
.LBB149_42:                             ;   in Loop: Header=BB149_2 Depth=1
	s_or_b64 exec, exec, s[16:17]
	v_add_u32_e32 v26, 1, v112
	v_add_u32_e32 v25, 1, v111
	v_cndmask_b32_e64 v114, v26, v112, s[14:15]
	s_waitcnt lgkmcnt(0)
	v_cmp_lt_i64_e64 s[18:19], v[23:24], v[21:22]
	v_cndmask_b32_e64 v113, v111, v25, s[14:15]
	v_cmp_ge_i32_e64 s[20:21], v114, v54
	v_cmp_lt_i32_e64 s[16:17], v113, v55
	s_or_b64 s[18:19], s[20:21], s[18:19]
	s_and_b64 s[16:17], s[16:17], s[18:19]
	s_xor_b64 s[18:19], s[16:17], -1
                                        ; implicit-def: $vgpr25_vgpr26
	s_and_saveexec_b64 s[20:21], s[18:19]
	s_xor_b64 s[18:19], exec, s[20:21]
; %bb.43:                               ;   in Loop: Header=BB149_2 Depth=1
	v_lshlrev_b32_e32 v25, 3, v114
	ds_read_b64 v[25:26], v25 offset:8
; %bb.44:                               ;   in Loop: Header=BB149_2 Depth=1
	s_or_saveexec_b64 s[18:19], s[18:19]
	v_mov_b32_e32 v28, v24
	v_mov_b32_e32 v27, v23
	s_xor_b64 exec, exec, s[18:19]
	s_cbranch_execz .LBB149_46
; %bb.45:                               ;   in Loop: Header=BB149_2 Depth=1
	s_waitcnt lgkmcnt(0)
	v_lshlrev_b32_e32 v25, 3, v113
	ds_read_b64 v[27:28], v25 offset:8
	v_mov_b32_e32 v26, v22
	v_mov_b32_e32 v25, v21
.LBB149_46:                             ;   in Loop: Header=BB149_2 Depth=1
	s_or_b64 exec, exec, s[18:19]
	v_add_u32_e32 v30, 1, v114
	v_add_u32_e32 v29, 1, v113
	v_cndmask_b32_e64 v116, v30, v114, s[16:17]
	s_waitcnt lgkmcnt(0)
	v_cmp_lt_i64_e64 s[20:21], v[27:28], v[25:26]
	v_cndmask_b32_e64 v115, v113, v29, s[16:17]
	v_cmp_ge_i32_e64 s[22:23], v116, v54
	v_cmp_lt_i32_e64 s[18:19], v115, v55
	s_or_b64 s[20:21], s[22:23], s[20:21]
	s_and_b64 s[18:19], s[18:19], s[20:21]
	s_xor_b64 s[20:21], s[18:19], -1
                                        ; implicit-def: $vgpr29_vgpr30
	s_and_saveexec_b64 s[22:23], s[20:21]
	s_xor_b64 s[20:21], exec, s[22:23]
; %bb.47:                               ;   in Loop: Header=BB149_2 Depth=1
	v_lshlrev_b32_e32 v29, 3, v116
	ds_read_b64 v[29:30], v29 offset:8
; %bb.48:                               ;   in Loop: Header=BB149_2 Depth=1
	s_or_saveexec_b64 s[20:21], s[20:21]
	v_mov_b32_e32 v32, v28
	v_mov_b32_e32 v31, v27
	s_xor_b64 exec, exec, s[20:21]
	s_cbranch_execz .LBB149_50
; %bb.49:                               ;   in Loop: Header=BB149_2 Depth=1
	s_waitcnt lgkmcnt(0)
	v_lshlrev_b32_e32 v29, 3, v115
	ds_read_b64 v[31:32], v29 offset:8
	v_mov_b32_e32 v30, v26
	v_mov_b32_e32 v29, v25
.LBB149_50:                             ;   in Loop: Header=BB149_2 Depth=1
	s_or_b64 exec, exec, s[20:21]
	v_add_u32_e32 v34, 1, v116
	v_add_u32_e32 v33, 1, v115
	v_cndmask_b32_e64 v118, v34, v116, s[18:19]
	s_waitcnt lgkmcnt(0)
	v_cmp_lt_i64_e64 s[22:23], v[31:32], v[29:30]
	v_cndmask_b32_e64 v117, v115, v33, s[18:19]
	v_cmp_ge_i32_e64 s[24:25], v118, v54
	v_cmp_lt_i32_e64 s[20:21], v117, v55
	s_or_b64 s[22:23], s[24:25], s[22:23]
	s_and_b64 s[20:21], s[20:21], s[22:23]
	s_xor_b64 s[22:23], s[20:21], -1
                                        ; implicit-def: $vgpr33_vgpr34
	s_and_saveexec_b64 s[24:25], s[22:23]
	s_xor_b64 s[22:23], exec, s[24:25]
; %bb.51:                               ;   in Loop: Header=BB149_2 Depth=1
	v_lshlrev_b32_e32 v33, 3, v118
	ds_read_b64 v[33:34], v33 offset:8
; %bb.52:                               ;   in Loop: Header=BB149_2 Depth=1
	s_or_saveexec_b64 s[22:23], s[22:23]
	v_mov_b32_e32 v36, v32
	v_mov_b32_e32 v35, v31
	s_xor_b64 exec, exec, s[22:23]
	s_cbranch_execz .LBB149_54
; %bb.53:                               ;   in Loop: Header=BB149_2 Depth=1
	s_waitcnt lgkmcnt(0)
	v_lshlrev_b32_e32 v33, 3, v117
	ds_read_b64 v[35:36], v33 offset:8
	v_mov_b32_e32 v34, v30
	v_mov_b32_e32 v33, v29
.LBB149_54:                             ;   in Loop: Header=BB149_2 Depth=1
	s_or_b64 exec, exec, s[22:23]
	v_add_u32_e32 v38, 1, v118
	v_add_u32_e32 v37, 1, v117
	v_cndmask_b32_e64 v120, v38, v118, s[20:21]
	s_waitcnt lgkmcnt(0)
	v_cmp_lt_i64_e64 s[24:25], v[35:36], v[33:34]
	v_cndmask_b32_e64 v119, v117, v37, s[20:21]
	v_cmp_ge_i32_e64 s[26:27], v120, v54
	v_cmp_lt_i32_e64 s[22:23], v119, v55
	s_or_b64 s[24:25], s[26:27], s[24:25]
	s_and_b64 s[22:23], s[22:23], s[24:25]
	s_xor_b64 s[24:25], s[22:23], -1
                                        ; implicit-def: $vgpr37_vgpr38
	s_and_saveexec_b64 s[26:27], s[24:25]
	s_xor_b64 s[24:25], exec, s[26:27]
; %bb.55:                               ;   in Loop: Header=BB149_2 Depth=1
	v_lshlrev_b32_e32 v37, 3, v120
	ds_read_b64 v[37:38], v37 offset:8
; %bb.56:                               ;   in Loop: Header=BB149_2 Depth=1
	s_or_saveexec_b64 s[24:25], s[24:25]
	v_mov_b32_e32 v40, v36
	v_mov_b32_e32 v39, v35
	s_xor_b64 exec, exec, s[24:25]
	s_cbranch_execz .LBB149_58
; %bb.57:                               ;   in Loop: Header=BB149_2 Depth=1
	s_waitcnt lgkmcnt(0)
	v_lshlrev_b32_e32 v37, 3, v119
	ds_read_b64 v[39:40], v37 offset:8
	v_mov_b32_e32 v38, v34
	v_mov_b32_e32 v37, v33
.LBB149_58:                             ;   in Loop: Header=BB149_2 Depth=1
	s_or_b64 exec, exec, s[24:25]
	v_add_u32_e32 v42, 1, v120
	v_add_u32_e32 v41, 1, v119
	v_cndmask_b32_e64 v122, v42, v120, s[22:23]
	s_waitcnt lgkmcnt(0)
	v_cmp_lt_i64_e64 s[26:27], v[39:40], v[37:38]
	v_cndmask_b32_e64 v121, v119, v41, s[22:23]
	v_cmp_ge_i32_e64 s[28:29], v122, v54
	v_cmp_lt_i32_e64 s[24:25], v121, v55
	s_or_b64 s[26:27], s[28:29], s[26:27]
	s_and_b64 s[24:25], s[24:25], s[26:27]
	s_xor_b64 s[26:27], s[24:25], -1
                                        ; implicit-def: $vgpr41_vgpr42
	s_and_saveexec_b64 s[28:29], s[26:27]
	s_xor_b64 s[26:27], exec, s[28:29]
; %bb.59:                               ;   in Loop: Header=BB149_2 Depth=1
	v_lshlrev_b32_e32 v41, 3, v122
	ds_read_b64 v[41:42], v41 offset:8
; %bb.60:                               ;   in Loop: Header=BB149_2 Depth=1
	s_or_saveexec_b64 s[26:27], s[26:27]
	v_mov_b32_e32 v46, v40
	v_mov_b32_e32 v45, v39
	s_xor_b64 exec, exec, s[26:27]
	s_cbranch_execz .LBB149_62
; %bb.61:                               ;   in Loop: Header=BB149_2 Depth=1
	s_waitcnt lgkmcnt(0)
	v_lshlrev_b32_e32 v41, 3, v121
	ds_read_b64 v[45:46], v41 offset:8
	v_mov_b32_e32 v42, v38
	v_mov_b32_e32 v41, v37
.LBB149_62:                             ;   in Loop: Header=BB149_2 Depth=1
	s_or_b64 exec, exec, s[26:27]
	v_add_u32_e32 v44, 1, v122
	v_add_u32_e32 v43, 1, v121
	v_cndmask_b32_e64 v124, v44, v122, s[24:25]
	s_waitcnt lgkmcnt(0)
	v_cmp_lt_i64_e64 s[28:29], v[45:46], v[41:42]
	v_cndmask_b32_e64 v123, v121, v43, s[24:25]
	v_cmp_ge_i32_e64 s[30:31], v124, v54
	v_cmp_lt_i32_e64 s[26:27], v123, v55
	s_or_b64 s[28:29], s[30:31], s[28:29]
	s_and_b64 s[26:27], s[26:27], s[28:29]
	s_xor_b64 s[28:29], s[26:27], -1
                                        ; implicit-def: $vgpr43_vgpr44
	s_and_saveexec_b64 s[30:31], s[28:29]
	s_xor_b64 s[28:29], exec, s[30:31]
; %bb.63:                               ;   in Loop: Header=BB149_2 Depth=1
	v_lshlrev_b32_e32 v43, 3, v124
	ds_read_b64 v[43:44], v43 offset:8
; %bb.64:                               ;   in Loop: Header=BB149_2 Depth=1
	s_or_saveexec_b64 s[28:29], s[28:29]
	v_mov_b32_e32 v48, v46
	v_mov_b32_e32 v47, v45
	s_xor_b64 exec, exec, s[28:29]
	s_cbranch_execz .LBB149_66
; %bb.65:                               ;   in Loop: Header=BB149_2 Depth=1
	s_waitcnt lgkmcnt(0)
	v_lshlrev_b32_e32 v43, 3, v123
	ds_read_b64 v[47:48], v43 offset:8
	v_mov_b32_e32 v44, v42
	v_mov_b32_e32 v43, v41
.LBB149_66:                             ;   in Loop: Header=BB149_2 Depth=1
	s_or_b64 exec, exec, s[28:29]
	v_cndmask_b32_e64 v42, v42, v46, s[26:27]
	v_add_u32_e32 v46, 1, v124
	v_cndmask_b32_e64 v41, v41, v45, s[26:27]
	v_add_u32_e32 v45, 1, v123
	v_cndmask_b32_e64 v46, v46, v124, s[26:27]
	v_cndmask_b32_e64 v22, v22, v24, s[16:17]
	;; [unrolled: 1-line block ×4, first 2 shown]
	s_waitcnt lgkmcnt(0)
	v_cmp_lt_i64_e64 s[16:17], v[47:48], v[43:44]
	v_cndmask_b32_e64 v45, v123, v45, s[26:27]
	v_cndmask_b32_e64 v26, v26, v28, s[18:19]
	;; [unrolled: 1-line block ×4, first 2 shown]
	v_cmp_ge_i32_e64 s[18:19], v46, v54
	v_cndmask_b32_e64 v18, v18, v20, s[14:15]
	v_cndmask_b32_e64 v17, v17, v19, s[14:15]
	;; [unrolled: 1-line block ×3, first 2 shown]
	v_cmp_lt_i32_e64 s[14:15], v45, v55
	s_or_b64 s[16:17], s[18:19], s[16:17]
	v_cndmask_b32_e64 v29, v29, v31, s[20:21]
	v_cndmask_b32_e64 v31, v118, v117, s[20:21]
	s_and_b64 s[14:15], s[14:15], s[16:17]
	v_cndmask_b32_e64 v123, v124, v123, s[26:27]
	v_cndmask_b32_e64 v37, v37, v39, s[24:25]
	;; [unrolled: 1-line block ×6, first 2 shown]
	s_barrier
	ds_write2_b64 v102, v[9:10], v[13:14] offset1:1
	ds_write2_b64 v102, v[1:2], v[5:6] offset0:2 offset1:3
	ds_write2_b64 v102, v[11:12], v[15:16] offset0:4 offset1:5
	;; [unrolled: 1-line block ×3, first 2 shown]
	v_lshlrev_b32_e32 v1, 3, v24
	v_lshlrev_b32_e32 v2, 3, v23
	;; [unrolled: 1-line block ×4, first 2 shown]
	s_waitcnt lgkmcnt(0)
	s_barrier
	ds_read_b64 v[9:10], v1
	ds_read_b64 v[13:14], v2
	;; [unrolled: 1-line block ×4, first 2 shown]
	v_lshlrev_b32_e32 v3, 3, v35
	v_lshlrev_b32_e32 v4, 3, v39
	;; [unrolled: 1-line block ×4, first 2 shown]
	ds_read_b64 v[11:12], v3
	ds_read_b64 v[15:16], v4
	;; [unrolled: 1-line block ×4, first 2 shown]
	v_cndmask_b32_e64 v38, v38, v40, s[24:25]
	v_cndmask_b32_e64 v34, v34, v36, s[22:23]
	;; [unrolled: 1-line block ×5, first 2 shown]
	s_waitcnt lgkmcnt(0)
	s_barrier
	ds_write2_b64 v102, v[17:18], v[21:22] offset1:1
	ds_write2_b64 v102, v[25:26], v[29:30] offset0:2 offset1:3
	ds_write2_b64 v102, v[33:34], v[37:38] offset0:4 offset1:5
	;; [unrolled: 1-line block ×3, first 2 shown]
	v_mov_b32_e32 v21, v62
	s_waitcnt lgkmcnt(0)
	s_barrier
	s_and_saveexec_b64 s[16:17], s[2:3]
	s_cbranch_execz .LBB149_70
; %bb.67:                               ;   in Loop: Header=BB149_2 Depth=1
	s_mov_b64 s[18:19], 0
	v_mov_b32_e32 v21, v62
	v_mov_b32_e32 v17, v63
.LBB149_68:                             ;   Parent Loop BB149_2 Depth=1
                                        ; =>  This Inner Loop Header: Depth=2
	v_sub_u32_e32 v18, v17, v21
	v_lshrrev_b32_e32 v18, 1, v18
	v_add_u32_e32 v20, v18, v21
	v_not_b32_e32 v19, v20
	v_lshl_add_u32 v18, v20, 3, v105
	v_lshl_add_u32 v22, v19, 3, v93
	ds_read_b64 v[18:19], v18
	ds_read_b64 v[22:23], v22
	v_add_u32_e32 v24, 1, v20
	s_waitcnt lgkmcnt(0)
	v_cmp_lt_i64_e64 s[14:15], v[22:23], v[18:19]
	v_cndmask_b32_e64 v17, v17, v20, s[14:15]
	v_cndmask_b32_e64 v21, v24, v21, s[14:15]
	v_cmp_ge_i32_e64 s[14:15], v21, v17
	s_or_b64 s[18:19], s[14:15], s[18:19]
	s_andn2_b64 exec, exec, s[18:19]
	s_cbranch_execnz .LBB149_68
; %bb.69:                               ;   in Loop: Header=BB149_2 Depth=1
	s_or_b64 exec, exec, s[18:19]
.LBB149_70:                             ;   in Loop: Header=BB149_2 Depth=1
	s_or_b64 exec, exec, s[16:17]
	v_sub_u32_e32 v111, v92, v21
	v_lshl_add_u32 v23, v21, 3, v105
	v_lshlrev_b32_e32 v25, 3, v111
	ds_read_b64 v[17:18], v23
	ds_read_b64 v[19:20], v25
	v_add_u32_e32 v112, v21, v51
	v_cmp_le_i32_e64 s[18:19], v60, v112
	v_cmp_gt_i32_e64 s[14:15], v61, v111
                                        ; implicit-def: $vgpr21_vgpr22
	s_waitcnt lgkmcnt(0)
	v_cmp_lt_i64_e64 s[16:17], v[19:20], v[17:18]
	s_or_b64 s[16:17], s[18:19], s[16:17]
	s_and_b64 s[14:15], s[14:15], s[16:17]
	s_xor_b64 s[16:17], s[14:15], -1
	s_and_saveexec_b64 s[18:19], s[16:17]
	s_xor_b64 s[16:17], exec, s[18:19]
; %bb.71:                               ;   in Loop: Header=BB149_2 Depth=1
	ds_read_b64 v[21:22], v23 offset:8
                                        ; implicit-def: $vgpr25
; %bb.72:                               ;   in Loop: Header=BB149_2 Depth=1
	s_or_saveexec_b64 s[16:17], s[16:17]
	v_mov_b32_e32 v24, v20
	v_mov_b32_e32 v23, v19
	s_xor_b64 exec, exec, s[16:17]
	s_cbranch_execz .LBB149_74
; %bb.73:                               ;   in Loop: Header=BB149_2 Depth=1
	ds_read_b64 v[23:24], v25 offset:8
	s_waitcnt lgkmcnt(1)
	v_mov_b32_e32 v22, v18
	v_mov_b32_e32 v21, v17
.LBB149_74:                             ;   in Loop: Header=BB149_2 Depth=1
	s_or_b64 exec, exec, s[16:17]
	v_add_u32_e32 v26, 1, v112
	v_add_u32_e32 v25, 1, v111
	v_cndmask_b32_e64 v114, v26, v112, s[14:15]
	s_waitcnt lgkmcnt(0)
	v_cmp_lt_i64_e64 s[18:19], v[23:24], v[21:22]
	v_cndmask_b32_e64 v113, v111, v25, s[14:15]
	v_cmp_ge_i32_e64 s[20:21], v114, v60
	v_cmp_lt_i32_e64 s[16:17], v113, v61
	s_or_b64 s[18:19], s[20:21], s[18:19]
	s_and_b64 s[16:17], s[16:17], s[18:19]
	s_xor_b64 s[18:19], s[16:17], -1
                                        ; implicit-def: $vgpr25_vgpr26
	s_and_saveexec_b64 s[20:21], s[18:19]
	s_xor_b64 s[18:19], exec, s[20:21]
; %bb.75:                               ;   in Loop: Header=BB149_2 Depth=1
	v_lshlrev_b32_e32 v25, 3, v114
	ds_read_b64 v[25:26], v25 offset:8
; %bb.76:                               ;   in Loop: Header=BB149_2 Depth=1
	s_or_saveexec_b64 s[18:19], s[18:19]
	v_mov_b32_e32 v28, v24
	v_mov_b32_e32 v27, v23
	s_xor_b64 exec, exec, s[18:19]
	s_cbranch_execz .LBB149_78
; %bb.77:                               ;   in Loop: Header=BB149_2 Depth=1
	s_waitcnt lgkmcnt(0)
	v_lshlrev_b32_e32 v25, 3, v113
	ds_read_b64 v[27:28], v25 offset:8
	v_mov_b32_e32 v26, v22
	v_mov_b32_e32 v25, v21
.LBB149_78:                             ;   in Loop: Header=BB149_2 Depth=1
	s_or_b64 exec, exec, s[18:19]
	v_add_u32_e32 v30, 1, v114
	v_add_u32_e32 v29, 1, v113
	v_cndmask_b32_e64 v116, v30, v114, s[16:17]
	s_waitcnt lgkmcnt(0)
	v_cmp_lt_i64_e64 s[20:21], v[27:28], v[25:26]
	v_cndmask_b32_e64 v115, v113, v29, s[16:17]
	v_cmp_ge_i32_e64 s[22:23], v116, v60
	v_cmp_lt_i32_e64 s[18:19], v115, v61
	s_or_b64 s[20:21], s[22:23], s[20:21]
	s_and_b64 s[18:19], s[18:19], s[20:21]
	s_xor_b64 s[20:21], s[18:19], -1
                                        ; implicit-def: $vgpr29_vgpr30
	s_and_saveexec_b64 s[22:23], s[20:21]
	s_xor_b64 s[20:21], exec, s[22:23]
; %bb.79:                               ;   in Loop: Header=BB149_2 Depth=1
	v_lshlrev_b32_e32 v29, 3, v116
	ds_read_b64 v[29:30], v29 offset:8
; %bb.80:                               ;   in Loop: Header=BB149_2 Depth=1
	s_or_saveexec_b64 s[20:21], s[20:21]
	v_mov_b32_e32 v32, v28
	v_mov_b32_e32 v31, v27
	s_xor_b64 exec, exec, s[20:21]
	s_cbranch_execz .LBB149_82
; %bb.81:                               ;   in Loop: Header=BB149_2 Depth=1
	s_waitcnt lgkmcnt(0)
	v_lshlrev_b32_e32 v29, 3, v115
	ds_read_b64 v[31:32], v29 offset:8
	v_mov_b32_e32 v30, v26
	v_mov_b32_e32 v29, v25
.LBB149_82:                             ;   in Loop: Header=BB149_2 Depth=1
	s_or_b64 exec, exec, s[20:21]
	v_add_u32_e32 v34, 1, v116
	v_add_u32_e32 v33, 1, v115
	v_cndmask_b32_e64 v118, v34, v116, s[18:19]
	s_waitcnt lgkmcnt(0)
	v_cmp_lt_i64_e64 s[22:23], v[31:32], v[29:30]
	v_cndmask_b32_e64 v117, v115, v33, s[18:19]
	v_cmp_ge_i32_e64 s[24:25], v118, v60
	v_cmp_lt_i32_e64 s[20:21], v117, v61
	s_or_b64 s[22:23], s[24:25], s[22:23]
	s_and_b64 s[20:21], s[20:21], s[22:23]
	s_xor_b64 s[22:23], s[20:21], -1
                                        ; implicit-def: $vgpr33_vgpr34
	s_and_saveexec_b64 s[24:25], s[22:23]
	s_xor_b64 s[22:23], exec, s[24:25]
; %bb.83:                               ;   in Loop: Header=BB149_2 Depth=1
	v_lshlrev_b32_e32 v33, 3, v118
	ds_read_b64 v[33:34], v33 offset:8
; %bb.84:                               ;   in Loop: Header=BB149_2 Depth=1
	s_or_saveexec_b64 s[22:23], s[22:23]
	v_mov_b32_e32 v36, v32
	v_mov_b32_e32 v35, v31
	s_xor_b64 exec, exec, s[22:23]
	s_cbranch_execz .LBB149_86
; %bb.85:                               ;   in Loop: Header=BB149_2 Depth=1
	s_waitcnt lgkmcnt(0)
	v_lshlrev_b32_e32 v33, 3, v117
	ds_read_b64 v[35:36], v33 offset:8
	v_mov_b32_e32 v34, v30
	v_mov_b32_e32 v33, v29
.LBB149_86:                             ;   in Loop: Header=BB149_2 Depth=1
	s_or_b64 exec, exec, s[22:23]
	v_add_u32_e32 v38, 1, v118
	v_add_u32_e32 v37, 1, v117
	v_cndmask_b32_e64 v120, v38, v118, s[20:21]
	s_waitcnt lgkmcnt(0)
	v_cmp_lt_i64_e64 s[24:25], v[35:36], v[33:34]
	v_cndmask_b32_e64 v119, v117, v37, s[20:21]
	v_cmp_ge_i32_e64 s[26:27], v120, v60
	v_cmp_lt_i32_e64 s[22:23], v119, v61
	s_or_b64 s[24:25], s[26:27], s[24:25]
	s_and_b64 s[22:23], s[22:23], s[24:25]
	s_xor_b64 s[24:25], s[22:23], -1
                                        ; implicit-def: $vgpr37_vgpr38
	s_and_saveexec_b64 s[26:27], s[24:25]
	s_xor_b64 s[24:25], exec, s[26:27]
; %bb.87:                               ;   in Loop: Header=BB149_2 Depth=1
	v_lshlrev_b32_e32 v37, 3, v120
	ds_read_b64 v[37:38], v37 offset:8
; %bb.88:                               ;   in Loop: Header=BB149_2 Depth=1
	s_or_saveexec_b64 s[24:25], s[24:25]
	v_mov_b32_e32 v40, v36
	v_mov_b32_e32 v39, v35
	s_xor_b64 exec, exec, s[24:25]
	s_cbranch_execz .LBB149_90
; %bb.89:                               ;   in Loop: Header=BB149_2 Depth=1
	s_waitcnt lgkmcnt(0)
	v_lshlrev_b32_e32 v37, 3, v119
	ds_read_b64 v[39:40], v37 offset:8
	v_mov_b32_e32 v38, v34
	v_mov_b32_e32 v37, v33
.LBB149_90:                             ;   in Loop: Header=BB149_2 Depth=1
	s_or_b64 exec, exec, s[24:25]
	v_add_u32_e32 v42, 1, v120
	v_add_u32_e32 v41, 1, v119
	v_cndmask_b32_e64 v122, v42, v120, s[22:23]
	s_waitcnt lgkmcnt(0)
	v_cmp_lt_i64_e64 s[26:27], v[39:40], v[37:38]
	v_cndmask_b32_e64 v121, v119, v41, s[22:23]
	v_cmp_ge_i32_e64 s[28:29], v122, v60
	v_cmp_lt_i32_e64 s[24:25], v121, v61
	s_or_b64 s[26:27], s[28:29], s[26:27]
	s_and_b64 s[24:25], s[24:25], s[26:27]
	s_xor_b64 s[26:27], s[24:25], -1
                                        ; implicit-def: $vgpr41_vgpr42
	s_and_saveexec_b64 s[28:29], s[26:27]
	s_xor_b64 s[26:27], exec, s[28:29]
; %bb.91:                               ;   in Loop: Header=BB149_2 Depth=1
	v_lshlrev_b32_e32 v41, 3, v122
	ds_read_b64 v[41:42], v41 offset:8
; %bb.92:                               ;   in Loop: Header=BB149_2 Depth=1
	s_or_saveexec_b64 s[26:27], s[26:27]
	v_mov_b32_e32 v46, v40
	v_mov_b32_e32 v45, v39
	s_xor_b64 exec, exec, s[26:27]
	s_cbranch_execz .LBB149_94
; %bb.93:                               ;   in Loop: Header=BB149_2 Depth=1
	s_waitcnt lgkmcnt(0)
	v_lshlrev_b32_e32 v41, 3, v121
	ds_read_b64 v[45:46], v41 offset:8
	v_mov_b32_e32 v42, v38
	v_mov_b32_e32 v41, v37
.LBB149_94:                             ;   in Loop: Header=BB149_2 Depth=1
	s_or_b64 exec, exec, s[26:27]
	v_add_u32_e32 v44, 1, v122
	v_add_u32_e32 v43, 1, v121
	v_cndmask_b32_e64 v124, v44, v122, s[24:25]
	s_waitcnt lgkmcnt(0)
	v_cmp_lt_i64_e64 s[28:29], v[45:46], v[41:42]
	v_cndmask_b32_e64 v123, v121, v43, s[24:25]
	v_cmp_ge_i32_e64 s[30:31], v124, v60
	v_cmp_lt_i32_e64 s[26:27], v123, v61
	s_or_b64 s[28:29], s[30:31], s[28:29]
	s_and_b64 s[26:27], s[26:27], s[28:29]
	s_xor_b64 s[28:29], s[26:27], -1
                                        ; implicit-def: $vgpr43_vgpr44
	s_and_saveexec_b64 s[30:31], s[28:29]
	s_xor_b64 s[28:29], exec, s[30:31]
; %bb.95:                               ;   in Loop: Header=BB149_2 Depth=1
	v_lshlrev_b32_e32 v43, 3, v124
	ds_read_b64 v[43:44], v43 offset:8
; %bb.96:                               ;   in Loop: Header=BB149_2 Depth=1
	s_or_saveexec_b64 s[28:29], s[28:29]
	v_mov_b32_e32 v48, v46
	v_mov_b32_e32 v47, v45
	s_xor_b64 exec, exec, s[28:29]
	s_cbranch_execz .LBB149_98
; %bb.97:                               ;   in Loop: Header=BB149_2 Depth=1
	s_waitcnt lgkmcnt(0)
	v_lshlrev_b32_e32 v43, 3, v123
	ds_read_b64 v[47:48], v43 offset:8
	v_mov_b32_e32 v44, v42
	v_mov_b32_e32 v43, v41
.LBB149_98:                             ;   in Loop: Header=BB149_2 Depth=1
	s_or_b64 exec, exec, s[28:29]
	v_cndmask_b32_e64 v42, v42, v46, s[26:27]
	v_add_u32_e32 v46, 1, v124
	v_cndmask_b32_e64 v41, v41, v45, s[26:27]
	v_add_u32_e32 v45, 1, v123
	v_cndmask_b32_e64 v46, v46, v124, s[26:27]
	v_cndmask_b32_e64 v22, v22, v24, s[16:17]
	;; [unrolled: 1-line block ×4, first 2 shown]
	s_waitcnt lgkmcnt(0)
	v_cmp_lt_i64_e64 s[16:17], v[47:48], v[43:44]
	v_cndmask_b32_e64 v45, v123, v45, s[26:27]
	v_cndmask_b32_e64 v26, v26, v28, s[18:19]
	;; [unrolled: 1-line block ×4, first 2 shown]
	v_cmp_ge_i32_e64 s[18:19], v46, v60
	v_cndmask_b32_e64 v18, v18, v20, s[14:15]
	v_cndmask_b32_e64 v17, v17, v19, s[14:15]
	;; [unrolled: 1-line block ×3, first 2 shown]
	v_cmp_lt_i32_e64 s[14:15], v45, v61
	s_or_b64 s[16:17], s[18:19], s[16:17]
	v_cndmask_b32_e64 v29, v29, v31, s[20:21]
	v_cndmask_b32_e64 v31, v118, v117, s[20:21]
	s_and_b64 s[14:15], s[14:15], s[16:17]
	v_cndmask_b32_e64 v123, v124, v123, s[26:27]
	v_cndmask_b32_e64 v37, v37, v39, s[24:25]
	v_cndmask_b32_e64 v39, v122, v121, s[24:25]
	v_cndmask_b32_e64 v33, v33, v35, s[22:23]
	v_cndmask_b32_e64 v35, v120, v119, s[22:23]
	v_cndmask_b32_e64 v28, v46, v45, s[14:15]
	s_barrier
	ds_write2_b64 v102, v[9:10], v[13:14] offset1:1
	ds_write2_b64 v102, v[1:2], v[5:6] offset0:2 offset1:3
	ds_write2_b64 v102, v[11:12], v[15:16] offset0:4 offset1:5
	;; [unrolled: 1-line block ×3, first 2 shown]
	v_lshlrev_b32_e32 v1, 3, v24
	v_lshlrev_b32_e32 v2, 3, v23
	;; [unrolled: 1-line block ×4, first 2 shown]
	s_waitcnt lgkmcnt(0)
	s_barrier
	ds_read_b64 v[9:10], v1
	ds_read_b64 v[13:14], v2
	;; [unrolled: 1-line block ×4, first 2 shown]
	v_lshlrev_b32_e32 v3, 3, v35
	v_lshlrev_b32_e32 v4, 3, v39
	;; [unrolled: 1-line block ×4, first 2 shown]
	ds_read_b64 v[11:12], v3
	ds_read_b64 v[15:16], v4
	;; [unrolled: 1-line block ×4, first 2 shown]
	v_cndmask_b32_e64 v38, v38, v40, s[24:25]
	v_cndmask_b32_e64 v34, v34, v36, s[22:23]
	;; [unrolled: 1-line block ×5, first 2 shown]
	s_waitcnt lgkmcnt(0)
	s_barrier
	ds_write2_b64 v102, v[17:18], v[21:22] offset1:1
	ds_write2_b64 v102, v[25:26], v[29:30] offset0:2 offset1:3
	ds_write2_b64 v102, v[33:34], v[37:38] offset0:4 offset1:5
	;; [unrolled: 1-line block ×3, first 2 shown]
	v_mov_b32_e32 v21, v67
	s_waitcnt lgkmcnt(0)
	s_barrier
	s_and_saveexec_b64 s[16:17], s[4:5]
	s_cbranch_execz .LBB149_102
; %bb.99:                               ;   in Loop: Header=BB149_2 Depth=1
	s_mov_b64 s[18:19], 0
	v_mov_b32_e32 v21, v67
	v_mov_b32_e32 v17, v68
.LBB149_100:                            ;   Parent Loop BB149_2 Depth=1
                                        ; =>  This Inner Loop Header: Depth=2
	v_sub_u32_e32 v18, v17, v21
	v_lshrrev_b32_e32 v18, 1, v18
	v_add_u32_e32 v20, v18, v21
	v_not_b32_e32 v19, v20
	v_lshl_add_u32 v18, v20, 3, v106
	v_lshl_add_u32 v22, v19, 3, v95
	ds_read_b64 v[18:19], v18
	ds_read_b64 v[22:23], v22
	v_add_u32_e32 v24, 1, v20
	s_waitcnt lgkmcnt(0)
	v_cmp_lt_i64_e64 s[14:15], v[22:23], v[18:19]
	v_cndmask_b32_e64 v17, v17, v20, s[14:15]
	v_cndmask_b32_e64 v21, v24, v21, s[14:15]
	v_cmp_ge_i32_e64 s[14:15], v21, v17
	s_or_b64 s[18:19], s[14:15], s[18:19]
	s_andn2_b64 exec, exec, s[18:19]
	s_cbranch_execnz .LBB149_100
; %bb.101:                              ;   in Loop: Header=BB149_2 Depth=1
	s_or_b64 exec, exec, s[18:19]
.LBB149_102:                            ;   in Loop: Header=BB149_2 Depth=1
	s_or_b64 exec, exec, s[16:17]
	v_sub_u32_e32 v111, v94, v21
	v_lshl_add_u32 v23, v21, 3, v106
	v_lshlrev_b32_e32 v25, 3, v111
	ds_read_b64 v[17:18], v23
	ds_read_b64 v[19:20], v25
	v_add_u32_e32 v112, v21, v64
	v_cmp_le_i32_e64 s[18:19], v65, v112
	v_cmp_gt_i32_e64 s[14:15], v66, v111
                                        ; implicit-def: $vgpr21_vgpr22
	s_waitcnt lgkmcnt(0)
	v_cmp_lt_i64_e64 s[16:17], v[19:20], v[17:18]
	s_or_b64 s[16:17], s[18:19], s[16:17]
	s_and_b64 s[14:15], s[14:15], s[16:17]
	s_xor_b64 s[16:17], s[14:15], -1
	s_and_saveexec_b64 s[18:19], s[16:17]
	s_xor_b64 s[16:17], exec, s[18:19]
; %bb.103:                              ;   in Loop: Header=BB149_2 Depth=1
	ds_read_b64 v[21:22], v23 offset:8
                                        ; implicit-def: $vgpr25
; %bb.104:                              ;   in Loop: Header=BB149_2 Depth=1
	s_or_saveexec_b64 s[16:17], s[16:17]
	v_mov_b32_e32 v24, v20
	v_mov_b32_e32 v23, v19
	s_xor_b64 exec, exec, s[16:17]
	s_cbranch_execz .LBB149_106
; %bb.105:                              ;   in Loop: Header=BB149_2 Depth=1
	ds_read_b64 v[23:24], v25 offset:8
	s_waitcnt lgkmcnt(1)
	v_mov_b32_e32 v22, v18
	v_mov_b32_e32 v21, v17
.LBB149_106:                            ;   in Loop: Header=BB149_2 Depth=1
	s_or_b64 exec, exec, s[16:17]
	v_add_u32_e32 v26, 1, v112
	v_add_u32_e32 v25, 1, v111
	v_cndmask_b32_e64 v114, v26, v112, s[14:15]
	s_waitcnt lgkmcnt(0)
	v_cmp_lt_i64_e64 s[18:19], v[23:24], v[21:22]
	v_cndmask_b32_e64 v113, v111, v25, s[14:15]
	v_cmp_ge_i32_e64 s[20:21], v114, v65
	v_cmp_lt_i32_e64 s[16:17], v113, v66
	s_or_b64 s[18:19], s[20:21], s[18:19]
	s_and_b64 s[16:17], s[16:17], s[18:19]
	s_xor_b64 s[18:19], s[16:17], -1
                                        ; implicit-def: $vgpr25_vgpr26
	s_and_saveexec_b64 s[20:21], s[18:19]
	s_xor_b64 s[18:19], exec, s[20:21]
; %bb.107:                              ;   in Loop: Header=BB149_2 Depth=1
	v_lshlrev_b32_e32 v25, 3, v114
	ds_read_b64 v[25:26], v25 offset:8
; %bb.108:                              ;   in Loop: Header=BB149_2 Depth=1
	s_or_saveexec_b64 s[18:19], s[18:19]
	v_mov_b32_e32 v28, v24
	v_mov_b32_e32 v27, v23
	s_xor_b64 exec, exec, s[18:19]
	s_cbranch_execz .LBB149_110
; %bb.109:                              ;   in Loop: Header=BB149_2 Depth=1
	s_waitcnt lgkmcnt(0)
	v_lshlrev_b32_e32 v25, 3, v113
	ds_read_b64 v[27:28], v25 offset:8
	v_mov_b32_e32 v26, v22
	v_mov_b32_e32 v25, v21
.LBB149_110:                            ;   in Loop: Header=BB149_2 Depth=1
	s_or_b64 exec, exec, s[18:19]
	v_add_u32_e32 v30, 1, v114
	v_add_u32_e32 v29, 1, v113
	v_cndmask_b32_e64 v116, v30, v114, s[16:17]
	s_waitcnt lgkmcnt(0)
	v_cmp_lt_i64_e64 s[20:21], v[27:28], v[25:26]
	v_cndmask_b32_e64 v115, v113, v29, s[16:17]
	v_cmp_ge_i32_e64 s[22:23], v116, v65
	v_cmp_lt_i32_e64 s[18:19], v115, v66
	s_or_b64 s[20:21], s[22:23], s[20:21]
	s_and_b64 s[18:19], s[18:19], s[20:21]
	s_xor_b64 s[20:21], s[18:19], -1
                                        ; implicit-def: $vgpr29_vgpr30
	s_and_saveexec_b64 s[22:23], s[20:21]
	s_xor_b64 s[20:21], exec, s[22:23]
; %bb.111:                              ;   in Loop: Header=BB149_2 Depth=1
	v_lshlrev_b32_e32 v29, 3, v116
	ds_read_b64 v[29:30], v29 offset:8
; %bb.112:                              ;   in Loop: Header=BB149_2 Depth=1
	s_or_saveexec_b64 s[20:21], s[20:21]
	v_mov_b32_e32 v32, v28
	v_mov_b32_e32 v31, v27
	s_xor_b64 exec, exec, s[20:21]
	s_cbranch_execz .LBB149_114
; %bb.113:                              ;   in Loop: Header=BB149_2 Depth=1
	s_waitcnt lgkmcnt(0)
	v_lshlrev_b32_e32 v29, 3, v115
	ds_read_b64 v[31:32], v29 offset:8
	v_mov_b32_e32 v30, v26
	v_mov_b32_e32 v29, v25
.LBB149_114:                            ;   in Loop: Header=BB149_2 Depth=1
	s_or_b64 exec, exec, s[20:21]
	v_add_u32_e32 v34, 1, v116
	v_add_u32_e32 v33, 1, v115
	v_cndmask_b32_e64 v118, v34, v116, s[18:19]
	s_waitcnt lgkmcnt(0)
	v_cmp_lt_i64_e64 s[22:23], v[31:32], v[29:30]
	v_cndmask_b32_e64 v117, v115, v33, s[18:19]
	v_cmp_ge_i32_e64 s[24:25], v118, v65
	v_cmp_lt_i32_e64 s[20:21], v117, v66
	s_or_b64 s[22:23], s[24:25], s[22:23]
	s_and_b64 s[20:21], s[20:21], s[22:23]
	s_xor_b64 s[22:23], s[20:21], -1
                                        ; implicit-def: $vgpr33_vgpr34
	s_and_saveexec_b64 s[24:25], s[22:23]
	s_xor_b64 s[22:23], exec, s[24:25]
; %bb.115:                              ;   in Loop: Header=BB149_2 Depth=1
	v_lshlrev_b32_e32 v33, 3, v118
	ds_read_b64 v[33:34], v33 offset:8
; %bb.116:                              ;   in Loop: Header=BB149_2 Depth=1
	s_or_saveexec_b64 s[22:23], s[22:23]
	v_mov_b32_e32 v36, v32
	v_mov_b32_e32 v35, v31
	s_xor_b64 exec, exec, s[22:23]
	s_cbranch_execz .LBB149_118
; %bb.117:                              ;   in Loop: Header=BB149_2 Depth=1
	s_waitcnt lgkmcnt(0)
	v_lshlrev_b32_e32 v33, 3, v117
	ds_read_b64 v[35:36], v33 offset:8
	v_mov_b32_e32 v34, v30
	v_mov_b32_e32 v33, v29
.LBB149_118:                            ;   in Loop: Header=BB149_2 Depth=1
	s_or_b64 exec, exec, s[22:23]
	v_add_u32_e32 v38, 1, v118
	v_add_u32_e32 v37, 1, v117
	v_cndmask_b32_e64 v120, v38, v118, s[20:21]
	s_waitcnt lgkmcnt(0)
	v_cmp_lt_i64_e64 s[24:25], v[35:36], v[33:34]
	v_cndmask_b32_e64 v119, v117, v37, s[20:21]
	v_cmp_ge_i32_e64 s[26:27], v120, v65
	v_cmp_lt_i32_e64 s[22:23], v119, v66
	s_or_b64 s[24:25], s[26:27], s[24:25]
	s_and_b64 s[22:23], s[22:23], s[24:25]
	s_xor_b64 s[24:25], s[22:23], -1
                                        ; implicit-def: $vgpr37_vgpr38
	s_and_saveexec_b64 s[26:27], s[24:25]
	s_xor_b64 s[24:25], exec, s[26:27]
; %bb.119:                              ;   in Loop: Header=BB149_2 Depth=1
	v_lshlrev_b32_e32 v37, 3, v120
	ds_read_b64 v[37:38], v37 offset:8
; %bb.120:                              ;   in Loop: Header=BB149_2 Depth=1
	s_or_saveexec_b64 s[24:25], s[24:25]
	v_mov_b32_e32 v40, v36
	v_mov_b32_e32 v39, v35
	s_xor_b64 exec, exec, s[24:25]
	s_cbranch_execz .LBB149_122
; %bb.121:                              ;   in Loop: Header=BB149_2 Depth=1
	s_waitcnt lgkmcnt(0)
	v_lshlrev_b32_e32 v37, 3, v119
	ds_read_b64 v[39:40], v37 offset:8
	v_mov_b32_e32 v38, v34
	v_mov_b32_e32 v37, v33
.LBB149_122:                            ;   in Loop: Header=BB149_2 Depth=1
	s_or_b64 exec, exec, s[24:25]
	v_add_u32_e32 v42, 1, v120
	v_add_u32_e32 v41, 1, v119
	v_cndmask_b32_e64 v122, v42, v120, s[22:23]
	s_waitcnt lgkmcnt(0)
	v_cmp_lt_i64_e64 s[26:27], v[39:40], v[37:38]
	v_cndmask_b32_e64 v121, v119, v41, s[22:23]
	v_cmp_ge_i32_e64 s[28:29], v122, v65
	v_cmp_lt_i32_e64 s[24:25], v121, v66
	s_or_b64 s[26:27], s[28:29], s[26:27]
	s_and_b64 s[24:25], s[24:25], s[26:27]
	s_xor_b64 s[26:27], s[24:25], -1
                                        ; implicit-def: $vgpr41_vgpr42
	s_and_saveexec_b64 s[28:29], s[26:27]
	s_xor_b64 s[26:27], exec, s[28:29]
; %bb.123:                              ;   in Loop: Header=BB149_2 Depth=1
	v_lshlrev_b32_e32 v41, 3, v122
	ds_read_b64 v[41:42], v41 offset:8
; %bb.124:                              ;   in Loop: Header=BB149_2 Depth=1
	s_or_saveexec_b64 s[26:27], s[26:27]
	v_mov_b32_e32 v46, v40
	v_mov_b32_e32 v45, v39
	s_xor_b64 exec, exec, s[26:27]
	s_cbranch_execz .LBB149_126
; %bb.125:                              ;   in Loop: Header=BB149_2 Depth=1
	s_waitcnt lgkmcnt(0)
	v_lshlrev_b32_e32 v41, 3, v121
	ds_read_b64 v[45:46], v41 offset:8
	v_mov_b32_e32 v42, v38
	v_mov_b32_e32 v41, v37
.LBB149_126:                            ;   in Loop: Header=BB149_2 Depth=1
	s_or_b64 exec, exec, s[26:27]
	v_add_u32_e32 v44, 1, v122
	v_add_u32_e32 v43, 1, v121
	v_cndmask_b32_e64 v124, v44, v122, s[24:25]
	s_waitcnt lgkmcnt(0)
	v_cmp_lt_i64_e64 s[28:29], v[45:46], v[41:42]
	v_cndmask_b32_e64 v123, v121, v43, s[24:25]
	v_cmp_ge_i32_e64 s[30:31], v124, v65
	v_cmp_lt_i32_e64 s[26:27], v123, v66
	s_or_b64 s[28:29], s[30:31], s[28:29]
	s_and_b64 s[26:27], s[26:27], s[28:29]
	s_xor_b64 s[28:29], s[26:27], -1
                                        ; implicit-def: $vgpr43_vgpr44
	s_and_saveexec_b64 s[30:31], s[28:29]
	s_xor_b64 s[28:29], exec, s[30:31]
; %bb.127:                              ;   in Loop: Header=BB149_2 Depth=1
	v_lshlrev_b32_e32 v43, 3, v124
	ds_read_b64 v[43:44], v43 offset:8
; %bb.128:                              ;   in Loop: Header=BB149_2 Depth=1
	s_or_saveexec_b64 s[28:29], s[28:29]
	v_mov_b32_e32 v48, v46
	v_mov_b32_e32 v47, v45
	s_xor_b64 exec, exec, s[28:29]
	s_cbranch_execz .LBB149_130
; %bb.129:                              ;   in Loop: Header=BB149_2 Depth=1
	s_waitcnt lgkmcnt(0)
	v_lshlrev_b32_e32 v43, 3, v123
	ds_read_b64 v[47:48], v43 offset:8
	v_mov_b32_e32 v44, v42
	v_mov_b32_e32 v43, v41
.LBB149_130:                            ;   in Loop: Header=BB149_2 Depth=1
	s_or_b64 exec, exec, s[28:29]
	v_cndmask_b32_e64 v42, v42, v46, s[26:27]
	v_add_u32_e32 v46, 1, v124
	v_cndmask_b32_e64 v41, v41, v45, s[26:27]
	v_add_u32_e32 v45, 1, v123
	v_cndmask_b32_e64 v46, v46, v124, s[26:27]
	v_cndmask_b32_e64 v22, v22, v24, s[16:17]
	;; [unrolled: 1-line block ×4, first 2 shown]
	s_waitcnt lgkmcnt(0)
	v_cmp_lt_i64_e64 s[16:17], v[47:48], v[43:44]
	v_cndmask_b32_e64 v45, v123, v45, s[26:27]
	v_cndmask_b32_e64 v26, v26, v28, s[18:19]
	;; [unrolled: 1-line block ×4, first 2 shown]
	v_cmp_ge_i32_e64 s[18:19], v46, v65
	v_cndmask_b32_e64 v18, v18, v20, s[14:15]
	v_cndmask_b32_e64 v17, v17, v19, s[14:15]
	v_cndmask_b32_e64 v24, v112, v111, s[14:15]
	v_cmp_lt_i32_e64 s[14:15], v45, v66
	s_or_b64 s[16:17], s[18:19], s[16:17]
	v_cndmask_b32_e64 v29, v29, v31, s[20:21]
	v_cndmask_b32_e64 v31, v118, v117, s[20:21]
	s_and_b64 s[14:15], s[14:15], s[16:17]
	v_cndmask_b32_e64 v123, v124, v123, s[26:27]
	v_cndmask_b32_e64 v37, v37, v39, s[24:25]
	;; [unrolled: 1-line block ×6, first 2 shown]
	s_barrier
	ds_write2_b64 v102, v[9:10], v[13:14] offset1:1
	ds_write2_b64 v102, v[1:2], v[5:6] offset0:2 offset1:3
	ds_write2_b64 v102, v[11:12], v[15:16] offset0:4 offset1:5
	;; [unrolled: 1-line block ×3, first 2 shown]
	v_lshlrev_b32_e32 v1, 3, v24
	v_lshlrev_b32_e32 v2, 3, v23
	;; [unrolled: 1-line block ×4, first 2 shown]
	s_waitcnt lgkmcnt(0)
	s_barrier
	ds_read_b64 v[9:10], v1
	ds_read_b64 v[13:14], v2
	;; [unrolled: 1-line block ×4, first 2 shown]
	v_lshlrev_b32_e32 v3, 3, v35
	v_lshlrev_b32_e32 v4, 3, v39
	;; [unrolled: 1-line block ×4, first 2 shown]
	ds_read_b64 v[11:12], v3
	ds_read_b64 v[15:16], v4
	;; [unrolled: 1-line block ×4, first 2 shown]
	v_cndmask_b32_e64 v38, v38, v40, s[24:25]
	v_cndmask_b32_e64 v34, v34, v36, s[22:23]
	v_cndmask_b32_e64 v30, v30, v32, s[20:21]
	v_cndmask_b32_e64 v20, v44, v48, s[14:15]
	v_cndmask_b32_e64 v19, v43, v47, s[14:15]
	s_waitcnt lgkmcnt(0)
	s_barrier
	ds_write2_b64 v102, v[17:18], v[21:22] offset1:1
	ds_write2_b64 v102, v[25:26], v[29:30] offset0:2 offset1:3
	ds_write2_b64 v102, v[33:34], v[37:38] offset0:4 offset1:5
	;; [unrolled: 1-line block ×3, first 2 shown]
	v_mov_b32_e32 v21, v72
	s_waitcnt lgkmcnt(0)
	s_barrier
	s_and_saveexec_b64 s[16:17], s[6:7]
	s_cbranch_execz .LBB149_134
; %bb.131:                              ;   in Loop: Header=BB149_2 Depth=1
	s_mov_b64 s[18:19], 0
	v_mov_b32_e32 v21, v72
	v_mov_b32_e32 v17, v73
.LBB149_132:                            ;   Parent Loop BB149_2 Depth=1
                                        ; =>  This Inner Loop Header: Depth=2
	v_sub_u32_e32 v18, v17, v21
	v_lshrrev_b32_e32 v18, 1, v18
	v_add_u32_e32 v20, v18, v21
	v_not_b32_e32 v19, v20
	v_lshl_add_u32 v18, v20, 3, v107
	v_lshl_add_u32 v22, v19, 3, v97
	ds_read_b64 v[18:19], v18
	ds_read_b64 v[22:23], v22
	v_add_u32_e32 v24, 1, v20
	s_waitcnt lgkmcnt(0)
	v_cmp_lt_i64_e64 s[14:15], v[22:23], v[18:19]
	v_cndmask_b32_e64 v17, v17, v20, s[14:15]
	v_cndmask_b32_e64 v21, v24, v21, s[14:15]
	v_cmp_ge_i32_e64 s[14:15], v21, v17
	s_or_b64 s[18:19], s[14:15], s[18:19]
	s_andn2_b64 exec, exec, s[18:19]
	s_cbranch_execnz .LBB149_132
; %bb.133:                              ;   in Loop: Header=BB149_2 Depth=1
	s_or_b64 exec, exec, s[18:19]
.LBB149_134:                            ;   in Loop: Header=BB149_2 Depth=1
	s_or_b64 exec, exec, s[16:17]
	v_sub_u32_e32 v111, v96, v21
	v_lshl_add_u32 v23, v21, 3, v107
	v_lshlrev_b32_e32 v25, 3, v111
	ds_read_b64 v[17:18], v23
	ds_read_b64 v[19:20], v25
	v_add_u32_e32 v112, v21, v69
	v_cmp_le_i32_e64 s[18:19], v70, v112
	v_cmp_gt_i32_e64 s[14:15], v71, v111
                                        ; implicit-def: $vgpr21_vgpr22
	s_waitcnt lgkmcnt(0)
	v_cmp_lt_i64_e64 s[16:17], v[19:20], v[17:18]
	s_or_b64 s[16:17], s[18:19], s[16:17]
	s_and_b64 s[14:15], s[14:15], s[16:17]
	s_xor_b64 s[16:17], s[14:15], -1
	s_and_saveexec_b64 s[18:19], s[16:17]
	s_xor_b64 s[16:17], exec, s[18:19]
; %bb.135:                              ;   in Loop: Header=BB149_2 Depth=1
	ds_read_b64 v[21:22], v23 offset:8
                                        ; implicit-def: $vgpr25
; %bb.136:                              ;   in Loop: Header=BB149_2 Depth=1
	s_or_saveexec_b64 s[16:17], s[16:17]
	v_mov_b32_e32 v24, v20
	v_mov_b32_e32 v23, v19
	s_xor_b64 exec, exec, s[16:17]
	s_cbranch_execz .LBB149_138
; %bb.137:                              ;   in Loop: Header=BB149_2 Depth=1
	ds_read_b64 v[23:24], v25 offset:8
	s_waitcnt lgkmcnt(1)
	v_mov_b32_e32 v22, v18
	v_mov_b32_e32 v21, v17
.LBB149_138:                            ;   in Loop: Header=BB149_2 Depth=1
	s_or_b64 exec, exec, s[16:17]
	v_add_u32_e32 v26, 1, v112
	v_add_u32_e32 v25, 1, v111
	v_cndmask_b32_e64 v114, v26, v112, s[14:15]
	s_waitcnt lgkmcnt(0)
	v_cmp_lt_i64_e64 s[18:19], v[23:24], v[21:22]
	v_cndmask_b32_e64 v113, v111, v25, s[14:15]
	v_cmp_ge_i32_e64 s[20:21], v114, v70
	v_cmp_lt_i32_e64 s[16:17], v113, v71
	s_or_b64 s[18:19], s[20:21], s[18:19]
	s_and_b64 s[16:17], s[16:17], s[18:19]
	s_xor_b64 s[18:19], s[16:17], -1
                                        ; implicit-def: $vgpr25_vgpr26
	s_and_saveexec_b64 s[20:21], s[18:19]
	s_xor_b64 s[18:19], exec, s[20:21]
; %bb.139:                              ;   in Loop: Header=BB149_2 Depth=1
	v_lshlrev_b32_e32 v25, 3, v114
	ds_read_b64 v[25:26], v25 offset:8
; %bb.140:                              ;   in Loop: Header=BB149_2 Depth=1
	s_or_saveexec_b64 s[18:19], s[18:19]
	v_mov_b32_e32 v28, v24
	v_mov_b32_e32 v27, v23
	s_xor_b64 exec, exec, s[18:19]
	s_cbranch_execz .LBB149_142
; %bb.141:                              ;   in Loop: Header=BB149_2 Depth=1
	s_waitcnt lgkmcnt(0)
	v_lshlrev_b32_e32 v25, 3, v113
	ds_read_b64 v[27:28], v25 offset:8
	v_mov_b32_e32 v26, v22
	v_mov_b32_e32 v25, v21
.LBB149_142:                            ;   in Loop: Header=BB149_2 Depth=1
	s_or_b64 exec, exec, s[18:19]
	v_add_u32_e32 v30, 1, v114
	v_add_u32_e32 v29, 1, v113
	v_cndmask_b32_e64 v116, v30, v114, s[16:17]
	s_waitcnt lgkmcnt(0)
	v_cmp_lt_i64_e64 s[20:21], v[27:28], v[25:26]
	v_cndmask_b32_e64 v115, v113, v29, s[16:17]
	v_cmp_ge_i32_e64 s[22:23], v116, v70
	v_cmp_lt_i32_e64 s[18:19], v115, v71
	s_or_b64 s[20:21], s[22:23], s[20:21]
	s_and_b64 s[18:19], s[18:19], s[20:21]
	s_xor_b64 s[20:21], s[18:19], -1
                                        ; implicit-def: $vgpr29_vgpr30
	s_and_saveexec_b64 s[22:23], s[20:21]
	s_xor_b64 s[20:21], exec, s[22:23]
; %bb.143:                              ;   in Loop: Header=BB149_2 Depth=1
	v_lshlrev_b32_e32 v29, 3, v116
	ds_read_b64 v[29:30], v29 offset:8
; %bb.144:                              ;   in Loop: Header=BB149_2 Depth=1
	s_or_saveexec_b64 s[20:21], s[20:21]
	v_mov_b32_e32 v32, v28
	v_mov_b32_e32 v31, v27
	s_xor_b64 exec, exec, s[20:21]
	s_cbranch_execz .LBB149_146
; %bb.145:                              ;   in Loop: Header=BB149_2 Depth=1
	s_waitcnt lgkmcnt(0)
	v_lshlrev_b32_e32 v29, 3, v115
	ds_read_b64 v[31:32], v29 offset:8
	v_mov_b32_e32 v30, v26
	v_mov_b32_e32 v29, v25
.LBB149_146:                            ;   in Loop: Header=BB149_2 Depth=1
	s_or_b64 exec, exec, s[20:21]
	v_add_u32_e32 v34, 1, v116
	v_add_u32_e32 v33, 1, v115
	v_cndmask_b32_e64 v118, v34, v116, s[18:19]
	s_waitcnt lgkmcnt(0)
	v_cmp_lt_i64_e64 s[22:23], v[31:32], v[29:30]
	v_cndmask_b32_e64 v117, v115, v33, s[18:19]
	v_cmp_ge_i32_e64 s[24:25], v118, v70
	v_cmp_lt_i32_e64 s[20:21], v117, v71
	s_or_b64 s[22:23], s[24:25], s[22:23]
	s_and_b64 s[20:21], s[20:21], s[22:23]
	s_xor_b64 s[22:23], s[20:21], -1
                                        ; implicit-def: $vgpr33_vgpr34
	s_and_saveexec_b64 s[24:25], s[22:23]
	s_xor_b64 s[22:23], exec, s[24:25]
; %bb.147:                              ;   in Loop: Header=BB149_2 Depth=1
	v_lshlrev_b32_e32 v33, 3, v118
	ds_read_b64 v[33:34], v33 offset:8
; %bb.148:                              ;   in Loop: Header=BB149_2 Depth=1
	s_or_saveexec_b64 s[22:23], s[22:23]
	v_mov_b32_e32 v36, v32
	v_mov_b32_e32 v35, v31
	s_xor_b64 exec, exec, s[22:23]
	s_cbranch_execz .LBB149_150
; %bb.149:                              ;   in Loop: Header=BB149_2 Depth=1
	s_waitcnt lgkmcnt(0)
	v_lshlrev_b32_e32 v33, 3, v117
	ds_read_b64 v[35:36], v33 offset:8
	v_mov_b32_e32 v34, v30
	v_mov_b32_e32 v33, v29
.LBB149_150:                            ;   in Loop: Header=BB149_2 Depth=1
	s_or_b64 exec, exec, s[22:23]
	v_add_u32_e32 v38, 1, v118
	v_add_u32_e32 v37, 1, v117
	v_cndmask_b32_e64 v120, v38, v118, s[20:21]
	s_waitcnt lgkmcnt(0)
	v_cmp_lt_i64_e64 s[24:25], v[35:36], v[33:34]
	v_cndmask_b32_e64 v119, v117, v37, s[20:21]
	v_cmp_ge_i32_e64 s[26:27], v120, v70
	v_cmp_lt_i32_e64 s[22:23], v119, v71
	s_or_b64 s[24:25], s[26:27], s[24:25]
	s_and_b64 s[22:23], s[22:23], s[24:25]
	s_xor_b64 s[24:25], s[22:23], -1
                                        ; implicit-def: $vgpr37_vgpr38
	s_and_saveexec_b64 s[26:27], s[24:25]
	s_xor_b64 s[24:25], exec, s[26:27]
; %bb.151:                              ;   in Loop: Header=BB149_2 Depth=1
	v_lshlrev_b32_e32 v37, 3, v120
	ds_read_b64 v[37:38], v37 offset:8
; %bb.152:                              ;   in Loop: Header=BB149_2 Depth=1
	s_or_saveexec_b64 s[24:25], s[24:25]
	v_mov_b32_e32 v40, v36
	v_mov_b32_e32 v39, v35
	s_xor_b64 exec, exec, s[24:25]
	s_cbranch_execz .LBB149_154
; %bb.153:                              ;   in Loop: Header=BB149_2 Depth=1
	s_waitcnt lgkmcnt(0)
	v_lshlrev_b32_e32 v37, 3, v119
	ds_read_b64 v[39:40], v37 offset:8
	v_mov_b32_e32 v38, v34
	v_mov_b32_e32 v37, v33
.LBB149_154:                            ;   in Loop: Header=BB149_2 Depth=1
	s_or_b64 exec, exec, s[24:25]
	v_add_u32_e32 v42, 1, v120
	v_add_u32_e32 v41, 1, v119
	v_cndmask_b32_e64 v122, v42, v120, s[22:23]
	s_waitcnt lgkmcnt(0)
	v_cmp_lt_i64_e64 s[26:27], v[39:40], v[37:38]
	v_cndmask_b32_e64 v121, v119, v41, s[22:23]
	v_cmp_ge_i32_e64 s[28:29], v122, v70
	v_cmp_lt_i32_e64 s[24:25], v121, v71
	s_or_b64 s[26:27], s[28:29], s[26:27]
	s_and_b64 s[24:25], s[24:25], s[26:27]
	s_xor_b64 s[26:27], s[24:25], -1
                                        ; implicit-def: $vgpr41_vgpr42
	s_and_saveexec_b64 s[28:29], s[26:27]
	s_xor_b64 s[26:27], exec, s[28:29]
; %bb.155:                              ;   in Loop: Header=BB149_2 Depth=1
	v_lshlrev_b32_e32 v41, 3, v122
	ds_read_b64 v[41:42], v41 offset:8
; %bb.156:                              ;   in Loop: Header=BB149_2 Depth=1
	s_or_saveexec_b64 s[26:27], s[26:27]
	v_mov_b32_e32 v46, v40
	v_mov_b32_e32 v45, v39
	s_xor_b64 exec, exec, s[26:27]
	s_cbranch_execz .LBB149_158
; %bb.157:                              ;   in Loop: Header=BB149_2 Depth=1
	s_waitcnt lgkmcnt(0)
	v_lshlrev_b32_e32 v41, 3, v121
	ds_read_b64 v[45:46], v41 offset:8
	v_mov_b32_e32 v42, v38
	v_mov_b32_e32 v41, v37
.LBB149_158:                            ;   in Loop: Header=BB149_2 Depth=1
	s_or_b64 exec, exec, s[26:27]
	v_add_u32_e32 v44, 1, v122
	v_add_u32_e32 v43, 1, v121
	v_cndmask_b32_e64 v124, v44, v122, s[24:25]
	s_waitcnt lgkmcnt(0)
	v_cmp_lt_i64_e64 s[28:29], v[45:46], v[41:42]
	v_cndmask_b32_e64 v123, v121, v43, s[24:25]
	v_cmp_ge_i32_e64 s[30:31], v124, v70
	v_cmp_lt_i32_e64 s[26:27], v123, v71
	s_or_b64 s[28:29], s[30:31], s[28:29]
	s_and_b64 s[26:27], s[26:27], s[28:29]
	s_xor_b64 s[28:29], s[26:27], -1
                                        ; implicit-def: $vgpr43_vgpr44
	s_and_saveexec_b64 s[30:31], s[28:29]
	s_xor_b64 s[28:29], exec, s[30:31]
; %bb.159:                              ;   in Loop: Header=BB149_2 Depth=1
	v_lshlrev_b32_e32 v43, 3, v124
	ds_read_b64 v[43:44], v43 offset:8
; %bb.160:                              ;   in Loop: Header=BB149_2 Depth=1
	s_or_saveexec_b64 s[28:29], s[28:29]
	v_mov_b32_e32 v48, v46
	v_mov_b32_e32 v47, v45
	s_xor_b64 exec, exec, s[28:29]
	s_cbranch_execz .LBB149_162
; %bb.161:                              ;   in Loop: Header=BB149_2 Depth=1
	s_waitcnt lgkmcnt(0)
	v_lshlrev_b32_e32 v43, 3, v123
	ds_read_b64 v[47:48], v43 offset:8
	v_mov_b32_e32 v44, v42
	v_mov_b32_e32 v43, v41
.LBB149_162:                            ;   in Loop: Header=BB149_2 Depth=1
	s_or_b64 exec, exec, s[28:29]
	v_cndmask_b32_e64 v42, v42, v46, s[26:27]
	v_add_u32_e32 v46, 1, v124
	v_cndmask_b32_e64 v41, v41, v45, s[26:27]
	v_add_u32_e32 v45, 1, v123
	v_cndmask_b32_e64 v46, v46, v124, s[26:27]
	v_cndmask_b32_e64 v22, v22, v24, s[16:17]
	;; [unrolled: 1-line block ×4, first 2 shown]
	s_waitcnt lgkmcnt(0)
	v_cmp_lt_i64_e64 s[16:17], v[47:48], v[43:44]
	v_cndmask_b32_e64 v45, v123, v45, s[26:27]
	v_cndmask_b32_e64 v26, v26, v28, s[18:19]
	;; [unrolled: 1-line block ×4, first 2 shown]
	v_cmp_ge_i32_e64 s[18:19], v46, v70
	v_cndmask_b32_e64 v18, v18, v20, s[14:15]
	v_cndmask_b32_e64 v17, v17, v19, s[14:15]
	;; [unrolled: 1-line block ×3, first 2 shown]
	v_cmp_lt_i32_e64 s[14:15], v45, v71
	s_or_b64 s[16:17], s[18:19], s[16:17]
	v_cndmask_b32_e64 v29, v29, v31, s[20:21]
	v_cndmask_b32_e64 v31, v118, v117, s[20:21]
	s_and_b64 s[14:15], s[14:15], s[16:17]
	v_cndmask_b32_e64 v123, v124, v123, s[26:27]
	v_cndmask_b32_e64 v37, v37, v39, s[24:25]
	;; [unrolled: 1-line block ×6, first 2 shown]
	s_barrier
	ds_write2_b64 v102, v[9:10], v[13:14] offset1:1
	ds_write2_b64 v102, v[1:2], v[5:6] offset0:2 offset1:3
	ds_write2_b64 v102, v[11:12], v[15:16] offset0:4 offset1:5
	;; [unrolled: 1-line block ×3, first 2 shown]
	v_lshlrev_b32_e32 v1, 3, v24
	v_lshlrev_b32_e32 v2, 3, v23
	;; [unrolled: 1-line block ×4, first 2 shown]
	s_waitcnt lgkmcnt(0)
	s_barrier
	ds_read_b64 v[9:10], v1
	ds_read_b64 v[13:14], v2
	;; [unrolled: 1-line block ×4, first 2 shown]
	v_lshlrev_b32_e32 v3, 3, v35
	v_lshlrev_b32_e32 v4, 3, v39
	;; [unrolled: 1-line block ×4, first 2 shown]
	ds_read_b64 v[11:12], v3
	ds_read_b64 v[15:16], v4
	;; [unrolled: 1-line block ×4, first 2 shown]
	v_cndmask_b32_e64 v38, v38, v40, s[24:25]
	v_cndmask_b32_e64 v34, v34, v36, s[22:23]
	;; [unrolled: 1-line block ×5, first 2 shown]
	s_waitcnt lgkmcnt(0)
	s_barrier
	ds_write2_b64 v102, v[17:18], v[21:22] offset1:1
	ds_write2_b64 v102, v[25:26], v[29:30] offset0:2 offset1:3
	ds_write2_b64 v102, v[33:34], v[37:38] offset0:4 offset1:5
	;; [unrolled: 1-line block ×3, first 2 shown]
	v_mov_b32_e32 v21, v77
	s_waitcnt lgkmcnt(0)
	s_barrier
	s_and_saveexec_b64 s[16:17], s[8:9]
	s_cbranch_execz .LBB149_166
; %bb.163:                              ;   in Loop: Header=BB149_2 Depth=1
	s_mov_b64 s[18:19], 0
	v_mov_b32_e32 v21, v77
	v_mov_b32_e32 v17, v78
.LBB149_164:                            ;   Parent Loop BB149_2 Depth=1
                                        ; =>  This Inner Loop Header: Depth=2
	v_sub_u32_e32 v18, v17, v21
	v_lshrrev_b32_e32 v18, 1, v18
	v_add_u32_e32 v20, v18, v21
	v_not_b32_e32 v19, v20
	v_lshl_add_u32 v18, v20, 3, v108
	v_lshl_add_u32 v22, v19, 3, v99
	ds_read_b64 v[18:19], v18
	ds_read_b64 v[22:23], v22
	v_add_u32_e32 v24, 1, v20
	s_waitcnt lgkmcnt(0)
	v_cmp_lt_i64_e64 s[14:15], v[22:23], v[18:19]
	v_cndmask_b32_e64 v17, v17, v20, s[14:15]
	v_cndmask_b32_e64 v21, v24, v21, s[14:15]
	v_cmp_ge_i32_e64 s[14:15], v21, v17
	s_or_b64 s[18:19], s[14:15], s[18:19]
	s_andn2_b64 exec, exec, s[18:19]
	s_cbranch_execnz .LBB149_164
; %bb.165:                              ;   in Loop: Header=BB149_2 Depth=1
	s_or_b64 exec, exec, s[18:19]
.LBB149_166:                            ;   in Loop: Header=BB149_2 Depth=1
	s_or_b64 exec, exec, s[16:17]
	v_sub_u32_e32 v111, v98, v21
	v_lshl_add_u32 v23, v21, 3, v108
	v_lshlrev_b32_e32 v25, 3, v111
	ds_read_b64 v[17:18], v23
	ds_read_b64 v[19:20], v25
	v_add_u32_e32 v112, v21, v74
	v_cmp_le_i32_e64 s[18:19], v75, v112
	v_cmp_gt_i32_e64 s[14:15], v76, v111
                                        ; implicit-def: $vgpr21_vgpr22
	s_waitcnt lgkmcnt(0)
	v_cmp_lt_i64_e64 s[16:17], v[19:20], v[17:18]
	s_or_b64 s[16:17], s[18:19], s[16:17]
	s_and_b64 s[14:15], s[14:15], s[16:17]
	s_xor_b64 s[16:17], s[14:15], -1
	s_and_saveexec_b64 s[18:19], s[16:17]
	s_xor_b64 s[16:17], exec, s[18:19]
; %bb.167:                              ;   in Loop: Header=BB149_2 Depth=1
	ds_read_b64 v[21:22], v23 offset:8
                                        ; implicit-def: $vgpr25
; %bb.168:                              ;   in Loop: Header=BB149_2 Depth=1
	s_or_saveexec_b64 s[16:17], s[16:17]
	v_mov_b32_e32 v24, v20
	v_mov_b32_e32 v23, v19
	s_xor_b64 exec, exec, s[16:17]
	s_cbranch_execz .LBB149_170
; %bb.169:                              ;   in Loop: Header=BB149_2 Depth=1
	ds_read_b64 v[23:24], v25 offset:8
	s_waitcnt lgkmcnt(1)
	v_mov_b32_e32 v22, v18
	v_mov_b32_e32 v21, v17
.LBB149_170:                            ;   in Loop: Header=BB149_2 Depth=1
	s_or_b64 exec, exec, s[16:17]
	v_add_u32_e32 v26, 1, v112
	v_add_u32_e32 v25, 1, v111
	v_cndmask_b32_e64 v114, v26, v112, s[14:15]
	s_waitcnt lgkmcnt(0)
	v_cmp_lt_i64_e64 s[18:19], v[23:24], v[21:22]
	v_cndmask_b32_e64 v113, v111, v25, s[14:15]
	v_cmp_ge_i32_e64 s[20:21], v114, v75
	v_cmp_lt_i32_e64 s[16:17], v113, v76
	s_or_b64 s[18:19], s[20:21], s[18:19]
	s_and_b64 s[16:17], s[16:17], s[18:19]
	s_xor_b64 s[18:19], s[16:17], -1
                                        ; implicit-def: $vgpr25_vgpr26
	s_and_saveexec_b64 s[20:21], s[18:19]
	s_xor_b64 s[18:19], exec, s[20:21]
; %bb.171:                              ;   in Loop: Header=BB149_2 Depth=1
	v_lshlrev_b32_e32 v25, 3, v114
	ds_read_b64 v[25:26], v25 offset:8
; %bb.172:                              ;   in Loop: Header=BB149_2 Depth=1
	s_or_saveexec_b64 s[18:19], s[18:19]
	v_mov_b32_e32 v28, v24
	v_mov_b32_e32 v27, v23
	s_xor_b64 exec, exec, s[18:19]
	s_cbranch_execz .LBB149_174
; %bb.173:                              ;   in Loop: Header=BB149_2 Depth=1
	s_waitcnt lgkmcnt(0)
	v_lshlrev_b32_e32 v25, 3, v113
	ds_read_b64 v[27:28], v25 offset:8
	v_mov_b32_e32 v26, v22
	v_mov_b32_e32 v25, v21
.LBB149_174:                            ;   in Loop: Header=BB149_2 Depth=1
	s_or_b64 exec, exec, s[18:19]
	v_add_u32_e32 v30, 1, v114
	v_add_u32_e32 v29, 1, v113
	v_cndmask_b32_e64 v116, v30, v114, s[16:17]
	s_waitcnt lgkmcnt(0)
	v_cmp_lt_i64_e64 s[20:21], v[27:28], v[25:26]
	v_cndmask_b32_e64 v115, v113, v29, s[16:17]
	v_cmp_ge_i32_e64 s[22:23], v116, v75
	v_cmp_lt_i32_e64 s[18:19], v115, v76
	s_or_b64 s[20:21], s[22:23], s[20:21]
	s_and_b64 s[18:19], s[18:19], s[20:21]
	s_xor_b64 s[20:21], s[18:19], -1
                                        ; implicit-def: $vgpr29_vgpr30
	s_and_saveexec_b64 s[22:23], s[20:21]
	s_xor_b64 s[20:21], exec, s[22:23]
; %bb.175:                              ;   in Loop: Header=BB149_2 Depth=1
	v_lshlrev_b32_e32 v29, 3, v116
	ds_read_b64 v[29:30], v29 offset:8
; %bb.176:                              ;   in Loop: Header=BB149_2 Depth=1
	s_or_saveexec_b64 s[20:21], s[20:21]
	v_mov_b32_e32 v32, v28
	v_mov_b32_e32 v31, v27
	s_xor_b64 exec, exec, s[20:21]
	s_cbranch_execz .LBB149_178
; %bb.177:                              ;   in Loop: Header=BB149_2 Depth=1
	s_waitcnt lgkmcnt(0)
	v_lshlrev_b32_e32 v29, 3, v115
	ds_read_b64 v[31:32], v29 offset:8
	v_mov_b32_e32 v30, v26
	v_mov_b32_e32 v29, v25
.LBB149_178:                            ;   in Loop: Header=BB149_2 Depth=1
	s_or_b64 exec, exec, s[20:21]
	v_add_u32_e32 v34, 1, v116
	v_add_u32_e32 v33, 1, v115
	v_cndmask_b32_e64 v118, v34, v116, s[18:19]
	s_waitcnt lgkmcnt(0)
	v_cmp_lt_i64_e64 s[22:23], v[31:32], v[29:30]
	v_cndmask_b32_e64 v117, v115, v33, s[18:19]
	v_cmp_ge_i32_e64 s[24:25], v118, v75
	v_cmp_lt_i32_e64 s[20:21], v117, v76
	s_or_b64 s[22:23], s[24:25], s[22:23]
	s_and_b64 s[20:21], s[20:21], s[22:23]
	s_xor_b64 s[22:23], s[20:21], -1
                                        ; implicit-def: $vgpr33_vgpr34
	s_and_saveexec_b64 s[24:25], s[22:23]
	s_xor_b64 s[22:23], exec, s[24:25]
; %bb.179:                              ;   in Loop: Header=BB149_2 Depth=1
	v_lshlrev_b32_e32 v33, 3, v118
	ds_read_b64 v[33:34], v33 offset:8
; %bb.180:                              ;   in Loop: Header=BB149_2 Depth=1
	s_or_saveexec_b64 s[22:23], s[22:23]
	v_mov_b32_e32 v36, v32
	v_mov_b32_e32 v35, v31
	s_xor_b64 exec, exec, s[22:23]
	s_cbranch_execz .LBB149_182
; %bb.181:                              ;   in Loop: Header=BB149_2 Depth=1
	s_waitcnt lgkmcnt(0)
	v_lshlrev_b32_e32 v33, 3, v117
	ds_read_b64 v[35:36], v33 offset:8
	v_mov_b32_e32 v34, v30
	v_mov_b32_e32 v33, v29
.LBB149_182:                            ;   in Loop: Header=BB149_2 Depth=1
	s_or_b64 exec, exec, s[22:23]
	v_add_u32_e32 v38, 1, v118
	v_add_u32_e32 v37, 1, v117
	v_cndmask_b32_e64 v120, v38, v118, s[20:21]
	s_waitcnt lgkmcnt(0)
	v_cmp_lt_i64_e64 s[24:25], v[35:36], v[33:34]
	v_cndmask_b32_e64 v119, v117, v37, s[20:21]
	v_cmp_ge_i32_e64 s[26:27], v120, v75
	v_cmp_lt_i32_e64 s[22:23], v119, v76
	s_or_b64 s[24:25], s[26:27], s[24:25]
	s_and_b64 s[22:23], s[22:23], s[24:25]
	s_xor_b64 s[24:25], s[22:23], -1
                                        ; implicit-def: $vgpr37_vgpr38
	s_and_saveexec_b64 s[26:27], s[24:25]
	s_xor_b64 s[24:25], exec, s[26:27]
; %bb.183:                              ;   in Loop: Header=BB149_2 Depth=1
	v_lshlrev_b32_e32 v37, 3, v120
	ds_read_b64 v[37:38], v37 offset:8
; %bb.184:                              ;   in Loop: Header=BB149_2 Depth=1
	s_or_saveexec_b64 s[24:25], s[24:25]
	v_mov_b32_e32 v40, v36
	v_mov_b32_e32 v39, v35
	s_xor_b64 exec, exec, s[24:25]
	s_cbranch_execz .LBB149_186
; %bb.185:                              ;   in Loop: Header=BB149_2 Depth=1
	s_waitcnt lgkmcnt(0)
	v_lshlrev_b32_e32 v37, 3, v119
	ds_read_b64 v[39:40], v37 offset:8
	v_mov_b32_e32 v38, v34
	v_mov_b32_e32 v37, v33
.LBB149_186:                            ;   in Loop: Header=BB149_2 Depth=1
	s_or_b64 exec, exec, s[24:25]
	v_add_u32_e32 v42, 1, v120
	v_add_u32_e32 v41, 1, v119
	v_cndmask_b32_e64 v122, v42, v120, s[22:23]
	s_waitcnt lgkmcnt(0)
	v_cmp_lt_i64_e64 s[26:27], v[39:40], v[37:38]
	v_cndmask_b32_e64 v121, v119, v41, s[22:23]
	v_cmp_ge_i32_e64 s[28:29], v122, v75
	v_cmp_lt_i32_e64 s[24:25], v121, v76
	s_or_b64 s[26:27], s[28:29], s[26:27]
	s_and_b64 s[24:25], s[24:25], s[26:27]
	s_xor_b64 s[26:27], s[24:25], -1
                                        ; implicit-def: $vgpr41_vgpr42
	s_and_saveexec_b64 s[28:29], s[26:27]
	s_xor_b64 s[26:27], exec, s[28:29]
; %bb.187:                              ;   in Loop: Header=BB149_2 Depth=1
	v_lshlrev_b32_e32 v41, 3, v122
	ds_read_b64 v[41:42], v41 offset:8
; %bb.188:                              ;   in Loop: Header=BB149_2 Depth=1
	s_or_saveexec_b64 s[26:27], s[26:27]
	v_mov_b32_e32 v46, v40
	v_mov_b32_e32 v45, v39
	s_xor_b64 exec, exec, s[26:27]
	s_cbranch_execz .LBB149_190
; %bb.189:                              ;   in Loop: Header=BB149_2 Depth=1
	s_waitcnt lgkmcnt(0)
	v_lshlrev_b32_e32 v41, 3, v121
	ds_read_b64 v[45:46], v41 offset:8
	v_mov_b32_e32 v42, v38
	v_mov_b32_e32 v41, v37
.LBB149_190:                            ;   in Loop: Header=BB149_2 Depth=1
	s_or_b64 exec, exec, s[26:27]
	v_add_u32_e32 v44, 1, v122
	v_add_u32_e32 v43, 1, v121
	v_cndmask_b32_e64 v124, v44, v122, s[24:25]
	s_waitcnt lgkmcnt(0)
	v_cmp_lt_i64_e64 s[28:29], v[45:46], v[41:42]
	v_cndmask_b32_e64 v123, v121, v43, s[24:25]
	v_cmp_ge_i32_e64 s[30:31], v124, v75
	v_cmp_lt_i32_e64 s[26:27], v123, v76
	s_or_b64 s[28:29], s[30:31], s[28:29]
	s_and_b64 s[26:27], s[26:27], s[28:29]
	s_xor_b64 s[28:29], s[26:27], -1
                                        ; implicit-def: $vgpr43_vgpr44
	s_and_saveexec_b64 s[30:31], s[28:29]
	s_xor_b64 s[28:29], exec, s[30:31]
; %bb.191:                              ;   in Loop: Header=BB149_2 Depth=1
	v_lshlrev_b32_e32 v43, 3, v124
	ds_read_b64 v[43:44], v43 offset:8
; %bb.192:                              ;   in Loop: Header=BB149_2 Depth=1
	s_or_saveexec_b64 s[28:29], s[28:29]
	v_mov_b32_e32 v48, v46
	v_mov_b32_e32 v47, v45
	s_xor_b64 exec, exec, s[28:29]
	s_cbranch_execz .LBB149_194
; %bb.193:                              ;   in Loop: Header=BB149_2 Depth=1
	s_waitcnt lgkmcnt(0)
	v_lshlrev_b32_e32 v43, 3, v123
	ds_read_b64 v[47:48], v43 offset:8
	v_mov_b32_e32 v44, v42
	v_mov_b32_e32 v43, v41
.LBB149_194:                            ;   in Loop: Header=BB149_2 Depth=1
	s_or_b64 exec, exec, s[28:29]
	v_cndmask_b32_e64 v42, v42, v46, s[26:27]
	v_add_u32_e32 v46, 1, v124
	v_cndmask_b32_e64 v41, v41, v45, s[26:27]
	v_add_u32_e32 v45, 1, v123
	v_cndmask_b32_e64 v46, v46, v124, s[26:27]
	v_cndmask_b32_e64 v22, v22, v24, s[16:17]
	;; [unrolled: 1-line block ×4, first 2 shown]
	s_waitcnt lgkmcnt(0)
	v_cmp_lt_i64_e64 s[16:17], v[47:48], v[43:44]
	v_cndmask_b32_e64 v45, v123, v45, s[26:27]
	v_cndmask_b32_e64 v26, v26, v28, s[18:19]
	;; [unrolled: 1-line block ×4, first 2 shown]
	v_cmp_ge_i32_e64 s[18:19], v46, v75
	v_cndmask_b32_e64 v18, v18, v20, s[14:15]
	v_cndmask_b32_e64 v17, v17, v19, s[14:15]
	v_cndmask_b32_e64 v24, v112, v111, s[14:15]
	v_cmp_lt_i32_e64 s[14:15], v45, v76
	s_or_b64 s[16:17], s[18:19], s[16:17]
	v_cndmask_b32_e64 v29, v29, v31, s[20:21]
	v_cndmask_b32_e64 v31, v118, v117, s[20:21]
	s_and_b64 s[14:15], s[14:15], s[16:17]
	v_cndmask_b32_e64 v123, v124, v123, s[26:27]
	v_cndmask_b32_e64 v37, v37, v39, s[24:25]
	;; [unrolled: 1-line block ×6, first 2 shown]
	s_barrier
	ds_write2_b64 v102, v[9:10], v[13:14] offset1:1
	ds_write2_b64 v102, v[1:2], v[5:6] offset0:2 offset1:3
	ds_write2_b64 v102, v[11:12], v[15:16] offset0:4 offset1:5
	;; [unrolled: 1-line block ×3, first 2 shown]
	v_lshlrev_b32_e32 v1, 3, v24
	v_lshlrev_b32_e32 v2, 3, v23
	;; [unrolled: 1-line block ×4, first 2 shown]
	s_waitcnt lgkmcnt(0)
	s_barrier
	ds_read_b64 v[9:10], v1
	ds_read_b64 v[13:14], v2
	;; [unrolled: 1-line block ×4, first 2 shown]
	v_lshlrev_b32_e32 v3, 3, v35
	v_lshlrev_b32_e32 v4, 3, v39
	;; [unrolled: 1-line block ×4, first 2 shown]
	ds_read_b64 v[11:12], v3
	ds_read_b64 v[15:16], v4
	;; [unrolled: 1-line block ×4, first 2 shown]
	v_cndmask_b32_e64 v38, v38, v40, s[24:25]
	v_cndmask_b32_e64 v34, v34, v36, s[22:23]
	;; [unrolled: 1-line block ×5, first 2 shown]
	s_waitcnt lgkmcnt(0)
	s_barrier
	ds_write2_b64 v102, v[17:18], v[21:22] offset1:1
	ds_write2_b64 v102, v[25:26], v[29:30] offset0:2 offset1:3
	ds_write2_b64 v102, v[33:34], v[37:38] offset0:4 offset1:5
	;; [unrolled: 1-line block ×3, first 2 shown]
	v_mov_b32_e32 v21, v82
	s_waitcnt lgkmcnt(0)
	s_barrier
	s_and_saveexec_b64 s[16:17], s[10:11]
	s_cbranch_execz .LBB149_198
; %bb.195:                              ;   in Loop: Header=BB149_2 Depth=1
	s_mov_b64 s[18:19], 0
	v_mov_b32_e32 v21, v82
	v_mov_b32_e32 v17, v83
.LBB149_196:                            ;   Parent Loop BB149_2 Depth=1
                                        ; =>  This Inner Loop Header: Depth=2
	v_sub_u32_e32 v18, v17, v21
	v_lshrrev_b32_e32 v18, 1, v18
	v_add_u32_e32 v20, v18, v21
	v_not_b32_e32 v19, v20
	v_lshl_add_u32 v18, v20, 3, v109
	v_lshl_add_u32 v22, v19, 3, v101
	ds_read_b64 v[18:19], v18
	ds_read_b64 v[22:23], v22
	v_add_u32_e32 v24, 1, v20
	s_waitcnt lgkmcnt(0)
	v_cmp_lt_i64_e64 s[14:15], v[22:23], v[18:19]
	v_cndmask_b32_e64 v17, v17, v20, s[14:15]
	v_cndmask_b32_e64 v21, v24, v21, s[14:15]
	v_cmp_ge_i32_e64 s[14:15], v21, v17
	s_or_b64 s[18:19], s[14:15], s[18:19]
	s_andn2_b64 exec, exec, s[18:19]
	s_cbranch_execnz .LBB149_196
; %bb.197:                              ;   in Loop: Header=BB149_2 Depth=1
	s_or_b64 exec, exec, s[18:19]
.LBB149_198:                            ;   in Loop: Header=BB149_2 Depth=1
	s_or_b64 exec, exec, s[16:17]
	v_sub_u32_e32 v111, v100, v21
	v_lshl_add_u32 v23, v21, 3, v109
	v_lshlrev_b32_e32 v25, 3, v111
	ds_read_b64 v[17:18], v23
	ds_read_b64 v[19:20], v25
	v_add_u32_e32 v112, v21, v79
	v_cmp_le_i32_e64 s[18:19], v80, v112
	v_cmp_gt_i32_e64 s[14:15], v81, v111
                                        ; implicit-def: $vgpr21_vgpr22
	s_waitcnt lgkmcnt(0)
	v_cmp_lt_i64_e64 s[16:17], v[19:20], v[17:18]
	s_or_b64 s[16:17], s[18:19], s[16:17]
	s_and_b64 s[14:15], s[14:15], s[16:17]
	s_xor_b64 s[16:17], s[14:15], -1
	s_and_saveexec_b64 s[18:19], s[16:17]
	s_xor_b64 s[16:17], exec, s[18:19]
; %bb.199:                              ;   in Loop: Header=BB149_2 Depth=1
	ds_read_b64 v[21:22], v23 offset:8
                                        ; implicit-def: $vgpr25
; %bb.200:                              ;   in Loop: Header=BB149_2 Depth=1
	s_or_saveexec_b64 s[16:17], s[16:17]
	v_mov_b32_e32 v24, v20
	v_mov_b32_e32 v23, v19
	s_xor_b64 exec, exec, s[16:17]
	s_cbranch_execz .LBB149_202
; %bb.201:                              ;   in Loop: Header=BB149_2 Depth=1
	ds_read_b64 v[23:24], v25 offset:8
	s_waitcnt lgkmcnt(1)
	v_mov_b32_e32 v22, v18
	v_mov_b32_e32 v21, v17
.LBB149_202:                            ;   in Loop: Header=BB149_2 Depth=1
	s_or_b64 exec, exec, s[16:17]
	v_add_u32_e32 v26, 1, v112
	v_add_u32_e32 v25, 1, v111
	v_cndmask_b32_e64 v114, v26, v112, s[14:15]
	s_waitcnt lgkmcnt(0)
	v_cmp_lt_i64_e64 s[18:19], v[23:24], v[21:22]
	v_cndmask_b32_e64 v113, v111, v25, s[14:15]
	v_cmp_ge_i32_e64 s[20:21], v114, v80
	v_cmp_lt_i32_e64 s[16:17], v113, v81
	s_or_b64 s[18:19], s[20:21], s[18:19]
	s_and_b64 s[16:17], s[16:17], s[18:19]
	s_xor_b64 s[18:19], s[16:17], -1
                                        ; implicit-def: $vgpr25_vgpr26
	s_and_saveexec_b64 s[20:21], s[18:19]
	s_xor_b64 s[18:19], exec, s[20:21]
; %bb.203:                              ;   in Loop: Header=BB149_2 Depth=1
	v_lshlrev_b32_e32 v25, 3, v114
	ds_read_b64 v[25:26], v25 offset:8
; %bb.204:                              ;   in Loop: Header=BB149_2 Depth=1
	s_or_saveexec_b64 s[18:19], s[18:19]
	v_mov_b32_e32 v28, v24
	v_mov_b32_e32 v27, v23
	s_xor_b64 exec, exec, s[18:19]
	s_cbranch_execz .LBB149_206
; %bb.205:                              ;   in Loop: Header=BB149_2 Depth=1
	s_waitcnt lgkmcnt(0)
	v_lshlrev_b32_e32 v25, 3, v113
	ds_read_b64 v[27:28], v25 offset:8
	v_mov_b32_e32 v26, v22
	v_mov_b32_e32 v25, v21
.LBB149_206:                            ;   in Loop: Header=BB149_2 Depth=1
	s_or_b64 exec, exec, s[18:19]
	v_add_u32_e32 v30, 1, v114
	v_add_u32_e32 v29, 1, v113
	v_cndmask_b32_e64 v116, v30, v114, s[16:17]
	s_waitcnt lgkmcnt(0)
	v_cmp_lt_i64_e64 s[20:21], v[27:28], v[25:26]
	v_cndmask_b32_e64 v115, v113, v29, s[16:17]
	v_cmp_ge_i32_e64 s[22:23], v116, v80
	v_cmp_lt_i32_e64 s[18:19], v115, v81
	s_or_b64 s[20:21], s[22:23], s[20:21]
	s_and_b64 s[18:19], s[18:19], s[20:21]
	s_xor_b64 s[20:21], s[18:19], -1
                                        ; implicit-def: $vgpr29_vgpr30
	s_and_saveexec_b64 s[22:23], s[20:21]
	s_xor_b64 s[20:21], exec, s[22:23]
; %bb.207:                              ;   in Loop: Header=BB149_2 Depth=1
	v_lshlrev_b32_e32 v29, 3, v116
	ds_read_b64 v[29:30], v29 offset:8
; %bb.208:                              ;   in Loop: Header=BB149_2 Depth=1
	s_or_saveexec_b64 s[20:21], s[20:21]
	v_mov_b32_e32 v32, v28
	v_mov_b32_e32 v31, v27
	s_xor_b64 exec, exec, s[20:21]
	s_cbranch_execz .LBB149_210
; %bb.209:                              ;   in Loop: Header=BB149_2 Depth=1
	s_waitcnt lgkmcnt(0)
	v_lshlrev_b32_e32 v29, 3, v115
	ds_read_b64 v[31:32], v29 offset:8
	v_mov_b32_e32 v30, v26
	v_mov_b32_e32 v29, v25
.LBB149_210:                            ;   in Loop: Header=BB149_2 Depth=1
	s_or_b64 exec, exec, s[20:21]
	v_add_u32_e32 v34, 1, v116
	v_add_u32_e32 v33, 1, v115
	v_cndmask_b32_e64 v118, v34, v116, s[18:19]
	s_waitcnt lgkmcnt(0)
	v_cmp_lt_i64_e64 s[22:23], v[31:32], v[29:30]
	v_cndmask_b32_e64 v117, v115, v33, s[18:19]
	v_cmp_ge_i32_e64 s[24:25], v118, v80
	v_cmp_lt_i32_e64 s[20:21], v117, v81
	s_or_b64 s[22:23], s[24:25], s[22:23]
	s_and_b64 s[20:21], s[20:21], s[22:23]
	s_xor_b64 s[22:23], s[20:21], -1
                                        ; implicit-def: $vgpr33_vgpr34
	s_and_saveexec_b64 s[24:25], s[22:23]
	s_xor_b64 s[22:23], exec, s[24:25]
; %bb.211:                              ;   in Loop: Header=BB149_2 Depth=1
	v_lshlrev_b32_e32 v33, 3, v118
	ds_read_b64 v[33:34], v33 offset:8
; %bb.212:                              ;   in Loop: Header=BB149_2 Depth=1
	s_or_saveexec_b64 s[22:23], s[22:23]
	v_mov_b32_e32 v36, v32
	v_mov_b32_e32 v35, v31
	s_xor_b64 exec, exec, s[22:23]
	s_cbranch_execz .LBB149_214
; %bb.213:                              ;   in Loop: Header=BB149_2 Depth=1
	s_waitcnt lgkmcnt(0)
	v_lshlrev_b32_e32 v33, 3, v117
	ds_read_b64 v[35:36], v33 offset:8
	v_mov_b32_e32 v34, v30
	v_mov_b32_e32 v33, v29
.LBB149_214:                            ;   in Loop: Header=BB149_2 Depth=1
	s_or_b64 exec, exec, s[22:23]
	v_add_u32_e32 v38, 1, v118
	v_add_u32_e32 v37, 1, v117
	v_cndmask_b32_e64 v120, v38, v118, s[20:21]
	s_waitcnt lgkmcnt(0)
	v_cmp_lt_i64_e64 s[24:25], v[35:36], v[33:34]
	v_cndmask_b32_e64 v119, v117, v37, s[20:21]
	v_cmp_ge_i32_e64 s[26:27], v120, v80
	v_cmp_lt_i32_e64 s[22:23], v119, v81
	s_or_b64 s[24:25], s[26:27], s[24:25]
	s_and_b64 s[22:23], s[22:23], s[24:25]
	s_xor_b64 s[24:25], s[22:23], -1
                                        ; implicit-def: $vgpr37_vgpr38
	s_and_saveexec_b64 s[26:27], s[24:25]
	s_xor_b64 s[24:25], exec, s[26:27]
; %bb.215:                              ;   in Loop: Header=BB149_2 Depth=1
	v_lshlrev_b32_e32 v37, 3, v120
	ds_read_b64 v[37:38], v37 offset:8
; %bb.216:                              ;   in Loop: Header=BB149_2 Depth=1
	s_or_saveexec_b64 s[24:25], s[24:25]
	v_mov_b32_e32 v40, v36
	v_mov_b32_e32 v39, v35
	s_xor_b64 exec, exec, s[24:25]
	s_cbranch_execz .LBB149_218
; %bb.217:                              ;   in Loop: Header=BB149_2 Depth=1
	s_waitcnt lgkmcnt(0)
	v_lshlrev_b32_e32 v37, 3, v119
	ds_read_b64 v[39:40], v37 offset:8
	v_mov_b32_e32 v38, v34
	v_mov_b32_e32 v37, v33
.LBB149_218:                            ;   in Loop: Header=BB149_2 Depth=1
	s_or_b64 exec, exec, s[24:25]
	v_add_u32_e32 v42, 1, v120
	v_add_u32_e32 v41, 1, v119
	v_cndmask_b32_e64 v122, v42, v120, s[22:23]
	s_waitcnt lgkmcnt(0)
	v_cmp_lt_i64_e64 s[26:27], v[39:40], v[37:38]
	v_cndmask_b32_e64 v121, v119, v41, s[22:23]
	v_cmp_ge_i32_e64 s[28:29], v122, v80
	v_cmp_lt_i32_e64 s[24:25], v121, v81
	s_or_b64 s[26:27], s[28:29], s[26:27]
	s_and_b64 s[24:25], s[24:25], s[26:27]
	s_xor_b64 s[26:27], s[24:25], -1
                                        ; implicit-def: $vgpr41_vgpr42
	s_and_saveexec_b64 s[28:29], s[26:27]
	s_xor_b64 s[26:27], exec, s[28:29]
; %bb.219:                              ;   in Loop: Header=BB149_2 Depth=1
	v_lshlrev_b32_e32 v41, 3, v122
	ds_read_b64 v[41:42], v41 offset:8
; %bb.220:                              ;   in Loop: Header=BB149_2 Depth=1
	s_or_saveexec_b64 s[26:27], s[26:27]
	v_mov_b32_e32 v46, v40
	v_mov_b32_e32 v45, v39
	s_xor_b64 exec, exec, s[26:27]
	s_cbranch_execz .LBB149_222
; %bb.221:                              ;   in Loop: Header=BB149_2 Depth=1
	s_waitcnt lgkmcnt(0)
	v_lshlrev_b32_e32 v41, 3, v121
	ds_read_b64 v[45:46], v41 offset:8
	v_mov_b32_e32 v42, v38
	v_mov_b32_e32 v41, v37
.LBB149_222:                            ;   in Loop: Header=BB149_2 Depth=1
	s_or_b64 exec, exec, s[26:27]
	v_add_u32_e32 v44, 1, v122
	v_add_u32_e32 v43, 1, v121
	v_cndmask_b32_e64 v124, v44, v122, s[24:25]
	s_waitcnt lgkmcnt(0)
	v_cmp_lt_i64_e64 s[28:29], v[45:46], v[41:42]
	v_cndmask_b32_e64 v123, v121, v43, s[24:25]
	v_cmp_ge_i32_e64 s[30:31], v124, v80
	v_cmp_lt_i32_e64 s[26:27], v123, v81
	s_or_b64 s[28:29], s[30:31], s[28:29]
	s_and_b64 s[26:27], s[26:27], s[28:29]
	s_xor_b64 s[28:29], s[26:27], -1
                                        ; implicit-def: $vgpr43_vgpr44
	s_and_saveexec_b64 s[30:31], s[28:29]
	s_xor_b64 s[28:29], exec, s[30:31]
; %bb.223:                              ;   in Loop: Header=BB149_2 Depth=1
	v_lshlrev_b32_e32 v43, 3, v124
	ds_read_b64 v[43:44], v43 offset:8
; %bb.224:                              ;   in Loop: Header=BB149_2 Depth=1
	s_or_saveexec_b64 s[28:29], s[28:29]
	v_mov_b32_e32 v48, v46
	v_mov_b32_e32 v47, v45
	s_xor_b64 exec, exec, s[28:29]
	s_cbranch_execz .LBB149_226
; %bb.225:                              ;   in Loop: Header=BB149_2 Depth=1
	s_waitcnt lgkmcnt(0)
	v_lshlrev_b32_e32 v43, 3, v123
	ds_read_b64 v[47:48], v43 offset:8
	v_mov_b32_e32 v44, v42
	v_mov_b32_e32 v43, v41
.LBB149_226:                            ;   in Loop: Header=BB149_2 Depth=1
	s_or_b64 exec, exec, s[28:29]
	v_cndmask_b32_e64 v42, v42, v46, s[26:27]
	v_add_u32_e32 v46, 1, v124
	v_cndmask_b32_e64 v41, v41, v45, s[26:27]
	v_add_u32_e32 v45, 1, v123
	v_cndmask_b32_e64 v46, v46, v124, s[26:27]
	v_cndmask_b32_e64 v22, v22, v24, s[16:17]
	;; [unrolled: 1-line block ×4, first 2 shown]
	s_waitcnt lgkmcnt(0)
	v_cmp_lt_i64_e64 s[16:17], v[47:48], v[43:44]
	v_cndmask_b32_e64 v45, v123, v45, s[26:27]
	v_cndmask_b32_e64 v26, v26, v28, s[18:19]
	;; [unrolled: 1-line block ×4, first 2 shown]
	v_cmp_ge_i32_e64 s[18:19], v46, v80
	v_cndmask_b32_e64 v18, v18, v20, s[14:15]
	v_cndmask_b32_e64 v17, v17, v19, s[14:15]
	;; [unrolled: 1-line block ×3, first 2 shown]
	v_cmp_lt_i32_e64 s[14:15], v45, v81
	s_or_b64 s[16:17], s[18:19], s[16:17]
	v_cndmask_b32_e64 v29, v29, v31, s[20:21]
	v_cndmask_b32_e64 v31, v118, v117, s[20:21]
	s_and_b64 s[14:15], s[14:15], s[16:17]
	v_cndmask_b32_e64 v123, v124, v123, s[26:27]
	v_cndmask_b32_e64 v37, v37, v39, s[24:25]
	;; [unrolled: 1-line block ×6, first 2 shown]
	s_barrier
	ds_write2_b64 v102, v[9:10], v[13:14] offset1:1
	ds_write2_b64 v102, v[1:2], v[5:6] offset0:2 offset1:3
	ds_write2_b64 v102, v[11:12], v[15:16] offset0:4 offset1:5
	;; [unrolled: 1-line block ×3, first 2 shown]
	v_lshlrev_b32_e32 v1, 3, v24
	v_lshlrev_b32_e32 v2, 3, v23
	;; [unrolled: 1-line block ×4, first 2 shown]
	s_waitcnt lgkmcnt(0)
	s_barrier
	ds_read_b64 v[9:10], v1
	ds_read_b64 v[13:14], v2
	;; [unrolled: 1-line block ×4, first 2 shown]
	v_lshlrev_b32_e32 v3, 3, v35
	v_lshlrev_b32_e32 v4, 3, v39
	;; [unrolled: 1-line block ×4, first 2 shown]
	ds_read_b64 v[11:12], v3
	ds_read_b64 v[15:16], v4
	;; [unrolled: 1-line block ×4, first 2 shown]
	v_mov_b32_e32 v111, v85
	v_cndmask_b32_e64 v38, v38, v40, s[24:25]
	v_cndmask_b32_e64 v34, v34, v36, s[22:23]
	;; [unrolled: 1-line block ×5, first 2 shown]
	s_waitcnt lgkmcnt(0)
	s_barrier
	ds_write2_b64 v102, v[17:18], v[21:22] offset1:1
	ds_write2_b64 v102, v[25:26], v[29:30] offset0:2 offset1:3
	ds_write2_b64 v102, v[33:34], v[37:38] offset0:4 offset1:5
	;; [unrolled: 1-line block ×3, first 2 shown]
	s_waitcnt lgkmcnt(0)
	s_barrier
	s_and_saveexec_b64 s[16:17], s[12:13]
	s_cbranch_execz .LBB149_230
; %bb.227:                              ;   in Loop: Header=BB149_2 Depth=1
	s_mov_b64 s[18:19], 0
	v_mov_b32_e32 v111, v85
	v_mov_b32_e32 v17, v86
.LBB149_228:                            ;   Parent Loop BB149_2 Depth=1
                                        ; =>  This Inner Loop Header: Depth=2
	v_sub_u32_e32 v18, v17, v111
	v_lshrrev_b32_e32 v18, 1, v18
	v_add_u32_e32 v22, v18, v111
	v_not_b32_e32 v19, v22
	v_lshlrev_b32_e32 v18, 3, v22
	v_lshl_add_u32 v20, v19, 3, v110
	ds_read_b64 v[18:19], v18
	ds_read_b64 v[20:21], v20
	v_add_u32_e32 v23, 1, v22
	s_waitcnt lgkmcnt(0)
	v_cmp_lt_i64_e64 s[14:15], v[20:21], v[18:19]
	v_cndmask_b32_e64 v17, v17, v22, s[14:15]
	v_cndmask_b32_e64 v111, v23, v111, s[14:15]
	v_cmp_ge_i32_e64 s[14:15], v111, v17
	s_or_b64 s[18:19], s[14:15], s[18:19]
	s_andn2_b64 exec, exec, s[18:19]
	s_cbranch_execnz .LBB149_228
; %bb.229:                              ;   in Loop: Header=BB149_2 Depth=1
	s_or_b64 exec, exec, s[18:19]
.LBB149_230:                            ;   in Loop: Header=BB149_2 Depth=1
	s_or_b64 exec, exec, s[16:17]
	v_sub_u32_e32 v112, v87, v111
	v_lshlrev_b32_e32 v23, 3, v111
	v_lshlrev_b32_e32 v25, 3, v112
	ds_read_b64 v[17:18], v23
	ds_read_b64 v[19:20], v25
	v_cmp_le_i32_e64 s[18:19], v84, v111
	v_cmp_gt_i32_e64 s[14:15], s33, v112
                                        ; implicit-def: $vgpr21_vgpr22
	s_waitcnt lgkmcnt(0)
	v_cmp_lt_i64_e64 s[16:17], v[19:20], v[17:18]
	s_or_b64 s[16:17], s[18:19], s[16:17]
	s_and_b64 s[14:15], s[14:15], s[16:17]
	s_xor_b64 s[16:17], s[14:15], -1
	s_and_saveexec_b64 s[18:19], s[16:17]
	s_xor_b64 s[16:17], exec, s[18:19]
; %bb.231:                              ;   in Loop: Header=BB149_2 Depth=1
	ds_read_b64 v[21:22], v23 offset:8
                                        ; implicit-def: $vgpr25
; %bb.232:                              ;   in Loop: Header=BB149_2 Depth=1
	s_or_saveexec_b64 s[16:17], s[16:17]
	v_mov_b32_e32 v24, v20
	v_mov_b32_e32 v23, v19
	s_xor_b64 exec, exec, s[16:17]
	s_cbranch_execz .LBB149_234
; %bb.233:                              ;   in Loop: Header=BB149_2 Depth=1
	ds_read_b64 v[23:24], v25 offset:8
	s_waitcnt lgkmcnt(1)
	v_mov_b32_e32 v22, v18
	v_mov_b32_e32 v21, v17
.LBB149_234:                            ;   in Loop: Header=BB149_2 Depth=1
	s_or_b64 exec, exec, s[16:17]
	v_add_u32_e32 v26, 1, v111
	v_add_u32_e32 v25, 1, v112
	v_cndmask_b32_e64 v114, v26, v111, s[14:15]
	s_waitcnt lgkmcnt(0)
	v_cmp_lt_i64_e64 s[18:19], v[23:24], v[21:22]
	v_cndmask_b32_e64 v113, v112, v25, s[14:15]
	v_cmp_ge_i32_e64 s[20:21], v114, v84
	v_cmp_gt_i32_e64 s[16:17], s33, v113
	s_or_b64 s[18:19], s[20:21], s[18:19]
	s_and_b64 s[16:17], s[16:17], s[18:19]
	s_xor_b64 s[18:19], s[16:17], -1
                                        ; implicit-def: $vgpr25_vgpr26
	s_and_saveexec_b64 s[20:21], s[18:19]
	s_xor_b64 s[18:19], exec, s[20:21]
; %bb.235:                              ;   in Loop: Header=BB149_2 Depth=1
	v_lshlrev_b32_e32 v25, 3, v114
	ds_read_b64 v[25:26], v25 offset:8
; %bb.236:                              ;   in Loop: Header=BB149_2 Depth=1
	s_or_saveexec_b64 s[18:19], s[18:19]
	v_mov_b32_e32 v28, v24
	v_mov_b32_e32 v27, v23
	s_xor_b64 exec, exec, s[18:19]
	s_cbranch_execz .LBB149_238
; %bb.237:                              ;   in Loop: Header=BB149_2 Depth=1
	s_waitcnt lgkmcnt(0)
	v_lshlrev_b32_e32 v25, 3, v113
	ds_read_b64 v[27:28], v25 offset:8
	v_mov_b32_e32 v26, v22
	v_mov_b32_e32 v25, v21
.LBB149_238:                            ;   in Loop: Header=BB149_2 Depth=1
	s_or_b64 exec, exec, s[18:19]
	v_add_u32_e32 v30, 1, v114
	v_add_u32_e32 v29, 1, v113
	v_cndmask_b32_e64 v116, v30, v114, s[16:17]
	s_waitcnt lgkmcnt(0)
	v_cmp_lt_i64_e64 s[20:21], v[27:28], v[25:26]
	v_cndmask_b32_e64 v115, v113, v29, s[16:17]
	v_cmp_ge_i32_e64 s[22:23], v116, v84
	v_cmp_gt_i32_e64 s[18:19], s33, v115
	s_or_b64 s[20:21], s[22:23], s[20:21]
	s_and_b64 s[18:19], s[18:19], s[20:21]
	s_xor_b64 s[20:21], s[18:19], -1
                                        ; implicit-def: $vgpr29_vgpr30
	s_and_saveexec_b64 s[22:23], s[20:21]
	s_xor_b64 s[20:21], exec, s[22:23]
; %bb.239:                              ;   in Loop: Header=BB149_2 Depth=1
	v_lshlrev_b32_e32 v29, 3, v116
	ds_read_b64 v[29:30], v29 offset:8
; %bb.240:                              ;   in Loop: Header=BB149_2 Depth=1
	s_or_saveexec_b64 s[20:21], s[20:21]
	v_mov_b32_e32 v32, v28
	v_mov_b32_e32 v31, v27
	s_xor_b64 exec, exec, s[20:21]
	s_cbranch_execz .LBB149_242
; %bb.241:                              ;   in Loop: Header=BB149_2 Depth=1
	s_waitcnt lgkmcnt(0)
	v_lshlrev_b32_e32 v29, 3, v115
	ds_read_b64 v[31:32], v29 offset:8
	v_mov_b32_e32 v30, v26
	v_mov_b32_e32 v29, v25
.LBB149_242:                            ;   in Loop: Header=BB149_2 Depth=1
	s_or_b64 exec, exec, s[20:21]
	v_add_u32_e32 v34, 1, v116
	v_add_u32_e32 v33, 1, v115
	v_cndmask_b32_e64 v118, v34, v116, s[18:19]
	s_waitcnt lgkmcnt(0)
	v_cmp_lt_i64_e64 s[22:23], v[31:32], v[29:30]
	v_cndmask_b32_e64 v117, v115, v33, s[18:19]
	v_cmp_ge_i32_e64 s[24:25], v118, v84
	v_cmp_gt_i32_e64 s[20:21], s33, v117
	s_or_b64 s[22:23], s[24:25], s[22:23]
	s_and_b64 s[20:21], s[20:21], s[22:23]
	s_xor_b64 s[22:23], s[20:21], -1
                                        ; implicit-def: $vgpr33_vgpr34
	s_and_saveexec_b64 s[24:25], s[22:23]
	s_xor_b64 s[22:23], exec, s[24:25]
; %bb.243:                              ;   in Loop: Header=BB149_2 Depth=1
	v_lshlrev_b32_e32 v33, 3, v118
	ds_read_b64 v[33:34], v33 offset:8
; %bb.244:                              ;   in Loop: Header=BB149_2 Depth=1
	s_or_saveexec_b64 s[22:23], s[22:23]
	v_mov_b32_e32 v38, v32
	v_mov_b32_e32 v37, v31
	s_xor_b64 exec, exec, s[22:23]
	s_cbranch_execz .LBB149_246
; %bb.245:                              ;   in Loop: Header=BB149_2 Depth=1
	s_waitcnt lgkmcnt(0)
	v_lshlrev_b32_e32 v33, 3, v117
	ds_read_b64 v[37:38], v33 offset:8
	v_mov_b32_e32 v34, v30
	v_mov_b32_e32 v33, v29
.LBB149_246:                            ;   in Loop: Header=BB149_2 Depth=1
	s_or_b64 exec, exec, s[22:23]
	v_add_u32_e32 v36, 1, v118
	v_add_u32_e32 v35, 1, v117
	v_cndmask_b32_e64 v120, v36, v118, s[20:21]
	s_waitcnt lgkmcnt(0)
	v_cmp_lt_i64_e64 s[24:25], v[37:38], v[33:34]
	v_cndmask_b32_e64 v119, v117, v35, s[20:21]
	v_cmp_ge_i32_e64 s[26:27], v120, v84
	v_cmp_gt_i32_e64 s[22:23], s33, v119
	s_or_b64 s[24:25], s[26:27], s[24:25]
	s_and_b64 s[22:23], s[22:23], s[24:25]
	s_xor_b64 s[24:25], s[22:23], -1
                                        ; implicit-def: $vgpr41_vgpr42
	s_and_saveexec_b64 s[26:27], s[24:25]
	s_xor_b64 s[24:25], exec, s[26:27]
; %bb.247:                              ;   in Loop: Header=BB149_2 Depth=1
	v_lshlrev_b32_e32 v35, 3, v120
	ds_read_b64 v[41:42], v35 offset:8
; %bb.248:                              ;   in Loop: Header=BB149_2 Depth=1
	s_or_saveexec_b64 s[24:25], s[24:25]
	v_mov_b32_e32 v46, v38
	v_mov_b32_e32 v45, v37
	s_xor_b64 exec, exec, s[24:25]
	s_cbranch_execz .LBB149_250
; %bb.249:                              ;   in Loop: Header=BB149_2 Depth=1
	v_lshlrev_b32_e32 v35, 3, v119
	ds_read_b64 v[45:46], v35 offset:8
	s_waitcnt lgkmcnt(1)
	v_mov_b32_e32 v42, v34
	v_mov_b32_e32 v41, v33
.LBB149_250:                            ;   in Loop: Header=BB149_2 Depth=1
	s_or_b64 exec, exec, s[24:25]
	v_add_u32_e32 v36, 1, v120
	v_add_u32_e32 v35, 1, v119
	v_cndmask_b32_e64 v122, v36, v120, s[22:23]
	s_waitcnt lgkmcnt(0)
	v_cmp_lt_i64_e64 s[26:27], v[45:46], v[41:42]
	v_cndmask_b32_e64 v121, v119, v35, s[22:23]
	v_cmp_ge_i32_e64 s[28:29], v122, v84
	v_cmp_gt_i32_e64 s[24:25], s33, v121
	s_or_b64 s[26:27], s[28:29], s[26:27]
	s_and_b64 s[26:27], s[24:25], s[26:27]
	s_xor_b64 s[24:25], s[26:27], -1
                                        ; implicit-def: $vgpr35_vgpr36
	s_and_saveexec_b64 s[28:29], s[24:25]
	s_xor_b64 s[24:25], exec, s[28:29]
; %bb.251:                              ;   in Loop: Header=BB149_2 Depth=1
	v_lshlrev_b32_e32 v35, 3, v122
	ds_read_b64 v[35:36], v35 offset:8
; %bb.252:                              ;   in Loop: Header=BB149_2 Depth=1
	s_or_saveexec_b64 s[24:25], s[24:25]
	v_mov_b32_e32 v39, v45
	v_mov_b32_e32 v40, v46
	s_xor_b64 exec, exec, s[24:25]
	s_cbranch_execz .LBB149_254
; %bb.253:                              ;   in Loop: Header=BB149_2 Depth=1
	s_waitcnt lgkmcnt(0)
	v_lshlrev_b32_e32 v35, 3, v121
	ds_read_b64 v[39:40], v35 offset:8
	v_mov_b32_e32 v35, v41
	v_mov_b32_e32 v36, v42
.LBB149_254:                            ;   in Loop: Header=BB149_2 Depth=1
	s_or_b64 exec, exec, s[24:25]
	v_add_u32_e32 v44, 1, v122
	v_add_u32_e32 v43, 1, v121
	v_cndmask_b32_e64 v126, v44, v122, s[26:27]
	s_waitcnt lgkmcnt(0)
	v_cmp_lt_i64_e64 s[28:29], v[39:40], v[35:36]
	v_cndmask_b32_e64 v124, v121, v43, s[26:27]
	v_cmp_ge_i32_e64 s[30:31], v126, v84
	v_cmp_gt_i32_e64 s[24:25], s33, v124
	s_or_b64 s[28:29], s[30:31], s[28:29]
	s_and_b64 s[24:25], s[24:25], s[28:29]
	s_xor_b64 s[28:29], s[24:25], -1
                                        ; implicit-def: $vgpr43_vgpr44
                                        ; implicit-def: $vgpr125
	s_and_saveexec_b64 s[30:31], s[28:29]
	s_xor_b64 s[28:29], exec, s[30:31]
; %bb.255:                              ;   in Loop: Header=BB149_2 Depth=1
	v_lshlrev_b32_e32 v43, 3, v126
	ds_read_b64 v[43:44], v43 offset:8
	v_add_u32_e32 v125, 1, v126
; %bb.256:                              ;   in Loop: Header=BB149_2 Depth=1
	s_or_saveexec_b64 s[28:29], s[28:29]
	v_mov_b32_e32 v48, v40
	v_mov_b32_e32 v123, v126
	;; [unrolled: 1-line block ×3, first 2 shown]
	s_xor_b64 exec, exec, s[28:29]
	s_cbranch_execz .LBB149_1
; %bb.257:                              ;   in Loop: Header=BB149_2 Depth=1
	s_waitcnt lgkmcnt(0)
	v_lshlrev_b32_e32 v44, 3, v124
	ds_read_b64 v[47:48], v44 offset:8
	v_add_u32_e32 v43, 1, v124
	v_mov_b32_e32 v123, v124
	v_mov_b32_e32 v124, v43
	;; [unrolled: 1-line block ×5, first 2 shown]
	s_branch .LBB149_1
.LBB149_258:
	s_waitcnt lgkmcnt(7)
	v_add_co_u32_e32 v9, vcc, v17, v9
	v_addc_co_u32_e32 v10, vcc, v18, v10, vcc
	s_waitcnt lgkmcnt(6)
	v_add_co_u32_e32 v11, vcc, v19, v11
	v_addc_co_u32_e32 v12, vcc, v20, v12, vcc
	;; [unrolled: 3-line block ×6, first 2 shown]
	s_waitcnt lgkmcnt(1)
	v_add_co_u32_e32 v5, vcc, v25, v5
	v_readlane_b32 s0, v127, 0
	v_addc_co_u32_e32 v6, vcc, v26, v6, vcc
	v_readlane_b32 s2, v127, 2
	s_waitcnt lgkmcnt(0)
	v_add_co_u32_e32 v1, vcc, v31, v1
	v_readlane_b32 s1, v127, 1
	v_readlane_b32 s3, v127, 3
	s_add_u32 s0, s2, s92
	v_addc_co_u32_e32 v2, vcc, v32, v2, vcc
	s_addc_u32 s1, s3, s93
	v_lshlrev_b32_e32 v0, 3, v0
	v_mov_b32_e32 v17, s1
	v_add_co_u32_e32 v18, vcc, s0, v0
	v_addc_co_u32_e32 v17, vcc, 0, v17, vcc
	global_store_dwordx2 v0, v[9:10], s[0:1]
	global_store_dwordx2 v0, v[11:12], s[0:1] offset:2048
	s_movk_i32 s0, 0x1000
	v_add_co_u32_e32 v9, vcc, s0, v18
	v_addc_co_u32_e32 v10, vcc, 0, v17, vcc
	global_store_dwordx2 v[9:10], v[3:4], off
	global_store_dwordx2 v[9:10], v[7:8], off offset:2048
	v_add_co_u32_e32 v3, vcc, 0x2000, v18
	v_addc_co_u32_e32 v4, vcc, 0, v17, vcc
	global_store_dwordx2 v[3:4], v[15:16], off
	global_store_dwordx2 v[3:4], v[13:14], off offset:2048
	;; [unrolled: 4-line block ×3, first 2 shown]
	s_endpgm
	.section	.rodata,"a",@progbits
	.p2align	6, 0x0
	.amdhsa_kernel _Z17sort_pairs_kernelIxLj256ELj8EN10test_utils4lessELj10EEvPKT_PS2_T2_
		.amdhsa_group_segment_fixed_size 16392
		.amdhsa_private_segment_fixed_size 0
		.amdhsa_kernarg_size 20
		.amdhsa_user_sgpr_count 6
		.amdhsa_user_sgpr_private_segment_buffer 1
		.amdhsa_user_sgpr_dispatch_ptr 0
		.amdhsa_user_sgpr_queue_ptr 0
		.amdhsa_user_sgpr_kernarg_segment_ptr 1
		.amdhsa_user_sgpr_dispatch_id 0
		.amdhsa_user_sgpr_flat_scratch_init 0
		.amdhsa_user_sgpr_private_segment_size 0
		.amdhsa_uses_dynamic_stack 0
		.amdhsa_system_sgpr_private_segment_wavefront_offset 0
		.amdhsa_system_sgpr_workgroup_id_x 1
		.amdhsa_system_sgpr_workgroup_id_y 0
		.amdhsa_system_sgpr_workgroup_id_z 0
		.amdhsa_system_sgpr_workgroup_info 0
		.amdhsa_system_vgpr_workitem_id 0
		.amdhsa_next_free_vgpr 128
		.amdhsa_next_free_sgpr 98
		.amdhsa_reserve_vcc 1
		.amdhsa_reserve_flat_scratch 0
		.amdhsa_float_round_mode_32 0
		.amdhsa_float_round_mode_16_64 0
		.amdhsa_float_denorm_mode_32 3
		.amdhsa_float_denorm_mode_16_64 3
		.amdhsa_dx10_clamp 1
		.amdhsa_ieee_mode 1
		.amdhsa_fp16_overflow 0
		.amdhsa_exception_fp_ieee_invalid_op 0
		.amdhsa_exception_fp_denorm_src 0
		.amdhsa_exception_fp_ieee_div_zero 0
		.amdhsa_exception_fp_ieee_overflow 0
		.amdhsa_exception_fp_ieee_underflow 0
		.amdhsa_exception_fp_ieee_inexact 0
		.amdhsa_exception_int_div_zero 0
	.end_amdhsa_kernel
	.section	.text._Z17sort_pairs_kernelIxLj256ELj8EN10test_utils4lessELj10EEvPKT_PS2_T2_,"axG",@progbits,_Z17sort_pairs_kernelIxLj256ELj8EN10test_utils4lessELj10EEvPKT_PS2_T2_,comdat
.Lfunc_end149:
	.size	_Z17sort_pairs_kernelIxLj256ELj8EN10test_utils4lessELj10EEvPKT_PS2_T2_, .Lfunc_end149-_Z17sort_pairs_kernelIxLj256ELj8EN10test_utils4lessELj10EEvPKT_PS2_T2_
                                        ; -- End function
	.set _Z17sort_pairs_kernelIxLj256ELj8EN10test_utils4lessELj10EEvPKT_PS2_T2_.num_vgpr, 128
	.set _Z17sort_pairs_kernelIxLj256ELj8EN10test_utils4lessELj10EEvPKT_PS2_T2_.num_agpr, 0
	.set _Z17sort_pairs_kernelIxLj256ELj8EN10test_utils4lessELj10EEvPKT_PS2_T2_.numbered_sgpr, 96
	.set _Z17sort_pairs_kernelIxLj256ELj8EN10test_utils4lessELj10EEvPKT_PS2_T2_.num_named_barrier, 0
	.set _Z17sort_pairs_kernelIxLj256ELj8EN10test_utils4lessELj10EEvPKT_PS2_T2_.private_seg_size, 0
	.set _Z17sort_pairs_kernelIxLj256ELj8EN10test_utils4lessELj10EEvPKT_PS2_T2_.uses_vcc, 1
	.set _Z17sort_pairs_kernelIxLj256ELj8EN10test_utils4lessELj10EEvPKT_PS2_T2_.uses_flat_scratch, 0
	.set _Z17sort_pairs_kernelIxLj256ELj8EN10test_utils4lessELj10EEvPKT_PS2_T2_.has_dyn_sized_stack, 0
	.set _Z17sort_pairs_kernelIxLj256ELj8EN10test_utils4lessELj10EEvPKT_PS2_T2_.has_recursion, 0
	.set _Z17sort_pairs_kernelIxLj256ELj8EN10test_utils4lessELj10EEvPKT_PS2_T2_.has_indirect_call, 0
	.section	.AMDGPU.csdata,"",@progbits
; Kernel info:
; codeLenInByte = 15252
; TotalNumSgprs: 100
; NumVgprs: 128
; ScratchSize: 0
; MemoryBound: 0
; FloatMode: 240
; IeeeMode: 1
; LDSByteSize: 16392 bytes/workgroup (compile time only)
; SGPRBlocks: 12
; VGPRBlocks: 31
; NumSGPRsForWavesPerEU: 102
; NumVGPRsForWavesPerEU: 128
; Occupancy: 2
; WaveLimiterHint : 1
; COMPUTE_PGM_RSRC2:SCRATCH_EN: 0
; COMPUTE_PGM_RSRC2:USER_SGPR: 6
; COMPUTE_PGM_RSRC2:TRAP_HANDLER: 0
; COMPUTE_PGM_RSRC2:TGID_X_EN: 1
; COMPUTE_PGM_RSRC2:TGID_Y_EN: 0
; COMPUTE_PGM_RSRC2:TGID_Z_EN: 0
; COMPUTE_PGM_RSRC2:TIDIG_COMP_CNT: 0
	.section	.text._Z16sort_keys_kernelIxLj512ELj1EN10test_utils4lessELj10EEvPKT_PS2_T2_,"axG",@progbits,_Z16sort_keys_kernelIxLj512ELj1EN10test_utils4lessELj10EEvPKT_PS2_T2_,comdat
	.protected	_Z16sort_keys_kernelIxLj512ELj1EN10test_utils4lessELj10EEvPKT_PS2_T2_ ; -- Begin function _Z16sort_keys_kernelIxLj512ELj1EN10test_utils4lessELj10EEvPKT_PS2_T2_
	.globl	_Z16sort_keys_kernelIxLj512ELj1EN10test_utils4lessELj10EEvPKT_PS2_T2_
	.p2align	8
	.type	_Z16sort_keys_kernelIxLj512ELj1EN10test_utils4lessELj10EEvPKT_PS2_T2_,@function
_Z16sort_keys_kernelIxLj512ELj1EN10test_utils4lessELj10EEvPKT_PS2_T2_: ; @_Z16sort_keys_kernelIxLj512ELj1EN10test_utils4lessELj10EEvPKT_PS2_T2_
; %bb.0:
	s_load_dwordx4 s[20:23], s[4:5], 0x0
	s_lshl_b32 s26, s6, 9
	s_mov_b32 s27, 0
	s_lshl_b64 s[24:25], s[26:27], 3
	v_and_b32_e32 v1, 0x1fe, v0
	s_waitcnt lgkmcnt(0)
	s_add_u32 s0, s20, s24
	s_addc_u32 s1, s21, s25
	v_or_b32_e32 v10, 1, v1
	v_lshlrev_b32_e32 v13, 3, v0
	v_sub_u32_e32 v11, v10, v1
	v_lshlrev_b32_e32 v12, 3, v1
	global_load_dwordx2 v[1:2], v13, s[0:1]
	v_and_b32_e32 v17, 0x1fc, v0
	v_and_b32_e32 v23, 0x1f8, v0
	;; [unrolled: 1-line block ×6, first 2 shown]
	v_or_b32_e32 v20, 2, v17
	v_add_u32_e32 v3, 4, v17
	v_or_b32_e32 v26, 4, v23
	v_add_u32_e32 v4, 8, v23
	v_or_b32_e32 v32, 8, v29
	v_add_u32_e32 v5, 16, v29
	v_or_b32_e32 v38, 16, v35
	v_add_u32_e32 v6, 32, v35
	v_or_b32_e32 v44, 32, v41
	v_add_u32_e32 v7, 64, v41
	v_or_b32_e32 v50, 64, v47
	v_add_u32_e32 v8, 0x80, v47
	v_and_b32_e32 v53, 0x100, v0
	v_and_b32_e32 v21, 3, v0
	v_sub_u32_e32 v18, v3, v20
	v_and_b32_e32 v27, 7, v0
	v_sub_u32_e32 v24, v4, v26
	;; [unrolled: 2-line block ×6, first 2 shown]
	v_or_b32_e32 v57, 0x80, v53
	v_add_u32_e32 v9, 0x100, v53
	v_sub_u32_e32 v19, v21, v18
	v_sub_u32_e32 v25, v27, v24
	;; [unrolled: 1-line block ×7, first 2 shown]
	v_and_b32_e32 v62, 1, v0
	v_cmp_ge_i32_e64 s[0:1], v21, v18
	v_cmp_ge_i32_e64 s[2:3], v27, v24
	;; [unrolled: 1-line block ×6, first 2 shown]
	v_sub_u32_sdwa v55, v0, v54 dst_sel:DWORD dst_unused:UNUSED_PAD src0_sel:BYTE_0 src1_sel:DWORD
	v_add_u32_e32 v14, -1, v62
	v_cmp_lt_i32_e32 vcc, 0, v62
	v_sub_u32_e32 v16, v20, v17
	v_cndmask_b32_e64 v18, 0, v19, s[0:1]
	v_lshlrev_b32_e32 v19, 3, v21
	v_sub_u32_e32 v22, v26, v23
	v_cndmask_b32_e64 v24, 0, v25, s[2:3]
	v_lshlrev_b32_e32 v25, 3, v27
	v_sub_u32_e32 v28, v32, v29
	v_cndmask_b32_e64 v30, 0, v31, s[4:5]
	v_lshlrev_b32_e32 v31, 3, v33
	v_sub_u32_e32 v34, v38, v35
	v_cndmask_b32_e64 v36, 0, v37, s[6:7]
	v_lshlrev_b32_e32 v37, 3, v39
	v_sub_u32_e32 v40, v44, v41
	v_cndmask_b32_e64 v42, 0, v43, s[8:9]
	v_lshlrev_b32_e32 v43, 3, v45
	v_sub_u32_e32 v46, v50, v47
	v_cndmask_b32_e64 v48, 0, v49, s[10:11]
	v_lshlrev_b32_e32 v49, 3, v51
	v_sub_u32_e32 v52, v57, v53
	v_cmp_ge_i32_sdwa s[12:13], v0, v54 src0_sel:BYTE_0 src1_sel:DWORD
	v_mov_b32_e32 v56, 3
	v_mov_b32_e32 v58, 0x100
	v_cndmask_b32_e32 v14, 0, v14, vcc
	v_min_i32_e32 v15, v62, v11
	v_lshl_add_u32 v19, v20, 3, v19
	v_add_u32_e32 v20, v20, v21
	v_min_i32_e32 v21, v21, v16
	v_lshl_add_u32 v25, v26, 3, v25
	v_add_u32_e32 v26, v26, v27
	;; [unrolled: 3-line block ×6, first 2 shown]
	v_min_i32_e32 v51, v51, v46
	v_cndmask_b32_e64 v54, 0, v55, s[12:13]
	v_min_i32_sdwa v55, v0, v52 dst_sel:DWORD dst_unused:UNUSED_PAD src0_sel:BYTE_0 src1_sel:DWORD
	v_lshlrev_b32_sdwa v56, v56, v0 dst_sel:DWORD dst_unused:UNUSED_PAD src0_sel:DWORD src1_sel:BYTE_0
	v_sub_u32_e64 v59, v0, v58 clamp
	v_min_i32_e32 v60, 0x100, v0
	v_add_u32_e32 v61, v10, v62
	v_lshlrev_b32_e32 v62, 3, v62
	v_cmp_lt_i32_e32 vcc, v14, v15
	v_lshlrev_b32_e32 v17, 3, v17
	v_cmp_lt_i32_e64 s[0:1], v18, v21
	v_lshlrev_b32_e32 v23, 3, v23
	v_cmp_lt_i32_e64 s[2:3], v24, v27
	;; [unrolled: 2-line block ×7, first 2 shown]
	v_lshl_add_u32 v56, v57, 3, v56
	v_add_u32_sdwa v57, v57, v0 dst_sel:DWORD dst_unused:UNUSED_PAD src0_sel:DWORD src1_sel:BYTE_0
	v_cmp_lt_i32_e64 s[14:15], v59, v60
	v_lshl_add_u32 v62, v10, 3, v62
	s_movk_i32 s26, 0x200
	v_add_u32_e32 v63, 0x100, v0
	v_add_u32_e32 v64, 0x800, v13
	s_branch .LBB150_2
.LBB150_1:                              ;   in Loop: Header=BB150_2 Depth=1
	s_or_b64 exec, exec, s[18:19]
	v_sub_u32_e32 v2, v63, v1
	v_lshlrev_b32_e32 v65, 3, v1
	v_lshlrev_b32_e32 v67, 3, v2
	ds_read_b64 v[65:66], v65
	ds_read_b64 v[67:68], v67
	v_cmp_ge_i32_e64 s[16:17], v1, v58
	v_cmp_gt_i32_e64 s[20:21], s26, v2
	s_add_i32 s27, s27, 1
	s_waitcnt lgkmcnt(0)
	v_cmp_lt_i64_e64 s[18:19], v[67:68], v[65:66]
	s_or_b64 s[16:17], s[16:17], s[18:19]
	s_and_b64 s[16:17], s[20:21], s[16:17]
	v_cndmask_b32_e64 v2, v66, v68, s[16:17]
	s_cmp_eq_u32 s27, 10
	v_cndmask_b32_e64 v1, v65, v67, s[16:17]
	s_cbranch_scc1 .LBB150_38
.LBB150_2:                              ; =>This Loop Header: Depth=1
                                        ;     Child Loop BB150_4 Depth 2
                                        ;     Child Loop BB150_8 Depth 2
	;; [unrolled: 1-line block ×9, first 2 shown]
	s_waitcnt vmcnt(0)
	s_barrier
	ds_write_b64 v13, v[1:2]
	v_mov_b32_e32 v1, v14
	s_waitcnt lgkmcnt(0)
	s_barrier
	s_and_saveexec_b64 s[18:19], vcc
	s_cbranch_execz .LBB150_6
; %bb.3:                                ;   in Loop: Header=BB150_2 Depth=1
	s_mov_b64 s[20:21], 0
	v_mov_b32_e32 v1, v14
	v_mov_b32_e32 v2, v15
.LBB150_4:                              ;   Parent Loop BB150_2 Depth=1
                                        ; =>  This Inner Loop Header: Depth=2
	v_sub_u32_e32 v65, v2, v1
	v_lshrrev_b32_e32 v65, 1, v65
	v_add_u32_e32 v69, v65, v1
	v_not_b32_e32 v66, v69
	v_lshl_add_u32 v65, v69, 3, v12
	v_lshl_add_u32 v67, v66, 3, v62
	ds_read_b64 v[65:66], v65
	ds_read_b64 v[67:68], v67
	v_add_u32_e32 v70, 1, v69
	s_waitcnt lgkmcnt(0)
	v_cmp_lt_i64_e64 s[16:17], v[67:68], v[65:66]
	v_cndmask_b32_e64 v2, v2, v69, s[16:17]
	v_cndmask_b32_e64 v1, v70, v1, s[16:17]
	v_cmp_ge_i32_e64 s[16:17], v1, v2
	s_or_b64 s[20:21], s[16:17], s[20:21]
	s_andn2_b64 exec, exec, s[20:21]
	s_cbranch_execnz .LBB150_4
; %bb.5:                                ;   in Loop: Header=BB150_2 Depth=1
	s_or_b64 exec, exec, s[20:21]
.LBB150_6:                              ;   in Loop: Header=BB150_2 Depth=1
	s_or_b64 exec, exec, s[18:19]
	v_sub_u32_e32 v2, v61, v1
	v_lshl_add_u32 v65, v1, 3, v12
	v_lshlrev_b32_e32 v67, 3, v2
	ds_read_b64 v[65:66], v65
	ds_read_b64 v[67:68], v67
	v_cmp_ge_i32_e64 s[16:17], v1, v11
	v_cmp_ge_i32_e64 s[20:21], v10, v2
	s_waitcnt lgkmcnt(0)
	s_barrier
	v_cmp_lt_i64_e64 s[18:19], v[67:68], v[65:66]
	s_or_b64 s[16:17], s[16:17], s[18:19]
	s_and_b64 s[16:17], s[20:21], s[16:17]
	v_cndmask_b32_e64 v2, v66, v68, s[16:17]
	v_cndmask_b32_e64 v1, v65, v67, s[16:17]
	ds_write_b64 v13, v[1:2]
	v_mov_b32_e32 v1, v18
	s_waitcnt lgkmcnt(0)
	s_barrier
	s_and_saveexec_b64 s[18:19], s[0:1]
	s_cbranch_execz .LBB150_10
; %bb.7:                                ;   in Loop: Header=BB150_2 Depth=1
	s_mov_b64 s[20:21], 0
	v_mov_b32_e32 v1, v18
	v_mov_b32_e32 v2, v21
.LBB150_8:                              ;   Parent Loop BB150_2 Depth=1
                                        ; =>  This Inner Loop Header: Depth=2
	v_sub_u32_e32 v65, v2, v1
	v_lshrrev_b32_e32 v65, 1, v65
	v_add_u32_e32 v69, v65, v1
	v_not_b32_e32 v66, v69
	v_lshl_add_u32 v65, v69, 3, v17
	v_lshl_add_u32 v67, v66, 3, v19
	ds_read_b64 v[65:66], v65
	ds_read_b64 v[67:68], v67
	v_add_u32_e32 v70, 1, v69
	s_waitcnt lgkmcnt(0)
	v_cmp_lt_i64_e64 s[16:17], v[67:68], v[65:66]
	v_cndmask_b32_e64 v2, v2, v69, s[16:17]
	v_cndmask_b32_e64 v1, v70, v1, s[16:17]
	v_cmp_ge_i32_e64 s[16:17], v1, v2
	s_or_b64 s[20:21], s[16:17], s[20:21]
	s_andn2_b64 exec, exec, s[20:21]
	s_cbranch_execnz .LBB150_8
; %bb.9:                                ;   in Loop: Header=BB150_2 Depth=1
	s_or_b64 exec, exec, s[20:21]
.LBB150_10:                             ;   in Loop: Header=BB150_2 Depth=1
	s_or_b64 exec, exec, s[18:19]
	v_sub_u32_e32 v2, v20, v1
	v_lshl_add_u32 v65, v1, 3, v17
	v_lshlrev_b32_e32 v67, 3, v2
	ds_read_b64 v[65:66], v65
	ds_read_b64 v[67:68], v67
	v_cmp_ge_i32_e64 s[16:17], v1, v16
	v_cmp_gt_i32_e64 s[20:21], v3, v2
	s_waitcnt lgkmcnt(0)
	s_barrier
	v_cmp_lt_i64_e64 s[18:19], v[67:68], v[65:66]
	s_or_b64 s[16:17], s[16:17], s[18:19]
	s_and_b64 s[16:17], s[20:21], s[16:17]
	v_cndmask_b32_e64 v2, v66, v68, s[16:17]
	v_cndmask_b32_e64 v1, v65, v67, s[16:17]
	ds_write_b64 v13, v[1:2]
	v_mov_b32_e32 v1, v24
	s_waitcnt lgkmcnt(0)
	s_barrier
	s_and_saveexec_b64 s[18:19], s[2:3]
	s_cbranch_execz .LBB150_14
; %bb.11:                               ;   in Loop: Header=BB150_2 Depth=1
	s_mov_b64 s[20:21], 0
	v_mov_b32_e32 v1, v24
	v_mov_b32_e32 v2, v27
.LBB150_12:                             ;   Parent Loop BB150_2 Depth=1
                                        ; =>  This Inner Loop Header: Depth=2
	v_sub_u32_e32 v65, v2, v1
	v_lshrrev_b32_e32 v65, 1, v65
	v_add_u32_e32 v69, v65, v1
	v_not_b32_e32 v66, v69
	v_lshl_add_u32 v65, v69, 3, v23
	v_lshl_add_u32 v67, v66, 3, v25
	ds_read_b64 v[65:66], v65
	ds_read_b64 v[67:68], v67
	v_add_u32_e32 v70, 1, v69
	s_waitcnt lgkmcnt(0)
	v_cmp_lt_i64_e64 s[16:17], v[67:68], v[65:66]
	v_cndmask_b32_e64 v2, v2, v69, s[16:17]
	v_cndmask_b32_e64 v1, v70, v1, s[16:17]
	v_cmp_ge_i32_e64 s[16:17], v1, v2
	s_or_b64 s[20:21], s[16:17], s[20:21]
	s_andn2_b64 exec, exec, s[20:21]
	s_cbranch_execnz .LBB150_12
; %bb.13:                               ;   in Loop: Header=BB150_2 Depth=1
	s_or_b64 exec, exec, s[20:21]
.LBB150_14:                             ;   in Loop: Header=BB150_2 Depth=1
	s_or_b64 exec, exec, s[18:19]
	v_sub_u32_e32 v2, v26, v1
	v_lshl_add_u32 v65, v1, 3, v23
	v_lshlrev_b32_e32 v67, 3, v2
	ds_read_b64 v[65:66], v65
	ds_read_b64 v[67:68], v67
	v_cmp_ge_i32_e64 s[16:17], v1, v22
	v_cmp_gt_i32_e64 s[20:21], v4, v2
	s_waitcnt lgkmcnt(0)
	s_barrier
	v_cmp_lt_i64_e64 s[18:19], v[67:68], v[65:66]
	s_or_b64 s[16:17], s[16:17], s[18:19]
	s_and_b64 s[16:17], s[20:21], s[16:17]
	v_cndmask_b32_e64 v2, v66, v68, s[16:17]
	v_cndmask_b32_e64 v1, v65, v67, s[16:17]
	ds_write_b64 v13, v[1:2]
	v_mov_b32_e32 v1, v30
	s_waitcnt lgkmcnt(0)
	s_barrier
	s_and_saveexec_b64 s[18:19], s[4:5]
	s_cbranch_execz .LBB150_18
; %bb.15:                               ;   in Loop: Header=BB150_2 Depth=1
	s_mov_b64 s[20:21], 0
	v_mov_b32_e32 v1, v30
	v_mov_b32_e32 v2, v33
.LBB150_16:                             ;   Parent Loop BB150_2 Depth=1
                                        ; =>  This Inner Loop Header: Depth=2
	v_sub_u32_e32 v65, v2, v1
	v_lshrrev_b32_e32 v65, 1, v65
	v_add_u32_e32 v69, v65, v1
	v_not_b32_e32 v66, v69
	v_lshl_add_u32 v65, v69, 3, v29
	v_lshl_add_u32 v67, v66, 3, v31
	ds_read_b64 v[65:66], v65
	ds_read_b64 v[67:68], v67
	v_add_u32_e32 v70, 1, v69
	s_waitcnt lgkmcnt(0)
	v_cmp_lt_i64_e64 s[16:17], v[67:68], v[65:66]
	v_cndmask_b32_e64 v2, v2, v69, s[16:17]
	v_cndmask_b32_e64 v1, v70, v1, s[16:17]
	v_cmp_ge_i32_e64 s[16:17], v1, v2
	s_or_b64 s[20:21], s[16:17], s[20:21]
	s_andn2_b64 exec, exec, s[20:21]
	s_cbranch_execnz .LBB150_16
; %bb.17:                               ;   in Loop: Header=BB150_2 Depth=1
	s_or_b64 exec, exec, s[20:21]
.LBB150_18:                             ;   in Loop: Header=BB150_2 Depth=1
	;; [unrolled: 47-line block ×6, first 2 shown]
	s_or_b64 exec, exec, s[18:19]
	v_sub_u32_e32 v2, v57, v1
	v_lshl_add_u32 v65, v1, 3, v53
	v_lshlrev_b32_e32 v67, 3, v2
	ds_read_b64 v[65:66], v65
	ds_read_b64 v[67:68], v67
	v_cmp_ge_i32_e64 s[16:17], v1, v52
	v_cmp_gt_i32_e64 s[20:21], v9, v2
	s_waitcnt lgkmcnt(0)
	s_barrier
	v_cmp_lt_i64_e64 s[18:19], v[67:68], v[65:66]
	s_or_b64 s[16:17], s[16:17], s[18:19]
	s_and_b64 s[16:17], s[20:21], s[16:17]
	v_cndmask_b32_e64 v2, v66, v68, s[16:17]
	v_cndmask_b32_e64 v1, v65, v67, s[16:17]
	ds_write_b64 v13, v[1:2]
	v_mov_b32_e32 v1, v59
	s_waitcnt lgkmcnt(0)
	s_barrier
	s_and_saveexec_b64 s[18:19], s[14:15]
	s_cbranch_execz .LBB150_1
; %bb.35:                               ;   in Loop: Header=BB150_2 Depth=1
	s_mov_b64 s[20:21], 0
	v_mov_b32_e32 v1, v59
	v_mov_b32_e32 v2, v60
.LBB150_36:                             ;   Parent Loop BB150_2 Depth=1
                                        ; =>  This Inner Loop Header: Depth=2
	v_sub_u32_e32 v65, v2, v1
	v_lshrrev_b32_e32 v65, 1, v65
	v_add_u32_e32 v69, v65, v1
	v_not_b32_e32 v66, v69
	v_lshlrev_b32_e32 v65, 3, v69
	v_lshl_add_u32 v67, v66, 3, v64
	ds_read_b64 v[65:66], v65
	ds_read_b64 v[67:68], v67
	v_add_u32_e32 v70, 1, v69
	s_waitcnt lgkmcnt(0)
	v_cmp_lt_i64_e64 s[16:17], v[67:68], v[65:66]
	v_cndmask_b32_e64 v2, v2, v69, s[16:17]
	v_cndmask_b32_e64 v1, v70, v1, s[16:17]
	v_cmp_ge_i32_e64 s[16:17], v1, v2
	s_or_b64 s[20:21], s[16:17], s[20:21]
	s_andn2_b64 exec, exec, s[20:21]
	s_cbranch_execnz .LBB150_36
; %bb.37:                               ;   in Loop: Header=BB150_2 Depth=1
	s_or_b64 exec, exec, s[20:21]
	s_branch .LBB150_1
.LBB150_38:
	s_add_u32 s0, s22, s24
	s_addc_u32 s1, s23, s25
	v_lshlrev_b32_e32 v0, 3, v0
	global_store_dwordx2 v0, v[1:2], s[0:1]
	s_endpgm
	.section	.rodata,"a",@progbits
	.p2align	6, 0x0
	.amdhsa_kernel _Z16sort_keys_kernelIxLj512ELj1EN10test_utils4lessELj10EEvPKT_PS2_T2_
		.amdhsa_group_segment_fixed_size 4104
		.amdhsa_private_segment_fixed_size 0
		.amdhsa_kernarg_size 20
		.amdhsa_user_sgpr_count 6
		.amdhsa_user_sgpr_private_segment_buffer 1
		.amdhsa_user_sgpr_dispatch_ptr 0
		.amdhsa_user_sgpr_queue_ptr 0
		.amdhsa_user_sgpr_kernarg_segment_ptr 1
		.amdhsa_user_sgpr_dispatch_id 0
		.amdhsa_user_sgpr_flat_scratch_init 0
		.amdhsa_user_sgpr_private_segment_size 0
		.amdhsa_uses_dynamic_stack 0
		.amdhsa_system_sgpr_private_segment_wavefront_offset 0
		.amdhsa_system_sgpr_workgroup_id_x 1
		.amdhsa_system_sgpr_workgroup_id_y 0
		.amdhsa_system_sgpr_workgroup_id_z 0
		.amdhsa_system_sgpr_workgroup_info 0
		.amdhsa_system_vgpr_workitem_id 0
		.amdhsa_next_free_vgpr 71
		.amdhsa_next_free_sgpr 28
		.amdhsa_reserve_vcc 1
		.amdhsa_reserve_flat_scratch 0
		.amdhsa_float_round_mode_32 0
		.amdhsa_float_round_mode_16_64 0
		.amdhsa_float_denorm_mode_32 3
		.amdhsa_float_denorm_mode_16_64 3
		.amdhsa_dx10_clamp 1
		.amdhsa_ieee_mode 1
		.amdhsa_fp16_overflow 0
		.amdhsa_exception_fp_ieee_invalid_op 0
		.amdhsa_exception_fp_denorm_src 0
		.amdhsa_exception_fp_ieee_div_zero 0
		.amdhsa_exception_fp_ieee_overflow 0
		.amdhsa_exception_fp_ieee_underflow 0
		.amdhsa_exception_fp_ieee_inexact 0
		.amdhsa_exception_int_div_zero 0
	.end_amdhsa_kernel
	.section	.text._Z16sort_keys_kernelIxLj512ELj1EN10test_utils4lessELj10EEvPKT_PS2_T2_,"axG",@progbits,_Z16sort_keys_kernelIxLj512ELj1EN10test_utils4lessELj10EEvPKT_PS2_T2_,comdat
.Lfunc_end150:
	.size	_Z16sort_keys_kernelIxLj512ELj1EN10test_utils4lessELj10EEvPKT_PS2_T2_, .Lfunc_end150-_Z16sort_keys_kernelIxLj512ELj1EN10test_utils4lessELj10EEvPKT_PS2_T2_
                                        ; -- End function
	.set _Z16sort_keys_kernelIxLj512ELj1EN10test_utils4lessELj10EEvPKT_PS2_T2_.num_vgpr, 71
	.set _Z16sort_keys_kernelIxLj512ELj1EN10test_utils4lessELj10EEvPKT_PS2_T2_.num_agpr, 0
	.set _Z16sort_keys_kernelIxLj512ELj1EN10test_utils4lessELj10EEvPKT_PS2_T2_.numbered_sgpr, 28
	.set _Z16sort_keys_kernelIxLj512ELj1EN10test_utils4lessELj10EEvPKT_PS2_T2_.num_named_barrier, 0
	.set _Z16sort_keys_kernelIxLj512ELj1EN10test_utils4lessELj10EEvPKT_PS2_T2_.private_seg_size, 0
	.set _Z16sort_keys_kernelIxLj512ELj1EN10test_utils4lessELj10EEvPKT_PS2_T2_.uses_vcc, 1
	.set _Z16sort_keys_kernelIxLj512ELj1EN10test_utils4lessELj10EEvPKT_PS2_T2_.uses_flat_scratch, 0
	.set _Z16sort_keys_kernelIxLj512ELj1EN10test_utils4lessELj10EEvPKT_PS2_T2_.has_dyn_sized_stack, 0
	.set _Z16sort_keys_kernelIxLj512ELj1EN10test_utils4lessELj10EEvPKT_PS2_T2_.has_recursion, 0
	.set _Z16sort_keys_kernelIxLj512ELj1EN10test_utils4lessELj10EEvPKT_PS2_T2_.has_indirect_call, 0
	.section	.AMDGPU.csdata,"",@progbits
; Kernel info:
; codeLenInByte = 2912
; TotalNumSgprs: 32
; NumVgprs: 71
; ScratchSize: 0
; MemoryBound: 0
; FloatMode: 240
; IeeeMode: 1
; LDSByteSize: 4104 bytes/workgroup (compile time only)
; SGPRBlocks: 3
; VGPRBlocks: 17
; NumSGPRsForWavesPerEU: 32
; NumVGPRsForWavesPerEU: 71
; Occupancy: 3
; WaveLimiterHint : 0
; COMPUTE_PGM_RSRC2:SCRATCH_EN: 0
; COMPUTE_PGM_RSRC2:USER_SGPR: 6
; COMPUTE_PGM_RSRC2:TRAP_HANDLER: 0
; COMPUTE_PGM_RSRC2:TGID_X_EN: 1
; COMPUTE_PGM_RSRC2:TGID_Y_EN: 0
; COMPUTE_PGM_RSRC2:TGID_Z_EN: 0
; COMPUTE_PGM_RSRC2:TIDIG_COMP_CNT: 0
	.section	.text._Z17sort_pairs_kernelIxLj512ELj1EN10test_utils4lessELj10EEvPKT_PS2_T2_,"axG",@progbits,_Z17sort_pairs_kernelIxLj512ELj1EN10test_utils4lessELj10EEvPKT_PS2_T2_,comdat
	.protected	_Z17sort_pairs_kernelIxLj512ELj1EN10test_utils4lessELj10EEvPKT_PS2_T2_ ; -- Begin function _Z17sort_pairs_kernelIxLj512ELj1EN10test_utils4lessELj10EEvPKT_PS2_T2_
	.globl	_Z17sort_pairs_kernelIxLj512ELj1EN10test_utils4lessELj10EEvPKT_PS2_T2_
	.p2align	8
	.type	_Z17sort_pairs_kernelIxLj512ELj1EN10test_utils4lessELj10EEvPKT_PS2_T2_,@function
_Z17sort_pairs_kernelIxLj512ELj1EN10test_utils4lessELj10EEvPKT_PS2_T2_: ; @_Z17sort_pairs_kernelIxLj512ELj1EN10test_utils4lessELj10EEvPKT_PS2_T2_
; %bb.0:
	s_load_dwordx4 s[20:23], s[4:5], 0x0
	s_lshl_b32 s26, s6, 9
	s_mov_b32 s27, 0
	s_lshl_b64 s[24:25], s[26:27], 3
	v_lshlrev_b32_e32 v5, 3, v0
	s_waitcnt lgkmcnt(0)
	s_add_u32 s0, s20, s24
	s_addc_u32 s1, s21, s25
	global_load_dwordx2 v[1:2], v5, s[0:1]
	v_and_b32_e32 v6, 0x1fc, v0
	v_and_b32_e32 v7, 0x1f8, v0
	v_or_b32_e32 v14, 2, v6
	v_add_u32_e32 v15, 4, v6
	v_and_b32_e32 v51, 3, v0
	v_and_b32_e32 v8, 0x1f0, v0
	v_or_b32_e32 v16, 4, v7
	v_add_u32_e32 v17, 8, v7
	v_sub_u32_e32 v4, v15, v14
	v_and_b32_e32 v53, 7, v0
	v_and_b32_e32 v9, 0x1e0, v0
	v_or_b32_e32 v18, 8, v8
	v_add_u32_e32 v19, 16, v8
	v_sub_u32_e32 v37, v17, v16
	v_sub_u32_e32 v36, v51, v4
	v_cmp_ge_i32_e64 s[0:1], v51, v4
	v_and_b32_e32 v55, 15, v0
	v_and_b32_e32 v10, 0x1c0, v0
	;; [unrolled: 1-line block ×6, first 2 shown]
	v_or_b32_e32 v20, 16, v9
	v_add_u32_e32 v21, 32, v9
	v_sub_u32_e32 v38, v19, v18
	v_sub_u32_e32 v42, v53, v37
	v_cndmask_b32_e64 v36, 0, v36, s[0:1]
	v_cmp_ge_i32_e64 s[0:1], v53, v37
	v_and_b32_e32 v57, 31, v0
	v_or_b32_e32 v22, 32, v10
	v_add_u32_e32 v23, 64, v10
	v_or_b32_e32 v24, 64, v11
	v_add_u32_e32 v25, 0x80, v11
	;; [unrolled: 2-line block ×3, first 2 shown]
	v_add_u32_e32 v3, -1, v49
	v_or_b32_e32 v28, 1, v13
	v_sub_u32_e32 v39, v21, v20
	v_cmp_lt_i32_e32 vcc, 0, v49
	v_sub_u32_e32 v44, v55, v38
	v_cndmask_b32_e64 v37, 0, v42, s[0:1]
	v_cmp_ge_i32_e64 s[0:1], v55, v38
	v_and_b32_e32 v59, 63, v0
	v_and_b32_e32 v61, 0x7f, v0
	v_sub_u32_e32 v40, v23, v22
	v_sub_u32_e32 v41, v25, v24
	;; [unrolled: 1-line block ×3, first 2 shown]
	v_cndmask_b32_e32 v29, 0, v3, vcc
	v_sub_u32_e32 v3, v28, v13
	v_sub_u32_e32 v45, v57, v39
	v_cndmask_b32_e64 v38, 0, v44, s[0:1]
	v_cmp_ge_i32_e64 s[0:1], v57, v39
	v_sub_u32_e32 v31, v14, v6
	v_sub_u32_e32 v32, v16, v7
	;; [unrolled: 1-line block ×7, first 2 shown]
	v_sub_u32_sdwa v48, v0, v43 dst_sel:DWORD dst_unused:UNUSED_PAD src0_sel:BYTE_0 src1_sel:DWORD
	v_min_i32_e32 v30, v49, v3
	v_cndmask_b32_e64 v39, 0, v45, s[0:1]
	v_cmp_ge_i32_e64 s[0:1], v59, v40
	v_cmp_ge_i32_e64 s[10:11], v61, v41
	v_sub_u32_e32 v42, v24, v11
	v_cmp_ge_i32_sdwa s[12:13], v0, v43 src0_sel:BYTE_0 src1_sel:DWORD
	v_sub_u32_e32 v44, v26, v12
	v_mov_b32_e32 v45, 0x100
	v_mov_b32_e32 v62, 3
	v_min_i32_e32 v31, v51, v31
	v_min_i32_e32 v32, v53, v32
	;; [unrolled: 1-line block ×5, first 2 shown]
	v_cndmask_b32_e64 v40, 0, v46, s[0:1]
	v_cndmask_b32_e64 v41, 0, v47, s[10:11]
	v_min_i32_e32 v42, v61, v42
	v_cndmask_b32_e64 v43, 0, v48, s[12:13]
	v_min_i32_sdwa v44, v0, v44 dst_sel:DWORD dst_unused:UNUSED_PAD src0_sel:BYTE_0 src1_sel:DWORD
	s_waitcnt vmcnt(0)
	v_add_co_u32_e64 v3, s[8:9], 1, v1
	v_addc_co_u32_e64 v4, s[8:9], 0, v2, s[8:9]
	v_sub_u32_e64 v46, v0, v45 clamp
	v_min_i32_e32 v47, 0x100, v0
	v_add_u32_e32 v48, v28, v49
	v_lshlrev_b32_e32 v49, 3, v49
	v_add_u32_e32 v50, v14, v51
	v_lshlrev_b32_e32 v51, 3, v51
	;; [unrolled: 2-line block ×7, first 2 shown]
	v_lshlrev_b32_sdwa v62, v62, v0 dst_sel:DWORD dst_unused:UNUSED_PAD src0_sel:DWORD src1_sel:BYTE_0
	v_cmp_lt_i32_e32 vcc, v29, v30
	v_cmp_lt_i32_e64 s[0:1], v36, v31
	v_cmp_lt_i32_e64 s[2:3], v37, v32
	;; [unrolled: 1-line block ×8, first 2 shown]
	v_lshl_add_u32 v49, v28, 3, v49
	v_lshl_add_u32 v51, v14, 3, v51
	;; [unrolled: 1-line block ×8, first 2 shown]
	s_movk_i32 s26, 0x200
	v_lshlrev_b32_e32 v63, 3, v13
	v_lshlrev_b32_e32 v64, 3, v6
	;; [unrolled: 1-line block ×8, first 2 shown]
	v_add_u32_sdwa v71, v26, v0 dst_sel:DWORD dst_unused:UNUSED_PAD src0_sel:DWORD src1_sel:BYTE_0
	v_add_u32_e32 v72, 0x100, v0
	v_add_u32_e32 v73, 0x800, v5
	s_branch .LBB151_2
.LBB151_1:                              ;   in Loop: Header=BB151_2 Depth=1
	s_or_b64 exec, exec, s[18:19]
	v_sub_u32_e32 v78, v72, v1
	v_lshlrev_b32_e32 v2, 3, v1
	v_lshlrev_b32_e32 v76, 3, v78
	ds_read_b64 v[74:75], v2
	ds_read_b64 v[76:77], v76
	v_cmp_le_i32_e64 s[16:17], v45, v1
	v_cmp_gt_i32_e64 s[20:21], s26, v78
	s_waitcnt lgkmcnt(0)
	s_barrier
	v_cmp_lt_i64_e64 s[18:19], v[76:77], v[74:75]
	s_or_b64 s[16:17], s[16:17], s[18:19]
	s_and_b64 s[16:17], s[20:21], s[16:17]
	v_cndmask_b32_e64 v1, v1, v78, s[16:17]
	v_lshlrev_b32_e32 v1, 3, v1
	ds_write_b64 v5, v[3:4]
	s_waitcnt lgkmcnt(0)
	s_barrier
	ds_read_b64 v[3:4], v1
	s_add_i32 s27, s27, 1
	v_cndmask_b32_e64 v2, v75, v77, s[16:17]
	s_cmp_eq_u32 s27, 10
	v_cndmask_b32_e64 v1, v74, v76, s[16:17]
	s_cbranch_scc1 .LBB151_38
.LBB151_2:                              ; =>This Loop Header: Depth=1
                                        ;     Child Loop BB151_4 Depth 2
                                        ;     Child Loop BB151_8 Depth 2
                                        ;     Child Loop BB151_12 Depth 2
                                        ;     Child Loop BB151_16 Depth 2
                                        ;     Child Loop BB151_20 Depth 2
                                        ;     Child Loop BB151_24 Depth 2
                                        ;     Child Loop BB151_28 Depth 2
                                        ;     Child Loop BB151_32 Depth 2
                                        ;     Child Loop BB151_36 Depth 2
	s_waitcnt lgkmcnt(0)
	s_barrier
	ds_write_b64 v5, v[1:2]
	v_mov_b32_e32 v1, v29
	s_waitcnt lgkmcnt(0)
	s_barrier
	s_and_saveexec_b64 s[18:19], vcc
	s_cbranch_execz .LBB151_6
; %bb.3:                                ;   in Loop: Header=BB151_2 Depth=1
	s_mov_b64 s[20:21], 0
	v_mov_b32_e32 v1, v29
	v_mov_b32_e32 v2, v30
.LBB151_4:                              ;   Parent Loop BB151_2 Depth=1
                                        ; =>  This Inner Loop Header: Depth=2
	v_sub_u32_e32 v74, v2, v1
	v_lshrrev_b32_e32 v74, 1, v74
	v_add_u32_e32 v78, v74, v1
	v_not_b32_e32 v75, v78
	v_lshl_add_u32 v74, v78, 3, v63
	v_lshl_add_u32 v76, v75, 3, v49
	ds_read_b64 v[74:75], v74
	ds_read_b64 v[76:77], v76
	v_add_u32_e32 v79, 1, v78
	s_waitcnt lgkmcnt(0)
	v_cmp_lt_i64_e64 s[16:17], v[76:77], v[74:75]
	v_cndmask_b32_e64 v2, v2, v78, s[16:17]
	v_cndmask_b32_e64 v1, v79, v1, s[16:17]
	v_cmp_ge_i32_e64 s[16:17], v1, v2
	s_or_b64 s[20:21], s[16:17], s[20:21]
	s_andn2_b64 exec, exec, s[20:21]
	s_cbranch_execnz .LBB151_4
; %bb.5:                                ;   in Loop: Header=BB151_2 Depth=1
	s_or_b64 exec, exec, s[20:21]
.LBB151_6:                              ;   in Loop: Header=BB151_2 Depth=1
	s_or_b64 exec, exec, s[18:19]
	v_sub_u32_e32 v2, v48, v1
	v_lshl_add_u32 v74, v1, 3, v63
	v_lshlrev_b32_e32 v76, 3, v2
	ds_read_b64 v[74:75], v74
	ds_read_b64 v[76:77], v76
	v_add_u32_e32 v1, v1, v13
	v_cmp_le_i32_e64 s[20:21], v28, v1
	v_cmp_ge_i32_e64 s[16:17], v28, v2
	s_waitcnt lgkmcnt(0)
	v_cmp_lt_i64_e64 s[18:19], v[76:77], v[74:75]
	s_barrier
	s_or_b64 s[18:19], s[20:21], s[18:19]
	s_and_b64 s[16:17], s[16:17], s[18:19]
	v_cndmask_b32_e64 v1, v1, v2, s[16:17]
	v_lshlrev_b32_e32 v1, 3, v1
	ds_write_b64 v5, v[3:4]
	s_waitcnt lgkmcnt(0)
	s_barrier
	ds_read_b64 v[1:2], v1
	v_cndmask_b32_e64 v75, v75, v77, s[16:17]
	v_cndmask_b32_e64 v74, v74, v76, s[16:17]
	v_mov_b32_e32 v3, v36
	s_waitcnt lgkmcnt(0)
	s_barrier
	ds_write_b64 v5, v[74:75]
	s_waitcnt lgkmcnt(0)
	s_barrier
	s_and_saveexec_b64 s[18:19], s[0:1]
	s_cbranch_execz .LBB151_10
; %bb.7:                                ;   in Loop: Header=BB151_2 Depth=1
	s_mov_b64 s[20:21], 0
	v_mov_b32_e32 v3, v36
	v_mov_b32_e32 v4, v31
.LBB151_8:                              ;   Parent Loop BB151_2 Depth=1
                                        ; =>  This Inner Loop Header: Depth=2
	v_sub_u32_e32 v74, v4, v3
	v_lshrrev_b32_e32 v74, 1, v74
	v_add_u32_e32 v78, v74, v3
	v_not_b32_e32 v75, v78
	v_lshl_add_u32 v74, v78, 3, v64
	v_lshl_add_u32 v76, v75, 3, v51
	ds_read_b64 v[74:75], v74
	ds_read_b64 v[76:77], v76
	v_add_u32_e32 v79, 1, v78
	s_waitcnt lgkmcnt(0)
	v_cmp_lt_i64_e64 s[16:17], v[76:77], v[74:75]
	v_cndmask_b32_e64 v4, v4, v78, s[16:17]
	v_cndmask_b32_e64 v3, v79, v3, s[16:17]
	v_cmp_ge_i32_e64 s[16:17], v3, v4
	s_or_b64 s[20:21], s[16:17], s[20:21]
	s_andn2_b64 exec, exec, s[20:21]
	s_cbranch_execnz .LBB151_8
; %bb.9:                                ;   in Loop: Header=BB151_2 Depth=1
	s_or_b64 exec, exec, s[20:21]
.LBB151_10:                             ;   in Loop: Header=BB151_2 Depth=1
	s_or_b64 exec, exec, s[18:19]
	v_sub_u32_e32 v78, v50, v3
	v_lshl_add_u32 v4, v3, 3, v64
	v_lshlrev_b32_e32 v76, 3, v78
	ds_read_b64 v[74:75], v4
	ds_read_b64 v[76:77], v76
	v_add_u32_e32 v79, v3, v6
	v_cmp_le_i32_e64 s[20:21], v14, v79
	v_cmp_gt_i32_e64 s[16:17], v15, v78
	s_waitcnt lgkmcnt(0)
	v_cmp_lt_i64_e64 s[18:19], v[76:77], v[74:75]
	s_barrier
	s_or_b64 s[18:19], s[20:21], s[18:19]
	s_and_b64 s[16:17], s[16:17], s[18:19]
	v_cndmask_b32_e64 v3, v74, v76, s[16:17]
	v_cndmask_b32_e64 v74, v79, v78, s[16:17]
	ds_write_b64 v5, v[1:2]
	v_lshlrev_b32_e32 v1, 3, v74
	s_waitcnt lgkmcnt(0)
	s_barrier
	ds_read_b64 v[1:2], v1
	v_cndmask_b32_e64 v4, v75, v77, s[16:17]
	s_waitcnt lgkmcnt(0)
	s_barrier
	ds_write_b64 v5, v[3:4]
	v_mov_b32_e32 v3, v37
	s_waitcnt lgkmcnt(0)
	s_barrier
	s_and_saveexec_b64 s[18:19], s[2:3]
	s_cbranch_execz .LBB151_14
; %bb.11:                               ;   in Loop: Header=BB151_2 Depth=1
	s_mov_b64 s[20:21], 0
	v_mov_b32_e32 v3, v37
	v_mov_b32_e32 v4, v32
.LBB151_12:                             ;   Parent Loop BB151_2 Depth=1
                                        ; =>  This Inner Loop Header: Depth=2
	v_sub_u32_e32 v74, v4, v3
	v_lshrrev_b32_e32 v74, 1, v74
	v_add_u32_e32 v78, v74, v3
	v_not_b32_e32 v75, v78
	v_lshl_add_u32 v74, v78, 3, v65
	v_lshl_add_u32 v76, v75, 3, v53
	ds_read_b64 v[74:75], v74
	ds_read_b64 v[76:77], v76
	v_add_u32_e32 v79, 1, v78
	s_waitcnt lgkmcnt(0)
	v_cmp_lt_i64_e64 s[16:17], v[76:77], v[74:75]
	v_cndmask_b32_e64 v4, v4, v78, s[16:17]
	v_cndmask_b32_e64 v3, v79, v3, s[16:17]
	v_cmp_ge_i32_e64 s[16:17], v3, v4
	s_or_b64 s[20:21], s[16:17], s[20:21]
	s_andn2_b64 exec, exec, s[20:21]
	s_cbranch_execnz .LBB151_12
; %bb.13:                               ;   in Loop: Header=BB151_2 Depth=1
	s_or_b64 exec, exec, s[20:21]
.LBB151_14:                             ;   in Loop: Header=BB151_2 Depth=1
	s_or_b64 exec, exec, s[18:19]
	v_sub_u32_e32 v78, v52, v3
	v_lshl_add_u32 v4, v3, 3, v65
	v_lshlrev_b32_e32 v76, 3, v78
	ds_read_b64 v[74:75], v4
	ds_read_b64 v[76:77], v76
	v_add_u32_e32 v79, v3, v7
	v_cmp_le_i32_e64 s[20:21], v16, v79
	v_cmp_gt_i32_e64 s[16:17], v17, v78
	s_waitcnt lgkmcnt(0)
	v_cmp_lt_i64_e64 s[18:19], v[76:77], v[74:75]
	s_barrier
	s_or_b64 s[18:19], s[20:21], s[18:19]
	s_and_b64 s[16:17], s[16:17], s[18:19]
	v_cndmask_b32_e64 v3, v74, v76, s[16:17]
	v_cndmask_b32_e64 v74, v79, v78, s[16:17]
	ds_write_b64 v5, v[1:2]
	v_lshlrev_b32_e32 v1, 3, v74
	s_waitcnt lgkmcnt(0)
	s_barrier
	ds_read_b64 v[1:2], v1
	v_cndmask_b32_e64 v4, v75, v77, s[16:17]
	s_waitcnt lgkmcnt(0)
	s_barrier
	ds_write_b64 v5, v[3:4]
	v_mov_b32_e32 v3, v38
	s_waitcnt lgkmcnt(0)
	s_barrier
	s_and_saveexec_b64 s[18:19], s[4:5]
	s_cbranch_execz .LBB151_18
; %bb.15:                               ;   in Loop: Header=BB151_2 Depth=1
	s_mov_b64 s[20:21], 0
	v_mov_b32_e32 v3, v38
	v_mov_b32_e32 v4, v33
.LBB151_16:                             ;   Parent Loop BB151_2 Depth=1
                                        ; =>  This Inner Loop Header: Depth=2
	v_sub_u32_e32 v74, v4, v3
	v_lshrrev_b32_e32 v74, 1, v74
	v_add_u32_e32 v78, v74, v3
	v_not_b32_e32 v75, v78
	v_lshl_add_u32 v74, v78, 3, v66
	v_lshl_add_u32 v76, v75, 3, v55
	ds_read_b64 v[74:75], v74
	ds_read_b64 v[76:77], v76
	v_add_u32_e32 v79, 1, v78
	s_waitcnt lgkmcnt(0)
	v_cmp_lt_i64_e64 s[16:17], v[76:77], v[74:75]
	v_cndmask_b32_e64 v4, v4, v78, s[16:17]
	v_cndmask_b32_e64 v3, v79, v3, s[16:17]
	v_cmp_ge_i32_e64 s[16:17], v3, v4
	s_or_b64 s[20:21], s[16:17], s[20:21]
	s_andn2_b64 exec, exec, s[20:21]
	s_cbranch_execnz .LBB151_16
; %bb.17:                               ;   in Loop: Header=BB151_2 Depth=1
	s_or_b64 exec, exec, s[20:21]
.LBB151_18:                             ;   in Loop: Header=BB151_2 Depth=1
	;; [unrolled: 56-line block ×6, first 2 shown]
	s_or_b64 exec, exec, s[18:19]
	v_sub_u32_e32 v4, v71, v3
	v_lshl_add_u32 v74, v3, 3, v70
	v_lshlrev_b32_e32 v76, 3, v4
	ds_read_b64 v[74:75], v74
	ds_read_b64 v[76:77], v76
	v_add_u32_e32 v3, v3, v12
	v_cmp_le_i32_e64 s[20:21], v26, v3
	v_cmp_gt_i32_e64 s[16:17], v27, v4
	s_waitcnt lgkmcnt(0)
	v_cmp_lt_i64_e64 s[18:19], v[76:77], v[74:75]
	s_barrier
	s_or_b64 s[18:19], s[20:21], s[18:19]
	s_and_b64 s[16:17], s[16:17], s[18:19]
	v_cndmask_b32_e64 v3, v3, v4, s[16:17]
	ds_write_b64 v5, v[1:2]
	v_lshlrev_b32_e32 v1, 3, v3
	s_waitcnt lgkmcnt(0)
	s_barrier
	ds_read_b64 v[3:4], v1
	v_cndmask_b32_e64 v75, v75, v77, s[16:17]
	v_cndmask_b32_e64 v74, v74, v76, s[16:17]
	v_mov_b32_e32 v1, v46
	s_waitcnt lgkmcnt(0)
	s_barrier
	ds_write_b64 v5, v[74:75]
	s_waitcnt lgkmcnt(0)
	s_barrier
	s_and_saveexec_b64 s[18:19], s[14:15]
	s_cbranch_execz .LBB151_1
; %bb.35:                               ;   in Loop: Header=BB151_2 Depth=1
	s_mov_b64 s[20:21], 0
	v_mov_b32_e32 v1, v46
	v_mov_b32_e32 v2, v47
.LBB151_36:                             ;   Parent Loop BB151_2 Depth=1
                                        ; =>  This Inner Loop Header: Depth=2
	v_sub_u32_e32 v74, v2, v1
	v_lshrrev_b32_e32 v74, 1, v74
	v_add_u32_e32 v78, v74, v1
	v_not_b32_e32 v75, v78
	v_lshlrev_b32_e32 v74, 3, v78
	v_lshl_add_u32 v76, v75, 3, v73
	ds_read_b64 v[74:75], v74
	ds_read_b64 v[76:77], v76
	v_add_u32_e32 v79, 1, v78
	s_waitcnt lgkmcnt(0)
	v_cmp_lt_i64_e64 s[16:17], v[76:77], v[74:75]
	v_cndmask_b32_e64 v2, v2, v78, s[16:17]
	v_cndmask_b32_e64 v1, v79, v1, s[16:17]
	v_cmp_ge_i32_e64 s[16:17], v1, v2
	s_or_b64 s[20:21], s[16:17], s[20:21]
	s_andn2_b64 exec, exec, s[20:21]
	s_cbranch_execnz .LBB151_36
; %bb.37:                               ;   in Loop: Header=BB151_2 Depth=1
	s_or_b64 exec, exec, s[20:21]
	s_branch .LBB151_1
.LBB151_38:
	s_waitcnt lgkmcnt(0)
	v_add_co_u32_e32 v1, vcc, v1, v3
	s_add_u32 s0, s22, s24
	v_addc_co_u32_e32 v2, vcc, v2, v4, vcc
	s_addc_u32 s1, s23, s25
	v_lshlrev_b32_e32 v0, 3, v0
	global_store_dwordx2 v0, v[1:2], s[0:1]
	s_endpgm
	.section	.rodata,"a",@progbits
	.p2align	6, 0x0
	.amdhsa_kernel _Z17sort_pairs_kernelIxLj512ELj1EN10test_utils4lessELj10EEvPKT_PS2_T2_
		.amdhsa_group_segment_fixed_size 4104
		.amdhsa_private_segment_fixed_size 0
		.amdhsa_kernarg_size 20
		.amdhsa_user_sgpr_count 6
		.amdhsa_user_sgpr_private_segment_buffer 1
		.amdhsa_user_sgpr_dispatch_ptr 0
		.amdhsa_user_sgpr_queue_ptr 0
		.amdhsa_user_sgpr_kernarg_segment_ptr 1
		.amdhsa_user_sgpr_dispatch_id 0
		.amdhsa_user_sgpr_flat_scratch_init 0
		.amdhsa_user_sgpr_private_segment_size 0
		.amdhsa_uses_dynamic_stack 0
		.amdhsa_system_sgpr_private_segment_wavefront_offset 0
		.amdhsa_system_sgpr_workgroup_id_x 1
		.amdhsa_system_sgpr_workgroup_id_y 0
		.amdhsa_system_sgpr_workgroup_id_z 0
		.amdhsa_system_sgpr_workgroup_info 0
		.amdhsa_system_vgpr_workitem_id 0
		.amdhsa_next_free_vgpr 80
		.amdhsa_next_free_sgpr 28
		.amdhsa_reserve_vcc 1
		.amdhsa_reserve_flat_scratch 0
		.amdhsa_float_round_mode_32 0
		.amdhsa_float_round_mode_16_64 0
		.amdhsa_float_denorm_mode_32 3
		.amdhsa_float_denorm_mode_16_64 3
		.amdhsa_dx10_clamp 1
		.amdhsa_ieee_mode 1
		.amdhsa_fp16_overflow 0
		.amdhsa_exception_fp_ieee_invalid_op 0
		.amdhsa_exception_fp_denorm_src 0
		.amdhsa_exception_fp_ieee_div_zero 0
		.amdhsa_exception_fp_ieee_overflow 0
		.amdhsa_exception_fp_ieee_underflow 0
		.amdhsa_exception_fp_ieee_inexact 0
		.amdhsa_exception_int_div_zero 0
	.end_amdhsa_kernel
	.section	.text._Z17sort_pairs_kernelIxLj512ELj1EN10test_utils4lessELj10EEvPKT_PS2_T2_,"axG",@progbits,_Z17sort_pairs_kernelIxLj512ELj1EN10test_utils4lessELj10EEvPKT_PS2_T2_,comdat
.Lfunc_end151:
	.size	_Z17sort_pairs_kernelIxLj512ELj1EN10test_utils4lessELj10EEvPKT_PS2_T2_, .Lfunc_end151-_Z17sort_pairs_kernelIxLj512ELj1EN10test_utils4lessELj10EEvPKT_PS2_T2_
                                        ; -- End function
	.set _Z17sort_pairs_kernelIxLj512ELj1EN10test_utils4lessELj10EEvPKT_PS2_T2_.num_vgpr, 80
	.set _Z17sort_pairs_kernelIxLj512ELj1EN10test_utils4lessELj10EEvPKT_PS2_T2_.num_agpr, 0
	.set _Z17sort_pairs_kernelIxLj512ELj1EN10test_utils4lessELj10EEvPKT_PS2_T2_.numbered_sgpr, 28
	.set _Z17sort_pairs_kernelIxLj512ELj1EN10test_utils4lessELj10EEvPKT_PS2_T2_.num_named_barrier, 0
	.set _Z17sort_pairs_kernelIxLj512ELj1EN10test_utils4lessELj10EEvPKT_PS2_T2_.private_seg_size, 0
	.set _Z17sort_pairs_kernelIxLj512ELj1EN10test_utils4lessELj10EEvPKT_PS2_T2_.uses_vcc, 1
	.set _Z17sort_pairs_kernelIxLj512ELj1EN10test_utils4lessELj10EEvPKT_PS2_T2_.uses_flat_scratch, 0
	.set _Z17sort_pairs_kernelIxLj512ELj1EN10test_utils4lessELj10EEvPKT_PS2_T2_.has_dyn_sized_stack, 0
	.set _Z17sort_pairs_kernelIxLj512ELj1EN10test_utils4lessELj10EEvPKT_PS2_T2_.has_recursion, 0
	.set _Z17sort_pairs_kernelIxLj512ELj1EN10test_utils4lessELj10EEvPKT_PS2_T2_.has_indirect_call, 0
	.section	.AMDGPU.csdata,"",@progbits
; Kernel info:
; codeLenInByte = 3368
; TotalNumSgprs: 32
; NumVgprs: 80
; ScratchSize: 0
; MemoryBound: 0
; FloatMode: 240
; IeeeMode: 1
; LDSByteSize: 4104 bytes/workgroup (compile time only)
; SGPRBlocks: 3
; VGPRBlocks: 19
; NumSGPRsForWavesPerEU: 32
; NumVGPRsForWavesPerEU: 80
; Occupancy: 3
; WaveLimiterHint : 0
; COMPUTE_PGM_RSRC2:SCRATCH_EN: 0
; COMPUTE_PGM_RSRC2:USER_SGPR: 6
; COMPUTE_PGM_RSRC2:TRAP_HANDLER: 0
; COMPUTE_PGM_RSRC2:TGID_X_EN: 1
; COMPUTE_PGM_RSRC2:TGID_Y_EN: 0
; COMPUTE_PGM_RSRC2:TGID_Z_EN: 0
; COMPUTE_PGM_RSRC2:TIDIG_COMP_CNT: 0
	.section	.text._Z16sort_keys_kernelIxLj512ELj2EN10test_utils4lessELj10EEvPKT_PS2_T2_,"axG",@progbits,_Z16sort_keys_kernelIxLj512ELj2EN10test_utils4lessELj10EEvPKT_PS2_T2_,comdat
	.protected	_Z16sort_keys_kernelIxLj512ELj2EN10test_utils4lessELj10EEvPKT_PS2_T2_ ; -- Begin function _Z16sort_keys_kernelIxLj512ELj2EN10test_utils4lessELj10EEvPKT_PS2_T2_
	.globl	_Z16sort_keys_kernelIxLj512ELj2EN10test_utils4lessELj10EEvPKT_PS2_T2_
	.p2align	8
	.type	_Z16sort_keys_kernelIxLj512ELj2EN10test_utils4lessELj10EEvPKT_PS2_T2_,@function
_Z16sort_keys_kernelIxLj512ELj2EN10test_utils4lessELj10EEvPKT_PS2_T2_: ; @_Z16sort_keys_kernelIxLj512ELj2EN10test_utils4lessELj10EEvPKT_PS2_T2_
; %bb.0:
	s_load_dwordx4 s[20:23], s[4:5], 0x0
	s_lshl_b32 s24, s6, 10
	s_mov_b32 s25, 0
	s_lshl_b64 s[26:27], s[24:25], 3
	v_lshlrev_b32_e32 v7, 3, v0
	s_waitcnt lgkmcnt(0)
	s_add_u32 s0, s20, s26
	s_addc_u32 s1, s21, s27
	v_mov_b32_e32 v1, s1
	v_add_co_u32_e32 v2, vcc, s0, v7
	v_addc_co_u32_e32 v1, vcc, 0, v1, vcc
	s_movk_i32 s2, 0x1000
	v_add_co_u32_e32 v5, vcc, s2, v2
	v_addc_co_u32_e32 v6, vcc, 0, v1, vcc
	global_load_dwordx2 v[3:4], v[5:6], off
	global_load_dwordx2 v[1:2], v7, s[0:1]
	v_lshlrev_b32_e32 v8, 1, v0
	v_and_b32_e32 v30, 0x3fc, v8
	v_and_b32_e32 v9, 0x3f8, v8
	v_or_b32_e32 v31, 2, v30
	v_add_u32_e32 v32, 4, v30
	v_or_b32_e32 v10, 4, v9
	v_add_u32_e32 v11, 8, v9
	v_and_b32_e32 v12, 0x3f0, v8
	v_and_b32_e32 v54, 2, v8
	v_sub_u32_e32 v33, v32, v31
	v_and_b32_e32 v56, 6, v8
	v_sub_u32_e32 v35, v11, v10
	v_or_b32_e32 v13, 8, v12
	v_add_u32_e32 v14, 16, v12
	v_and_b32_e32 v15, 0x3e0, v8
	v_sub_u32_e32 v34, v54, v33
	v_cmp_ge_i32_e32 vcc, v54, v33
	v_sub_u32_e32 v5, v31, v30
	v_sub_u32_e32 v36, v56, v35
	v_and_b32_e32 v58, 14, v8
	v_sub_u32_e32 v37, v14, v13
	v_or_b32_e32 v16, 16, v15
	v_add_u32_e32 v17, 32, v15
	v_and_b32_e32 v18, 0x3c0, v8
	v_cndmask_b32_e32 v33, 0, v34, vcc
	v_min_i32_e32 v34, v54, v5
	v_cmp_ge_i32_e64 s[0:1], v56, v35
	v_sub_u32_e32 v5, v10, v9
	v_sub_u32_e32 v38, v58, v37
	v_and_b32_e32 v60, 30, v8
	v_sub_u32_e32 v39, v17, v16
	v_or_b32_e32 v19, 32, v18
	v_add_u32_e32 v20, 64, v18
	v_and_b32_e32 v21, 0x380, v8
	v_cndmask_b32_e64 v35, 0, v36, s[0:1]
	v_min_i32_e32 v36, v56, v5
	v_cmp_ge_i32_e64 s[2:3], v58, v37
	v_sub_u32_e32 v5, v13, v12
	v_sub_u32_e32 v40, v60, v39
	v_and_b32_e32 v62, 62, v8
	v_sub_u32_e32 v41, v20, v19
	v_or_b32_e32 v22, 64, v21
	v_add_u32_e32 v23, 0x80, v21
	v_and_b32_e32 v24, 0x300, v8
	v_cndmask_b32_e64 v37, 0, v38, s[2:3]
	;; [unrolled: 10-line block ×3, first 2 shown]
	v_min_i32_e32 v40, v60, v5
	v_cmp_ge_i32_e64 s[6:7], v62, v41
	v_sub_u32_e32 v5, v19, v18
	v_sub_u32_e32 v44, v64, v43
	v_and_b32_e32 v66, 0xfe, v8
	v_sub_u32_e32 v45, v26, v25
	v_or_b32_e32 v28, 0x100, v27
	v_add_u32_e32 v29, 0x200, v27
	v_cndmask_b32_e64 v41, 0, v42, s[6:7]
	v_min_i32_e32 v42, v62, v5
	v_cmp_ge_i32_e64 s[8:9], v64, v43
	v_sub_u32_e32 v5, v22, v21
	v_sub_u32_e32 v46, v66, v45
	v_and_b32_e32 v68, 0x1fe, v8
	v_sub_u32_e32 v47, v29, v28
	v_cndmask_b32_e64 v43, 0, v44, s[8:9]
	v_min_i32_e32 v44, v64, v5
	v_cmp_ge_i32_e64 s[10:11], v66, v45
	v_sub_u32_e32 v5, v25, v24
	v_sub_u32_e32 v48, v68, v47
	v_cndmask_b32_e64 v45, 0, v46, s[10:11]
	v_min_i32_e32 v46, v66, v5
	v_cmp_ge_i32_e64 s[12:13], v68, v47
	v_sub_u32_e32 v5, v28, v27
	v_cndmask_b32_e64 v47, 0, v48, s[12:13]
	v_min_i32_e32 v48, v68, v5
	v_lshlrev_b32_e32 v5, 3, v54
	v_add_u32_e32 v53, v31, v54
	v_lshl_add_u32 v54, v31, 3, v5
	v_lshlrev_b32_e32 v5, 3, v56
	v_add_u32_e32 v55, v10, v56
	v_lshl_add_u32 v56, v10, 3, v5
	;; [unrolled: 3-line block ×5, first 2 shown]
	v_lshlrev_b32_e32 v5, 3, v64
	v_mov_b32_e32 v49, 0x200
	v_add_u32_e32 v63, v22, v64
	v_lshl_add_u32 v64, v22, 3, v5
	v_lshlrev_b32_e32 v5, 3, v66
	v_sub_u32_e64 v50, v8, v49 clamp
	v_min_i32_e32 v51, 0x200, v8
	v_add_u32_e32 v65, v25, v66
	v_lshl_add_u32 v66, v25, 3, v5
	v_lshlrev_b32_e32 v5, 3, v68
	v_lshlrev_b32_e32 v69, 4, v0
	v_cmp_lt_i32_e32 vcc, v33, v34
	v_cmp_lt_i32_e64 s[0:1], v35, v36
	v_cmp_lt_i32_e64 s[2:3], v37, v38
	;; [unrolled: 1-line block ×8, first 2 shown]
	v_add_u32_e32 v52, 0x200, v8
	v_add_u32_e32 v67, v28, v68
	v_lshl_add_u32 v68, v28, 3, v5
	s_movk_i32 s24, 0x400
	v_lshlrev_b32_e32 v70, 3, v30
	v_lshlrev_b32_e32 v71, 3, v9
	;; [unrolled: 1-line block ×8, first 2 shown]
	v_add_u32_e32 v78, 0x1000, v69
	s_branch .LBB152_2
.LBB152_1:                              ;   in Loop: Header=BB152_2 Depth=1
	s_or_b64 exec, exec, s[18:19]
	s_waitcnt lgkmcnt(0)
	v_cmp_lt_i64_e64 s[18:19], v[7:8], v[5:6]
	v_cmp_ge_i32_e64 s[20:21], v79, v49
	v_cndmask_b32_e64 v2, v2, v4, s[16:17]
	v_cndmask_b32_e64 v1, v1, v3, s[16:17]
	v_cmp_gt_i32_e64 s[16:17], s24, v80
	s_or_b64 s[18:19], s[20:21], s[18:19]
	s_and_b64 s[16:17], s[16:17], s[18:19]
	s_add_i32 s25, s25, 1
	v_cndmask_b32_e64 v4, v6, v8, s[16:17]
	s_cmp_eq_u32 s25, 10
	v_cndmask_b32_e64 v3, v5, v7, s[16:17]
	s_cbranch_scc1 .LBB152_74
.LBB152_2:                              ; =>This Loop Header: Depth=1
                                        ;     Child Loop BB152_4 Depth 2
                                        ;     Child Loop BB152_12 Depth 2
	;; [unrolled: 1-line block ×9, first 2 shown]
	s_waitcnt vmcnt(0)
	v_cmp_lt_i64_e64 s[16:17], v[3:4], v[1:2]
	v_cndmask_b32_e64 v6, v4, v2, s[16:17]
	v_cndmask_b32_e64 v5, v3, v1, s[16:17]
	;; [unrolled: 1-line block ×4, first 2 shown]
	s_barrier
	ds_write2_b64 v69, v[1:2], v[5:6] offset1:1
	v_mov_b32_e32 v5, v33
	s_waitcnt lgkmcnt(0)
	s_barrier
	s_and_saveexec_b64 s[18:19], vcc
	s_cbranch_execz .LBB152_6
; %bb.3:                                ;   in Loop: Header=BB152_2 Depth=1
	s_mov_b64 s[20:21], 0
	v_mov_b32_e32 v5, v33
	v_mov_b32_e32 v1, v34
.LBB152_4:                              ;   Parent Loop BB152_2 Depth=1
                                        ; =>  This Inner Loop Header: Depth=2
	v_sub_u32_e32 v2, v1, v5
	v_lshrrev_b32_e32 v2, 1, v2
	v_add_u32_e32 v4, v2, v5
	v_not_b32_e32 v3, v4
	v_lshl_add_u32 v2, v4, 3, v70
	v_lshl_add_u32 v6, v3, 3, v54
	ds_read_b64 v[2:3], v2
	ds_read_b64 v[6:7], v6
	v_add_u32_e32 v8, 1, v4
	s_waitcnt lgkmcnt(0)
	v_cmp_lt_i64_e64 s[16:17], v[6:7], v[2:3]
	v_cndmask_b32_e64 v1, v1, v4, s[16:17]
	v_cndmask_b32_e64 v5, v8, v5, s[16:17]
	v_cmp_ge_i32_e64 s[16:17], v5, v1
	s_or_b64 s[20:21], s[16:17], s[20:21]
	s_andn2_b64 exec, exec, s[20:21]
	s_cbranch_execnz .LBB152_4
; %bb.5:                                ;   in Loop: Header=BB152_2 Depth=1
	s_or_b64 exec, exec, s[20:21]
.LBB152_6:                              ;   in Loop: Header=BB152_2 Depth=1
	s_or_b64 exec, exec, s[18:19]
	v_sub_u32_e32 v79, v53, v5
	v_lshl_add_u32 v7, v5, 3, v70
	v_lshlrev_b32_e32 v81, 3, v79
	ds_read_b64 v[1:2], v7
	ds_read_b64 v[3:4], v81
	v_add_u32_e32 v80, v5, v30
	v_cmp_le_i32_e64 s[20:21], v31, v80
	v_cmp_gt_i32_e64 s[16:17], v32, v79
                                        ; implicit-def: $vgpr5_vgpr6
	s_waitcnt lgkmcnt(0)
	v_cmp_lt_i64_e64 s[18:19], v[3:4], v[1:2]
	s_or_b64 s[18:19], s[20:21], s[18:19]
	s_and_b64 s[16:17], s[16:17], s[18:19]
	s_xor_b64 s[18:19], s[16:17], -1
	s_and_saveexec_b64 s[20:21], s[18:19]
	s_xor_b64 s[18:19], exec, s[20:21]
; %bb.7:                                ;   in Loop: Header=BB152_2 Depth=1
	ds_read_b64 v[5:6], v7 offset:8
                                        ; implicit-def: $vgpr81
; %bb.8:                                ;   in Loop: Header=BB152_2 Depth=1
	s_or_saveexec_b64 s[18:19], s[18:19]
	v_mov_b32_e32 v8, v4
	v_mov_b32_e32 v7, v3
	s_xor_b64 exec, exec, s[18:19]
	s_cbranch_execz .LBB152_10
; %bb.9:                                ;   in Loop: Header=BB152_2 Depth=1
	ds_read_b64 v[7:8], v81 offset:8
	s_waitcnt lgkmcnt(1)
	v_mov_b32_e32 v6, v2
	v_mov_b32_e32 v5, v1
.LBB152_10:                             ;   in Loop: Header=BB152_2 Depth=1
	s_or_b64 exec, exec, s[18:19]
	v_cndmask_b32_e64 v2, v2, v4, s[16:17]
	v_add_u32_e32 v4, 1, v80
	v_cndmask_b32_e64 v1, v1, v3, s[16:17]
	v_add_u32_e32 v3, 1, v79
	v_cndmask_b32_e64 v4, v4, v80, s[16:17]
	s_waitcnt lgkmcnt(0)
	v_cmp_lt_i64_e64 s[18:19], v[7:8], v[5:6]
	v_cndmask_b32_e64 v3, v79, v3, s[16:17]
	v_cmp_ge_i32_e64 s[20:21], v4, v31
	v_cmp_lt_i32_e64 s[16:17], v3, v32
	s_or_b64 s[18:19], s[20:21], s[18:19]
	s_and_b64 s[16:17], s[16:17], s[18:19]
	v_cndmask_b32_e64 v4, v6, v8, s[16:17]
	v_cndmask_b32_e64 v3, v5, v7, s[16:17]
	v_mov_b32_e32 v5, v35
	s_barrier
	ds_write2_b64 v69, v[1:2], v[3:4] offset1:1
	s_waitcnt lgkmcnt(0)
	s_barrier
	s_and_saveexec_b64 s[18:19], s[0:1]
	s_cbranch_execz .LBB152_14
; %bb.11:                               ;   in Loop: Header=BB152_2 Depth=1
	s_mov_b64 s[20:21], 0
	v_mov_b32_e32 v5, v35
	v_mov_b32_e32 v1, v36
.LBB152_12:                             ;   Parent Loop BB152_2 Depth=1
                                        ; =>  This Inner Loop Header: Depth=2
	v_sub_u32_e32 v2, v1, v5
	v_lshrrev_b32_e32 v2, 1, v2
	v_add_u32_e32 v4, v2, v5
	v_not_b32_e32 v3, v4
	v_lshl_add_u32 v2, v4, 3, v71
	v_lshl_add_u32 v6, v3, 3, v56
	ds_read_b64 v[2:3], v2
	ds_read_b64 v[6:7], v6
	v_add_u32_e32 v8, 1, v4
	s_waitcnt lgkmcnt(0)
	v_cmp_lt_i64_e64 s[16:17], v[6:7], v[2:3]
	v_cndmask_b32_e64 v1, v1, v4, s[16:17]
	v_cndmask_b32_e64 v5, v8, v5, s[16:17]
	v_cmp_ge_i32_e64 s[16:17], v5, v1
	s_or_b64 s[20:21], s[16:17], s[20:21]
	s_andn2_b64 exec, exec, s[20:21]
	s_cbranch_execnz .LBB152_12
; %bb.13:                               ;   in Loop: Header=BB152_2 Depth=1
	s_or_b64 exec, exec, s[20:21]
.LBB152_14:                             ;   in Loop: Header=BB152_2 Depth=1
	s_or_b64 exec, exec, s[18:19]
	v_sub_u32_e32 v79, v55, v5
	v_lshl_add_u32 v7, v5, 3, v71
	v_lshlrev_b32_e32 v81, 3, v79
	ds_read_b64 v[1:2], v7
	ds_read_b64 v[3:4], v81
	v_add_u32_e32 v80, v5, v9
	v_cmp_le_i32_e64 s[20:21], v10, v80
	v_cmp_gt_i32_e64 s[16:17], v11, v79
                                        ; implicit-def: $vgpr5_vgpr6
	s_waitcnt lgkmcnt(0)
	v_cmp_lt_i64_e64 s[18:19], v[3:4], v[1:2]
	s_or_b64 s[18:19], s[20:21], s[18:19]
	s_and_b64 s[16:17], s[16:17], s[18:19]
	s_xor_b64 s[18:19], s[16:17], -1
	s_and_saveexec_b64 s[20:21], s[18:19]
	s_xor_b64 s[18:19], exec, s[20:21]
; %bb.15:                               ;   in Loop: Header=BB152_2 Depth=1
	ds_read_b64 v[5:6], v7 offset:8
                                        ; implicit-def: $vgpr81
; %bb.16:                               ;   in Loop: Header=BB152_2 Depth=1
	s_or_saveexec_b64 s[18:19], s[18:19]
	v_mov_b32_e32 v8, v4
	v_mov_b32_e32 v7, v3
	s_xor_b64 exec, exec, s[18:19]
	s_cbranch_execz .LBB152_18
; %bb.17:                               ;   in Loop: Header=BB152_2 Depth=1
	ds_read_b64 v[7:8], v81 offset:8
	s_waitcnt lgkmcnt(1)
	v_mov_b32_e32 v6, v2
	v_mov_b32_e32 v5, v1
.LBB152_18:                             ;   in Loop: Header=BB152_2 Depth=1
	s_or_b64 exec, exec, s[18:19]
	v_cndmask_b32_e64 v2, v2, v4, s[16:17]
	v_add_u32_e32 v4, 1, v80
	v_cndmask_b32_e64 v1, v1, v3, s[16:17]
	v_add_u32_e32 v3, 1, v79
	v_cndmask_b32_e64 v4, v4, v80, s[16:17]
	s_waitcnt lgkmcnt(0)
	v_cmp_lt_i64_e64 s[18:19], v[7:8], v[5:6]
	v_cndmask_b32_e64 v3, v79, v3, s[16:17]
	v_cmp_ge_i32_e64 s[20:21], v4, v10
	v_cmp_lt_i32_e64 s[16:17], v3, v11
	s_or_b64 s[18:19], s[20:21], s[18:19]
	s_and_b64 s[16:17], s[16:17], s[18:19]
	v_cndmask_b32_e64 v4, v6, v8, s[16:17]
	v_cndmask_b32_e64 v3, v5, v7, s[16:17]
	v_mov_b32_e32 v5, v37
	s_barrier
	ds_write2_b64 v69, v[1:2], v[3:4] offset1:1
	s_waitcnt lgkmcnt(0)
	s_barrier
	s_and_saveexec_b64 s[18:19], s[2:3]
	s_cbranch_execz .LBB152_22
; %bb.19:                               ;   in Loop: Header=BB152_2 Depth=1
	s_mov_b64 s[20:21], 0
	v_mov_b32_e32 v5, v37
	v_mov_b32_e32 v1, v38
.LBB152_20:                             ;   Parent Loop BB152_2 Depth=1
                                        ; =>  This Inner Loop Header: Depth=2
	v_sub_u32_e32 v2, v1, v5
	v_lshrrev_b32_e32 v2, 1, v2
	v_add_u32_e32 v4, v2, v5
	v_not_b32_e32 v3, v4
	v_lshl_add_u32 v2, v4, 3, v72
	v_lshl_add_u32 v6, v3, 3, v58
	ds_read_b64 v[2:3], v2
	ds_read_b64 v[6:7], v6
	v_add_u32_e32 v8, 1, v4
	s_waitcnt lgkmcnt(0)
	v_cmp_lt_i64_e64 s[16:17], v[6:7], v[2:3]
	v_cndmask_b32_e64 v1, v1, v4, s[16:17]
	v_cndmask_b32_e64 v5, v8, v5, s[16:17]
	v_cmp_ge_i32_e64 s[16:17], v5, v1
	s_or_b64 s[20:21], s[16:17], s[20:21]
	s_andn2_b64 exec, exec, s[20:21]
	s_cbranch_execnz .LBB152_20
; %bb.21:                               ;   in Loop: Header=BB152_2 Depth=1
	s_or_b64 exec, exec, s[20:21]
.LBB152_22:                             ;   in Loop: Header=BB152_2 Depth=1
	s_or_b64 exec, exec, s[18:19]
	v_sub_u32_e32 v79, v57, v5
	v_lshl_add_u32 v7, v5, 3, v72
	v_lshlrev_b32_e32 v81, 3, v79
	ds_read_b64 v[1:2], v7
	ds_read_b64 v[3:4], v81
	v_add_u32_e32 v80, v5, v12
	v_cmp_le_i32_e64 s[20:21], v13, v80
	v_cmp_gt_i32_e64 s[16:17], v14, v79
                                        ; implicit-def: $vgpr5_vgpr6
	s_waitcnt lgkmcnt(0)
	v_cmp_lt_i64_e64 s[18:19], v[3:4], v[1:2]
	s_or_b64 s[18:19], s[20:21], s[18:19]
	s_and_b64 s[16:17], s[16:17], s[18:19]
	s_xor_b64 s[18:19], s[16:17], -1
	s_and_saveexec_b64 s[20:21], s[18:19]
	s_xor_b64 s[18:19], exec, s[20:21]
; %bb.23:                               ;   in Loop: Header=BB152_2 Depth=1
	ds_read_b64 v[5:6], v7 offset:8
                                        ; implicit-def: $vgpr81
; %bb.24:                               ;   in Loop: Header=BB152_2 Depth=1
	s_or_saveexec_b64 s[18:19], s[18:19]
	v_mov_b32_e32 v8, v4
	v_mov_b32_e32 v7, v3
	s_xor_b64 exec, exec, s[18:19]
	s_cbranch_execz .LBB152_26
; %bb.25:                               ;   in Loop: Header=BB152_2 Depth=1
	ds_read_b64 v[7:8], v81 offset:8
	s_waitcnt lgkmcnt(1)
	v_mov_b32_e32 v6, v2
	v_mov_b32_e32 v5, v1
.LBB152_26:                             ;   in Loop: Header=BB152_2 Depth=1
	s_or_b64 exec, exec, s[18:19]
	v_cndmask_b32_e64 v2, v2, v4, s[16:17]
	v_add_u32_e32 v4, 1, v80
	v_cndmask_b32_e64 v1, v1, v3, s[16:17]
	v_add_u32_e32 v3, 1, v79
	v_cndmask_b32_e64 v4, v4, v80, s[16:17]
	s_waitcnt lgkmcnt(0)
	v_cmp_lt_i64_e64 s[18:19], v[7:8], v[5:6]
	v_cndmask_b32_e64 v3, v79, v3, s[16:17]
	v_cmp_ge_i32_e64 s[20:21], v4, v13
	v_cmp_lt_i32_e64 s[16:17], v3, v14
	s_or_b64 s[18:19], s[20:21], s[18:19]
	s_and_b64 s[16:17], s[16:17], s[18:19]
	v_cndmask_b32_e64 v4, v6, v8, s[16:17]
	v_cndmask_b32_e64 v3, v5, v7, s[16:17]
	v_mov_b32_e32 v5, v39
	s_barrier
	ds_write2_b64 v69, v[1:2], v[3:4] offset1:1
	s_waitcnt lgkmcnt(0)
	s_barrier
	s_and_saveexec_b64 s[18:19], s[4:5]
	s_cbranch_execz .LBB152_30
; %bb.27:                               ;   in Loop: Header=BB152_2 Depth=1
	s_mov_b64 s[20:21], 0
	v_mov_b32_e32 v5, v39
	v_mov_b32_e32 v1, v40
.LBB152_28:                             ;   Parent Loop BB152_2 Depth=1
                                        ; =>  This Inner Loop Header: Depth=2
	v_sub_u32_e32 v2, v1, v5
	v_lshrrev_b32_e32 v2, 1, v2
	v_add_u32_e32 v4, v2, v5
	v_not_b32_e32 v3, v4
	v_lshl_add_u32 v2, v4, 3, v73
	v_lshl_add_u32 v6, v3, 3, v60
	ds_read_b64 v[2:3], v2
	ds_read_b64 v[6:7], v6
	v_add_u32_e32 v8, 1, v4
	s_waitcnt lgkmcnt(0)
	v_cmp_lt_i64_e64 s[16:17], v[6:7], v[2:3]
	v_cndmask_b32_e64 v1, v1, v4, s[16:17]
	v_cndmask_b32_e64 v5, v8, v5, s[16:17]
	v_cmp_ge_i32_e64 s[16:17], v5, v1
	s_or_b64 s[20:21], s[16:17], s[20:21]
	s_andn2_b64 exec, exec, s[20:21]
	s_cbranch_execnz .LBB152_28
; %bb.29:                               ;   in Loop: Header=BB152_2 Depth=1
	s_or_b64 exec, exec, s[20:21]
.LBB152_30:                             ;   in Loop: Header=BB152_2 Depth=1
	s_or_b64 exec, exec, s[18:19]
	v_sub_u32_e32 v79, v59, v5
	v_lshl_add_u32 v7, v5, 3, v73
	v_lshlrev_b32_e32 v81, 3, v79
	ds_read_b64 v[1:2], v7
	ds_read_b64 v[3:4], v81
	v_add_u32_e32 v80, v5, v15
	v_cmp_le_i32_e64 s[20:21], v16, v80
	v_cmp_gt_i32_e64 s[16:17], v17, v79
                                        ; implicit-def: $vgpr5_vgpr6
	s_waitcnt lgkmcnt(0)
	v_cmp_lt_i64_e64 s[18:19], v[3:4], v[1:2]
	s_or_b64 s[18:19], s[20:21], s[18:19]
	s_and_b64 s[16:17], s[16:17], s[18:19]
	s_xor_b64 s[18:19], s[16:17], -1
	s_and_saveexec_b64 s[20:21], s[18:19]
	s_xor_b64 s[18:19], exec, s[20:21]
; %bb.31:                               ;   in Loop: Header=BB152_2 Depth=1
	ds_read_b64 v[5:6], v7 offset:8
                                        ; implicit-def: $vgpr81
; %bb.32:                               ;   in Loop: Header=BB152_2 Depth=1
	s_or_saveexec_b64 s[18:19], s[18:19]
	v_mov_b32_e32 v8, v4
	v_mov_b32_e32 v7, v3
	s_xor_b64 exec, exec, s[18:19]
	s_cbranch_execz .LBB152_34
; %bb.33:                               ;   in Loop: Header=BB152_2 Depth=1
	ds_read_b64 v[7:8], v81 offset:8
	s_waitcnt lgkmcnt(1)
	v_mov_b32_e32 v6, v2
	v_mov_b32_e32 v5, v1
.LBB152_34:                             ;   in Loop: Header=BB152_2 Depth=1
	s_or_b64 exec, exec, s[18:19]
	v_cndmask_b32_e64 v2, v2, v4, s[16:17]
	v_add_u32_e32 v4, 1, v80
	v_cndmask_b32_e64 v1, v1, v3, s[16:17]
	v_add_u32_e32 v3, 1, v79
	v_cndmask_b32_e64 v4, v4, v80, s[16:17]
	s_waitcnt lgkmcnt(0)
	v_cmp_lt_i64_e64 s[18:19], v[7:8], v[5:6]
	v_cndmask_b32_e64 v3, v79, v3, s[16:17]
	v_cmp_ge_i32_e64 s[20:21], v4, v16
	v_cmp_lt_i32_e64 s[16:17], v3, v17
	s_or_b64 s[18:19], s[20:21], s[18:19]
	s_and_b64 s[16:17], s[16:17], s[18:19]
	v_cndmask_b32_e64 v4, v6, v8, s[16:17]
	v_cndmask_b32_e64 v3, v5, v7, s[16:17]
	v_mov_b32_e32 v5, v41
	s_barrier
	ds_write2_b64 v69, v[1:2], v[3:4] offset1:1
	s_waitcnt lgkmcnt(0)
	s_barrier
	s_and_saveexec_b64 s[18:19], s[6:7]
	s_cbranch_execz .LBB152_38
; %bb.35:                               ;   in Loop: Header=BB152_2 Depth=1
	s_mov_b64 s[20:21], 0
	v_mov_b32_e32 v5, v41
	v_mov_b32_e32 v1, v42
.LBB152_36:                             ;   Parent Loop BB152_2 Depth=1
                                        ; =>  This Inner Loop Header: Depth=2
	v_sub_u32_e32 v2, v1, v5
	v_lshrrev_b32_e32 v2, 1, v2
	v_add_u32_e32 v4, v2, v5
	v_not_b32_e32 v3, v4
	v_lshl_add_u32 v2, v4, 3, v74
	v_lshl_add_u32 v6, v3, 3, v62
	ds_read_b64 v[2:3], v2
	ds_read_b64 v[6:7], v6
	v_add_u32_e32 v8, 1, v4
	s_waitcnt lgkmcnt(0)
	v_cmp_lt_i64_e64 s[16:17], v[6:7], v[2:3]
	v_cndmask_b32_e64 v1, v1, v4, s[16:17]
	v_cndmask_b32_e64 v5, v8, v5, s[16:17]
	v_cmp_ge_i32_e64 s[16:17], v5, v1
	s_or_b64 s[20:21], s[16:17], s[20:21]
	s_andn2_b64 exec, exec, s[20:21]
	s_cbranch_execnz .LBB152_36
; %bb.37:                               ;   in Loop: Header=BB152_2 Depth=1
	s_or_b64 exec, exec, s[20:21]
.LBB152_38:                             ;   in Loop: Header=BB152_2 Depth=1
	s_or_b64 exec, exec, s[18:19]
	v_sub_u32_e32 v79, v61, v5
	v_lshl_add_u32 v7, v5, 3, v74
	v_lshlrev_b32_e32 v81, 3, v79
	ds_read_b64 v[1:2], v7
	ds_read_b64 v[3:4], v81
	v_add_u32_e32 v80, v5, v18
	v_cmp_le_i32_e64 s[20:21], v19, v80
	v_cmp_gt_i32_e64 s[16:17], v20, v79
                                        ; implicit-def: $vgpr5_vgpr6
	s_waitcnt lgkmcnt(0)
	v_cmp_lt_i64_e64 s[18:19], v[3:4], v[1:2]
	s_or_b64 s[18:19], s[20:21], s[18:19]
	s_and_b64 s[16:17], s[16:17], s[18:19]
	s_xor_b64 s[18:19], s[16:17], -1
	s_and_saveexec_b64 s[20:21], s[18:19]
	s_xor_b64 s[18:19], exec, s[20:21]
; %bb.39:                               ;   in Loop: Header=BB152_2 Depth=1
	ds_read_b64 v[5:6], v7 offset:8
                                        ; implicit-def: $vgpr81
; %bb.40:                               ;   in Loop: Header=BB152_2 Depth=1
	s_or_saveexec_b64 s[18:19], s[18:19]
	v_mov_b32_e32 v8, v4
	v_mov_b32_e32 v7, v3
	s_xor_b64 exec, exec, s[18:19]
	s_cbranch_execz .LBB152_42
; %bb.41:                               ;   in Loop: Header=BB152_2 Depth=1
	ds_read_b64 v[7:8], v81 offset:8
	s_waitcnt lgkmcnt(1)
	v_mov_b32_e32 v6, v2
	v_mov_b32_e32 v5, v1
.LBB152_42:                             ;   in Loop: Header=BB152_2 Depth=1
	s_or_b64 exec, exec, s[18:19]
	v_cndmask_b32_e64 v2, v2, v4, s[16:17]
	v_add_u32_e32 v4, 1, v80
	v_cndmask_b32_e64 v1, v1, v3, s[16:17]
	v_add_u32_e32 v3, 1, v79
	v_cndmask_b32_e64 v4, v4, v80, s[16:17]
	s_waitcnt lgkmcnt(0)
	v_cmp_lt_i64_e64 s[18:19], v[7:8], v[5:6]
	v_cndmask_b32_e64 v3, v79, v3, s[16:17]
	v_cmp_ge_i32_e64 s[20:21], v4, v19
	v_cmp_lt_i32_e64 s[16:17], v3, v20
	s_or_b64 s[18:19], s[20:21], s[18:19]
	s_and_b64 s[16:17], s[16:17], s[18:19]
	v_cndmask_b32_e64 v4, v6, v8, s[16:17]
	v_cndmask_b32_e64 v3, v5, v7, s[16:17]
	v_mov_b32_e32 v5, v43
	s_barrier
	ds_write2_b64 v69, v[1:2], v[3:4] offset1:1
	s_waitcnt lgkmcnt(0)
	s_barrier
	s_and_saveexec_b64 s[18:19], s[8:9]
	s_cbranch_execz .LBB152_46
; %bb.43:                               ;   in Loop: Header=BB152_2 Depth=1
	s_mov_b64 s[20:21], 0
	v_mov_b32_e32 v5, v43
	v_mov_b32_e32 v1, v44
.LBB152_44:                             ;   Parent Loop BB152_2 Depth=1
                                        ; =>  This Inner Loop Header: Depth=2
	v_sub_u32_e32 v2, v1, v5
	v_lshrrev_b32_e32 v2, 1, v2
	v_add_u32_e32 v4, v2, v5
	v_not_b32_e32 v3, v4
	v_lshl_add_u32 v2, v4, 3, v75
	v_lshl_add_u32 v6, v3, 3, v64
	ds_read_b64 v[2:3], v2
	ds_read_b64 v[6:7], v6
	v_add_u32_e32 v8, 1, v4
	s_waitcnt lgkmcnt(0)
	v_cmp_lt_i64_e64 s[16:17], v[6:7], v[2:3]
	v_cndmask_b32_e64 v1, v1, v4, s[16:17]
	v_cndmask_b32_e64 v5, v8, v5, s[16:17]
	v_cmp_ge_i32_e64 s[16:17], v5, v1
	s_or_b64 s[20:21], s[16:17], s[20:21]
	s_andn2_b64 exec, exec, s[20:21]
	s_cbranch_execnz .LBB152_44
; %bb.45:                               ;   in Loop: Header=BB152_2 Depth=1
	s_or_b64 exec, exec, s[20:21]
.LBB152_46:                             ;   in Loop: Header=BB152_2 Depth=1
	s_or_b64 exec, exec, s[18:19]
	v_sub_u32_e32 v79, v63, v5
	v_lshl_add_u32 v7, v5, 3, v75
	v_lshlrev_b32_e32 v81, 3, v79
	ds_read_b64 v[1:2], v7
	ds_read_b64 v[3:4], v81
	v_add_u32_e32 v80, v5, v21
	v_cmp_le_i32_e64 s[20:21], v22, v80
	v_cmp_gt_i32_e64 s[16:17], v23, v79
                                        ; implicit-def: $vgpr5_vgpr6
	s_waitcnt lgkmcnt(0)
	v_cmp_lt_i64_e64 s[18:19], v[3:4], v[1:2]
	s_or_b64 s[18:19], s[20:21], s[18:19]
	s_and_b64 s[16:17], s[16:17], s[18:19]
	s_xor_b64 s[18:19], s[16:17], -1
	s_and_saveexec_b64 s[20:21], s[18:19]
	s_xor_b64 s[18:19], exec, s[20:21]
; %bb.47:                               ;   in Loop: Header=BB152_2 Depth=1
	ds_read_b64 v[5:6], v7 offset:8
                                        ; implicit-def: $vgpr81
; %bb.48:                               ;   in Loop: Header=BB152_2 Depth=1
	s_or_saveexec_b64 s[18:19], s[18:19]
	v_mov_b32_e32 v8, v4
	v_mov_b32_e32 v7, v3
	s_xor_b64 exec, exec, s[18:19]
	s_cbranch_execz .LBB152_50
; %bb.49:                               ;   in Loop: Header=BB152_2 Depth=1
	ds_read_b64 v[7:8], v81 offset:8
	s_waitcnt lgkmcnt(1)
	v_mov_b32_e32 v6, v2
	v_mov_b32_e32 v5, v1
.LBB152_50:                             ;   in Loop: Header=BB152_2 Depth=1
	s_or_b64 exec, exec, s[18:19]
	v_cndmask_b32_e64 v2, v2, v4, s[16:17]
	v_add_u32_e32 v4, 1, v80
	v_cndmask_b32_e64 v1, v1, v3, s[16:17]
	v_add_u32_e32 v3, 1, v79
	v_cndmask_b32_e64 v4, v4, v80, s[16:17]
	s_waitcnt lgkmcnt(0)
	v_cmp_lt_i64_e64 s[18:19], v[7:8], v[5:6]
	v_cndmask_b32_e64 v3, v79, v3, s[16:17]
	v_cmp_ge_i32_e64 s[20:21], v4, v22
	v_cmp_lt_i32_e64 s[16:17], v3, v23
	s_or_b64 s[18:19], s[20:21], s[18:19]
	s_and_b64 s[16:17], s[16:17], s[18:19]
	v_cndmask_b32_e64 v4, v6, v8, s[16:17]
	v_cndmask_b32_e64 v3, v5, v7, s[16:17]
	v_mov_b32_e32 v5, v45
	s_barrier
	ds_write2_b64 v69, v[1:2], v[3:4] offset1:1
	s_waitcnt lgkmcnt(0)
	s_barrier
	s_and_saveexec_b64 s[18:19], s[10:11]
	s_cbranch_execz .LBB152_54
; %bb.51:                               ;   in Loop: Header=BB152_2 Depth=1
	s_mov_b64 s[20:21], 0
	v_mov_b32_e32 v5, v45
	v_mov_b32_e32 v1, v46
.LBB152_52:                             ;   Parent Loop BB152_2 Depth=1
                                        ; =>  This Inner Loop Header: Depth=2
	v_sub_u32_e32 v2, v1, v5
	v_lshrrev_b32_e32 v2, 1, v2
	v_add_u32_e32 v4, v2, v5
	v_not_b32_e32 v3, v4
	v_lshl_add_u32 v2, v4, 3, v76
	v_lshl_add_u32 v6, v3, 3, v66
	ds_read_b64 v[2:3], v2
	ds_read_b64 v[6:7], v6
	v_add_u32_e32 v8, 1, v4
	s_waitcnt lgkmcnt(0)
	v_cmp_lt_i64_e64 s[16:17], v[6:7], v[2:3]
	v_cndmask_b32_e64 v1, v1, v4, s[16:17]
	v_cndmask_b32_e64 v5, v8, v5, s[16:17]
	v_cmp_ge_i32_e64 s[16:17], v5, v1
	s_or_b64 s[20:21], s[16:17], s[20:21]
	s_andn2_b64 exec, exec, s[20:21]
	s_cbranch_execnz .LBB152_52
; %bb.53:                               ;   in Loop: Header=BB152_2 Depth=1
	s_or_b64 exec, exec, s[20:21]
.LBB152_54:                             ;   in Loop: Header=BB152_2 Depth=1
	s_or_b64 exec, exec, s[18:19]
	v_sub_u32_e32 v79, v65, v5
	v_lshl_add_u32 v7, v5, 3, v76
	v_lshlrev_b32_e32 v81, 3, v79
	ds_read_b64 v[1:2], v7
	ds_read_b64 v[3:4], v81
	v_add_u32_e32 v80, v5, v24
	v_cmp_le_i32_e64 s[20:21], v25, v80
	v_cmp_gt_i32_e64 s[16:17], v26, v79
                                        ; implicit-def: $vgpr5_vgpr6
	s_waitcnt lgkmcnt(0)
	v_cmp_lt_i64_e64 s[18:19], v[3:4], v[1:2]
	s_or_b64 s[18:19], s[20:21], s[18:19]
	s_and_b64 s[16:17], s[16:17], s[18:19]
	s_xor_b64 s[18:19], s[16:17], -1
	s_and_saveexec_b64 s[20:21], s[18:19]
	s_xor_b64 s[18:19], exec, s[20:21]
; %bb.55:                               ;   in Loop: Header=BB152_2 Depth=1
	ds_read_b64 v[5:6], v7 offset:8
                                        ; implicit-def: $vgpr81
; %bb.56:                               ;   in Loop: Header=BB152_2 Depth=1
	s_or_saveexec_b64 s[18:19], s[18:19]
	v_mov_b32_e32 v8, v4
	v_mov_b32_e32 v7, v3
	s_xor_b64 exec, exec, s[18:19]
	s_cbranch_execz .LBB152_58
; %bb.57:                               ;   in Loop: Header=BB152_2 Depth=1
	ds_read_b64 v[7:8], v81 offset:8
	s_waitcnt lgkmcnt(1)
	v_mov_b32_e32 v6, v2
	v_mov_b32_e32 v5, v1
.LBB152_58:                             ;   in Loop: Header=BB152_2 Depth=1
	s_or_b64 exec, exec, s[18:19]
	v_cndmask_b32_e64 v2, v2, v4, s[16:17]
	v_add_u32_e32 v4, 1, v80
	v_cndmask_b32_e64 v1, v1, v3, s[16:17]
	v_add_u32_e32 v3, 1, v79
	v_cndmask_b32_e64 v4, v4, v80, s[16:17]
	s_waitcnt lgkmcnt(0)
	v_cmp_lt_i64_e64 s[18:19], v[7:8], v[5:6]
	v_cndmask_b32_e64 v3, v79, v3, s[16:17]
	v_cmp_ge_i32_e64 s[20:21], v4, v25
	v_cmp_lt_i32_e64 s[16:17], v3, v26
	s_or_b64 s[18:19], s[20:21], s[18:19]
	s_and_b64 s[16:17], s[16:17], s[18:19]
	v_cndmask_b32_e64 v4, v6, v8, s[16:17]
	v_cndmask_b32_e64 v3, v5, v7, s[16:17]
	v_mov_b32_e32 v5, v47
	s_barrier
	ds_write2_b64 v69, v[1:2], v[3:4] offset1:1
	s_waitcnt lgkmcnt(0)
	s_barrier
	s_and_saveexec_b64 s[18:19], s[12:13]
	s_cbranch_execz .LBB152_62
; %bb.59:                               ;   in Loop: Header=BB152_2 Depth=1
	s_mov_b64 s[20:21], 0
	v_mov_b32_e32 v5, v47
	v_mov_b32_e32 v1, v48
.LBB152_60:                             ;   Parent Loop BB152_2 Depth=1
                                        ; =>  This Inner Loop Header: Depth=2
	v_sub_u32_e32 v2, v1, v5
	v_lshrrev_b32_e32 v2, 1, v2
	v_add_u32_e32 v4, v2, v5
	v_not_b32_e32 v3, v4
	v_lshl_add_u32 v2, v4, 3, v77
	v_lshl_add_u32 v6, v3, 3, v68
	ds_read_b64 v[2:3], v2
	ds_read_b64 v[6:7], v6
	v_add_u32_e32 v8, 1, v4
	s_waitcnt lgkmcnt(0)
	v_cmp_lt_i64_e64 s[16:17], v[6:7], v[2:3]
	v_cndmask_b32_e64 v1, v1, v4, s[16:17]
	v_cndmask_b32_e64 v5, v8, v5, s[16:17]
	v_cmp_ge_i32_e64 s[16:17], v5, v1
	s_or_b64 s[20:21], s[16:17], s[20:21]
	s_andn2_b64 exec, exec, s[20:21]
	s_cbranch_execnz .LBB152_60
; %bb.61:                               ;   in Loop: Header=BB152_2 Depth=1
	s_or_b64 exec, exec, s[20:21]
.LBB152_62:                             ;   in Loop: Header=BB152_2 Depth=1
	s_or_b64 exec, exec, s[18:19]
	v_sub_u32_e32 v79, v67, v5
	v_lshl_add_u32 v7, v5, 3, v77
	v_lshlrev_b32_e32 v81, 3, v79
	ds_read_b64 v[1:2], v7
	ds_read_b64 v[3:4], v81
	v_add_u32_e32 v80, v5, v27
	v_cmp_le_i32_e64 s[20:21], v28, v80
	v_cmp_gt_i32_e64 s[16:17], v29, v79
                                        ; implicit-def: $vgpr5_vgpr6
	s_waitcnt lgkmcnt(0)
	v_cmp_lt_i64_e64 s[18:19], v[3:4], v[1:2]
	s_or_b64 s[18:19], s[20:21], s[18:19]
	s_and_b64 s[16:17], s[16:17], s[18:19]
	s_xor_b64 s[18:19], s[16:17], -1
	s_and_saveexec_b64 s[20:21], s[18:19]
	s_xor_b64 s[18:19], exec, s[20:21]
; %bb.63:                               ;   in Loop: Header=BB152_2 Depth=1
	ds_read_b64 v[5:6], v7 offset:8
                                        ; implicit-def: $vgpr81
; %bb.64:                               ;   in Loop: Header=BB152_2 Depth=1
	s_or_saveexec_b64 s[18:19], s[18:19]
	v_mov_b32_e32 v8, v4
	v_mov_b32_e32 v7, v3
	s_xor_b64 exec, exec, s[18:19]
	s_cbranch_execz .LBB152_66
; %bb.65:                               ;   in Loop: Header=BB152_2 Depth=1
	ds_read_b64 v[7:8], v81 offset:8
	s_waitcnt lgkmcnt(1)
	v_mov_b32_e32 v6, v2
	v_mov_b32_e32 v5, v1
.LBB152_66:                             ;   in Loop: Header=BB152_2 Depth=1
	s_or_b64 exec, exec, s[18:19]
	v_cndmask_b32_e64 v2, v2, v4, s[16:17]
	v_add_u32_e32 v4, 1, v80
	v_cndmask_b32_e64 v1, v1, v3, s[16:17]
	v_add_u32_e32 v3, 1, v79
	v_cndmask_b32_e64 v4, v4, v80, s[16:17]
	s_waitcnt lgkmcnt(0)
	v_cmp_lt_i64_e64 s[18:19], v[7:8], v[5:6]
	v_cndmask_b32_e64 v3, v79, v3, s[16:17]
	v_cmp_ge_i32_e64 s[20:21], v4, v28
	v_cmp_lt_i32_e64 s[16:17], v3, v29
	s_or_b64 s[18:19], s[20:21], s[18:19]
	s_and_b64 s[16:17], s[16:17], s[18:19]
	v_cndmask_b32_e64 v4, v6, v8, s[16:17]
	v_cndmask_b32_e64 v3, v5, v7, s[16:17]
	v_mov_b32_e32 v79, v50
	s_barrier
	ds_write2_b64 v69, v[1:2], v[3:4] offset1:1
	s_waitcnt lgkmcnt(0)
	s_barrier
	s_and_saveexec_b64 s[18:19], s[14:15]
	s_cbranch_execz .LBB152_70
; %bb.67:                               ;   in Loop: Header=BB152_2 Depth=1
	s_mov_b64 s[20:21], 0
	v_mov_b32_e32 v79, v50
	v_mov_b32_e32 v1, v51
.LBB152_68:                             ;   Parent Loop BB152_2 Depth=1
                                        ; =>  This Inner Loop Header: Depth=2
	v_sub_u32_e32 v2, v1, v79
	v_lshrrev_b32_e32 v2, 1, v2
	v_add_u32_e32 v6, v2, v79
	v_not_b32_e32 v3, v6
	v_lshlrev_b32_e32 v2, 3, v6
	v_lshl_add_u32 v4, v3, 3, v78
	ds_read_b64 v[2:3], v2
	ds_read_b64 v[4:5], v4
	v_add_u32_e32 v7, 1, v6
	s_waitcnt lgkmcnt(0)
	v_cmp_lt_i64_e64 s[16:17], v[4:5], v[2:3]
	v_cndmask_b32_e64 v1, v1, v6, s[16:17]
	v_cndmask_b32_e64 v79, v7, v79, s[16:17]
	v_cmp_ge_i32_e64 s[16:17], v79, v1
	s_or_b64 s[20:21], s[16:17], s[20:21]
	s_andn2_b64 exec, exec, s[20:21]
	s_cbranch_execnz .LBB152_68
; %bb.69:                               ;   in Loop: Header=BB152_2 Depth=1
	s_or_b64 exec, exec, s[20:21]
.LBB152_70:                             ;   in Loop: Header=BB152_2 Depth=1
	s_or_b64 exec, exec, s[18:19]
	v_sub_u32_e32 v80, v52, v79
	v_lshlrev_b32_e32 v7, 3, v79
	v_lshlrev_b32_e32 v81, 3, v80
	ds_read_b64 v[1:2], v7
	ds_read_b64 v[3:4], v81
	v_cmp_le_i32_e64 s[20:21], v49, v79
	v_cmp_gt_i32_e64 s[16:17], s24, v80
                                        ; implicit-def: $vgpr5_vgpr6
	s_waitcnt lgkmcnt(0)
	v_cmp_lt_i64_e64 s[18:19], v[3:4], v[1:2]
	s_or_b64 s[18:19], s[20:21], s[18:19]
	s_and_b64 s[16:17], s[16:17], s[18:19]
	s_xor_b64 s[18:19], s[16:17], -1
	s_and_saveexec_b64 s[20:21], s[18:19]
	s_xor_b64 s[18:19], exec, s[20:21]
; %bb.71:                               ;   in Loop: Header=BB152_2 Depth=1
	ds_read_b64 v[5:6], v7 offset:8
	v_add_u32_e32 v79, 1, v79
                                        ; implicit-def: $vgpr81
; %bb.72:                               ;   in Loop: Header=BB152_2 Depth=1
	s_or_saveexec_b64 s[18:19], s[18:19]
	v_mov_b32_e32 v8, v4
	v_mov_b32_e32 v7, v3
	s_xor_b64 exec, exec, s[18:19]
	s_cbranch_execz .LBB152_1
; %bb.73:                               ;   in Loop: Header=BB152_2 Depth=1
	ds_read_b64 v[7:8], v81 offset:8
	s_waitcnt lgkmcnt(1)
	v_mov_b32_e32 v6, v2
	v_add_u32_e32 v80, 1, v80
	v_mov_b32_e32 v5, v1
	s_branch .LBB152_1
.LBB152_74:
	s_add_u32 s0, s22, s26
	s_addc_u32 s1, s23, s27
	v_lshlrev_b32_e32 v0, 3, v0
	v_mov_b32_e32 v5, s1
	v_add_co_u32_e32 v6, vcc, s0, v0
	v_addc_co_u32_e32 v5, vcc, 0, v5, vcc
	global_store_dwordx2 v0, v[1:2], s[0:1]
	v_add_co_u32_e32 v0, vcc, 0x1000, v6
	v_addc_co_u32_e32 v1, vcc, 0, v5, vcc
	global_store_dwordx2 v[0:1], v[3:4], off
	s_endpgm
	.section	.rodata,"a",@progbits
	.p2align	6, 0x0
	.amdhsa_kernel _Z16sort_keys_kernelIxLj512ELj2EN10test_utils4lessELj10EEvPKT_PS2_T2_
		.amdhsa_group_segment_fixed_size 8200
		.amdhsa_private_segment_fixed_size 0
		.amdhsa_kernarg_size 20
		.amdhsa_user_sgpr_count 6
		.amdhsa_user_sgpr_private_segment_buffer 1
		.amdhsa_user_sgpr_dispatch_ptr 0
		.amdhsa_user_sgpr_queue_ptr 0
		.amdhsa_user_sgpr_kernarg_segment_ptr 1
		.amdhsa_user_sgpr_dispatch_id 0
		.amdhsa_user_sgpr_flat_scratch_init 0
		.amdhsa_user_sgpr_private_segment_size 0
		.amdhsa_uses_dynamic_stack 0
		.amdhsa_system_sgpr_private_segment_wavefront_offset 0
		.amdhsa_system_sgpr_workgroup_id_x 1
		.amdhsa_system_sgpr_workgroup_id_y 0
		.amdhsa_system_sgpr_workgroup_id_z 0
		.amdhsa_system_sgpr_workgroup_info 0
		.amdhsa_system_vgpr_workitem_id 0
		.amdhsa_next_free_vgpr 82
		.amdhsa_next_free_sgpr 28
		.amdhsa_reserve_vcc 1
		.amdhsa_reserve_flat_scratch 0
		.amdhsa_float_round_mode_32 0
		.amdhsa_float_round_mode_16_64 0
		.amdhsa_float_denorm_mode_32 3
		.amdhsa_float_denorm_mode_16_64 3
		.amdhsa_dx10_clamp 1
		.amdhsa_ieee_mode 1
		.amdhsa_fp16_overflow 0
		.amdhsa_exception_fp_ieee_invalid_op 0
		.amdhsa_exception_fp_denorm_src 0
		.amdhsa_exception_fp_ieee_div_zero 0
		.amdhsa_exception_fp_ieee_overflow 0
		.amdhsa_exception_fp_ieee_underflow 0
		.amdhsa_exception_fp_ieee_inexact 0
		.amdhsa_exception_int_div_zero 0
	.end_amdhsa_kernel
	.section	.text._Z16sort_keys_kernelIxLj512ELj2EN10test_utils4lessELj10EEvPKT_PS2_T2_,"axG",@progbits,_Z16sort_keys_kernelIxLj512ELj2EN10test_utils4lessELj10EEvPKT_PS2_T2_,comdat
.Lfunc_end152:
	.size	_Z16sort_keys_kernelIxLj512ELj2EN10test_utils4lessELj10EEvPKT_PS2_T2_, .Lfunc_end152-_Z16sort_keys_kernelIxLj512ELj2EN10test_utils4lessELj10EEvPKT_PS2_T2_
                                        ; -- End function
	.set _Z16sort_keys_kernelIxLj512ELj2EN10test_utils4lessELj10EEvPKT_PS2_T2_.num_vgpr, 82
	.set _Z16sort_keys_kernelIxLj512ELj2EN10test_utils4lessELj10EEvPKT_PS2_T2_.num_agpr, 0
	.set _Z16sort_keys_kernelIxLj512ELj2EN10test_utils4lessELj10EEvPKT_PS2_T2_.numbered_sgpr, 28
	.set _Z16sort_keys_kernelIxLj512ELj2EN10test_utils4lessELj10EEvPKT_PS2_T2_.num_named_barrier, 0
	.set _Z16sort_keys_kernelIxLj512ELj2EN10test_utils4lessELj10EEvPKT_PS2_T2_.private_seg_size, 0
	.set _Z16sort_keys_kernelIxLj512ELj2EN10test_utils4lessELj10EEvPKT_PS2_T2_.uses_vcc, 1
	.set _Z16sort_keys_kernelIxLj512ELj2EN10test_utils4lessELj10EEvPKT_PS2_T2_.uses_flat_scratch, 0
	.set _Z16sort_keys_kernelIxLj512ELj2EN10test_utils4lessELj10EEvPKT_PS2_T2_.has_dyn_sized_stack, 0
	.set _Z16sort_keys_kernelIxLj512ELj2EN10test_utils4lessELj10EEvPKT_PS2_T2_.has_recursion, 0
	.set _Z16sort_keys_kernelIxLj512ELj2EN10test_utils4lessELj10EEvPKT_PS2_T2_.has_indirect_call, 0
	.section	.AMDGPU.csdata,"",@progbits
; Kernel info:
; codeLenInByte = 4308
; TotalNumSgprs: 32
; NumVgprs: 82
; ScratchSize: 0
; MemoryBound: 0
; FloatMode: 240
; IeeeMode: 1
; LDSByteSize: 8200 bytes/workgroup (compile time only)
; SGPRBlocks: 3
; VGPRBlocks: 20
; NumSGPRsForWavesPerEU: 32
; NumVGPRsForWavesPerEU: 82
; Occupancy: 3
; WaveLimiterHint : 1
; COMPUTE_PGM_RSRC2:SCRATCH_EN: 0
; COMPUTE_PGM_RSRC2:USER_SGPR: 6
; COMPUTE_PGM_RSRC2:TRAP_HANDLER: 0
; COMPUTE_PGM_RSRC2:TGID_X_EN: 1
; COMPUTE_PGM_RSRC2:TGID_Y_EN: 0
; COMPUTE_PGM_RSRC2:TGID_Z_EN: 0
; COMPUTE_PGM_RSRC2:TIDIG_COMP_CNT: 0
	.section	.text._Z17sort_pairs_kernelIxLj512ELj2EN10test_utils4lessELj10EEvPKT_PS2_T2_,"axG",@progbits,_Z17sort_pairs_kernelIxLj512ELj2EN10test_utils4lessELj10EEvPKT_PS2_T2_,comdat
	.protected	_Z17sort_pairs_kernelIxLj512ELj2EN10test_utils4lessELj10EEvPKT_PS2_T2_ ; -- Begin function _Z17sort_pairs_kernelIxLj512ELj2EN10test_utils4lessELj10EEvPKT_PS2_T2_
	.globl	_Z17sort_pairs_kernelIxLj512ELj2EN10test_utils4lessELj10EEvPKT_PS2_T2_
	.p2align	8
	.type	_Z17sort_pairs_kernelIxLj512ELj2EN10test_utils4lessELj10EEvPKT_PS2_T2_,@function
_Z17sort_pairs_kernelIxLj512ELj2EN10test_utils4lessELj10EEvPKT_PS2_T2_: ; @_Z17sort_pairs_kernelIxLj512ELj2EN10test_utils4lessELj10EEvPKT_PS2_T2_
; %bb.0:
	s_load_dwordx4 s[24:27], s[4:5], 0x0
	s_lshl_b32 s30, s6, 10
	s_mov_b32 s31, 0
	s_lshl_b64 s[28:29], s[30:31], 3
	v_lshlrev_b32_e32 v1, 3, v0
	s_waitcnt lgkmcnt(0)
	s_add_u32 s0, s24, s28
	s_addc_u32 s1, s25, s29
	v_mov_b32_e32 v2, s1
	v_add_co_u32_e32 v3, vcc, s0, v1
	v_addc_co_u32_e32 v2, vcc, 0, v2, vcc
	s_movk_i32 s2, 0x1000
	global_load_dwordx2 v[5:6], v1, s[0:1]
	v_add_co_u32_e32 v1, vcc, s2, v3
	v_addc_co_u32_e32 v2, vcc, 0, v2, vcc
	global_load_dwordx2 v[7:8], v[1:2], off
	v_lshlrev_b32_e32 v9, 1, v0
	v_and_b32_e32 v20, 0x3fc, v9
	v_and_b32_e32 v58, 2, v9
	v_or_b32_e32 v35, 2, v20
	v_add_u32_e32 v36, 4, v20
	v_mov_b32_e32 v53, 0x200
	v_and_b32_e32 v13, 0x3f8, v9
	v_and_b32_e32 v10, 6, v9
	;; [unrolled: 1-line block ×14, first 2 shown]
	v_sub_u32_e32 v3, v36, v35
	v_sub_u32_e32 v4, v35, v20
	v_sub_u32_e64 v54, v9, v53 clamp
	v_min_i32_e32 v55, 0x200, v9
	v_add_u32_e32 v56, 0x200, v9
	v_lshlrev_b32_e32 v9, 3, v58
	v_or_b32_e32 v21, 4, v13
	v_or_b32_e32 v27, 32, v16
	v_add_u32_e32 v28, 64, v16
	v_sub_u32_e32 v39, v58, v3
	v_min_i32_e32 v37, v58, v4
	v_cmp_ge_i32_e32 vcc, v58, v3
	v_add_u32_e32 v57, v35, v58
	v_lshl_add_u32 v58, v35, 3, v9
	v_lshlrev_b32_e32 v9, 3, v10
	v_or_b32_e32 v23, 8, v14
	v_or_b32_e32 v29, 64, v17
	v_add_u32_e32 v30, 0x80, v17
	v_sub_u32_e32 v45, v28, v27
	v_lshl_add_u32 v60, v21, 3, v9
	v_lshlrev_b32_e32 v9, 3, v11
	v_add_u32_e32 v22, 8, v13
	v_or_b32_e32 v25, 16, v15
	v_add_u32_e32 v26, 32, v15
	v_or_b32_e32 v31, 0x80, v18
	;; [unrolled: 2-line block ×3, first 2 shown]
	v_add_u32_e32 v34, 0x200, v19
	v_sub_u32_e32 v47, v30, v29
	v_sub_u32_e32 v46, v66, v45
	v_cmp_ge_i32_e64 s[6:7], v66, v45
	v_lshl_add_u32 v62, v23, 3, v9
	v_lshlrev_b32_e32 v9, 3, v12
	v_add_u32_e32 v24, 16, v14
	v_sub_u32_e32 v1, v22, v21
	v_sub_u32_e32 v43, v26, v25
	;; [unrolled: 1-line block ×5, first 2 shown]
	v_cndmask_b32_e64 v45, 0, v46, s[6:7]
	v_sub_u32_e32 v46, v27, v16
	v_cmp_ge_i32_e64 s[8:9], v68, v47
	v_lshl_add_u32 v64, v25, 3, v9
	v_lshlrev_b32_e32 v9, 3, v66
	v_sub_u32_e32 v2, v24, v23
	v_sub_u32_e32 v40, v10, v1
	v_sub_u32_e32 v44, v12, v43
	v_sub_u32_e32 v50, v70, v49
	v_sub_u32_e32 v52, v72, v51
	v_cndmask_b32_e32 v39, 0, v39, vcc
	v_cmp_ge_i32_e32 vcc, v10, v1
	v_cmp_ge_i32_e64 s[4:5], v12, v43
	v_min_i32_e32 v46, v66, v46
	v_cndmask_b32_e64 v47, 0, v48, s[8:9]
	s_waitcnt vmcnt(1)
	v_add_co_u32_e64 v3, s[2:3], 1, v5
	v_addc_co_u32_e64 v4, s[2:3], 0, v6, s[2:3]
	v_sub_u32_e32 v48, v29, v17
	v_cmp_ge_i32_e64 s[10:11], v70, v49
	v_cmp_ge_i32_e64 s[12:13], v72, v51
	v_add_u32_e32 v65, v27, v66
	v_lshl_add_u32 v66, v27, 3, v9
	v_lshlrev_b32_e32 v9, 3, v68
	v_sub_u32_e32 v38, v21, v13
	v_sub_u32_e32 v42, v23, v14
	;; [unrolled: 1-line block ×3, first 2 shown]
	v_cndmask_b32_e32 v40, 0, v40, vcc
	v_cmp_ge_i32_e32 vcc, v11, v2
	s_waitcnt vmcnt(0)
	v_add_co_u32_e64 v1, s[2:3], 1, v7
	v_cndmask_b32_e64 v43, 0, v44, s[4:5]
	v_sub_u32_e32 v44, v25, v15
	v_min_i32_e32 v48, v68, v48
	v_cndmask_b32_e64 v49, 0, v50, s[10:11]
	v_sub_u32_e32 v50, v31, v18
	v_cndmask_b32_e64 v51, 0, v52, s[12:13]
	v_sub_u32_e32 v52, v33, v19
	v_add_u32_e32 v67, v29, v68
	v_lshl_add_u32 v68, v29, 3, v9
	v_lshlrev_b32_e32 v9, 3, v70
	v_min_i32_e32 v38, v10, v38
	v_cndmask_b32_e32 v41, 0, v41, vcc
	v_addc_co_u32_e64 v2, s[2:3], 0, v8, s[2:3]
	v_min_i32_e32 v42, v11, v42
	v_min_i32_e32 v44, v12, v44
	;; [unrolled: 1-line block ×4, first 2 shown]
	v_add_u32_e32 v69, v31, v70
	v_lshl_add_u32 v70, v31, 3, v9
	v_lshlrev_b32_e32 v9, 3, v72
	v_lshlrev_b32_e32 v73, 4, v0
	v_cmp_lt_i32_e32 vcc, v39, v37
	v_cmp_lt_i32_e64 s[0:1], v40, v38
	v_cmp_lt_i32_e64 s[2:3], v41, v42
	;; [unrolled: 1-line block ×8, first 2 shown]
	v_add_u32_e32 v59, v21, v10
	v_add_u32_e32 v61, v23, v11
	v_add_u32_e32 v63, v25, v12
	v_add_u32_e32 v71, v33, v72
	v_lshl_add_u32 v72, v33, 3, v9
	s_movk_i32 s24, 0x400
	v_lshlrev_b32_e32 v74, 3, v20
	v_lshlrev_b32_e32 v75, 3, v13
	;; [unrolled: 1-line block ×8, first 2 shown]
	v_add_u32_e32 v82, 0x1000, v73
	s_branch .LBB153_2
.LBB153_1:                              ;   in Loop: Header=BB153_2 Depth=1
	s_or_b64 exec, exec, s[18:19]
	s_waitcnt lgkmcnt(0)
	v_cmp_lt_i64_e64 s[20:21], v[11:12], v[9:10]
	v_cmp_ge_i32_e64 s[22:23], v85, v53
	v_cmp_gt_i32_e64 s[18:19], s24, v84
	s_or_b64 s[20:21], s[22:23], s[20:21]
	s_and_b64 s[18:19], s[18:19], s[20:21]
	v_cndmask_b32_e64 v6, v6, v8, s[16:17]
	v_cndmask_b32_e64 v8, v10, v12, s[18:19]
	;; [unrolled: 1-line block ×3, first 2 shown]
	s_barrier
	ds_write2_b64 v73, v[1:2], v[3:4] offset1:1
	v_lshlrev_b32_e32 v1, 3, v86
	v_lshlrev_b32_e32 v2, 3, v10
	s_waitcnt lgkmcnt(0)
	s_barrier
	ds_read_b64 v[3:4], v1
	ds_read_b64 v[1:2], v2
	s_add_i32 s31, s31, 1
	v_cndmask_b32_e64 v5, v5, v7, s[16:17]
	s_cmp_eq_u32 s31, 10
	v_cndmask_b32_e64 v7, v9, v11, s[18:19]
	s_cbranch_scc1 .LBB153_74
.LBB153_2:                              ; =>This Loop Header: Depth=1
                                        ;     Child Loop BB153_4 Depth 2
                                        ;     Child Loop BB153_12 Depth 2
	;; [unrolled: 1-line block ×9, first 2 shown]
	v_cmp_lt_i64_e64 s[16:17], v[7:8], v[5:6]
	v_cndmask_b32_e64 v10, v8, v6, s[16:17]
	v_cndmask_b32_e64 v9, v7, v5, s[16:17]
	v_cndmask_b32_e64 v6, v6, v8, s[16:17]
	v_cndmask_b32_e64 v5, v5, v7, s[16:17]
	s_waitcnt lgkmcnt(0)
	s_barrier
	ds_write2_b64 v73, v[5:6], v[9:10] offset1:1
	v_mov_b32_e32 v5, v39
	s_waitcnt lgkmcnt(0)
	s_barrier
	s_and_saveexec_b64 s[20:21], vcc
	s_cbranch_execz .LBB153_6
; %bb.3:                                ;   in Loop: Header=BB153_2 Depth=1
	s_mov_b64 s[22:23], 0
	v_mov_b32_e32 v5, v39
	v_mov_b32_e32 v6, v37
.LBB153_4:                              ;   Parent Loop BB153_2 Depth=1
                                        ; =>  This Inner Loop Header: Depth=2
	v_sub_u32_e32 v7, v6, v5
	v_lshrrev_b32_e32 v7, 1, v7
	v_add_u32_e32 v11, v7, v5
	v_not_b32_e32 v8, v11
	v_lshl_add_u32 v7, v11, 3, v74
	v_lshl_add_u32 v9, v8, 3, v58
	ds_read_b64 v[7:8], v7
	ds_read_b64 v[9:10], v9
	v_add_u32_e32 v12, 1, v11
	s_waitcnt lgkmcnt(0)
	v_cmp_lt_i64_e64 s[18:19], v[9:10], v[7:8]
	v_cndmask_b32_e64 v6, v6, v11, s[18:19]
	v_cndmask_b32_e64 v5, v12, v5, s[18:19]
	v_cmp_ge_i32_e64 s[18:19], v5, v6
	s_or_b64 s[22:23], s[18:19], s[22:23]
	s_andn2_b64 exec, exec, s[22:23]
	s_cbranch_execnz .LBB153_4
; %bb.5:                                ;   in Loop: Header=BB153_2 Depth=1
	s_or_b64 exec, exec, s[22:23]
.LBB153_6:                              ;   in Loop: Header=BB153_2 Depth=1
	s_or_b64 exec, exec, s[20:21]
	v_sub_u32_e32 v83, v57, v5
	v_lshl_add_u32 v11, v5, 3, v74
	v_lshlrev_b32_e32 v85, 3, v83
	ds_read_b64 v[7:8], v11
	ds_read_b64 v[9:10], v85
	v_add_u32_e32 v84, v5, v20
	v_cmp_le_i32_e64 s[22:23], v35, v84
	v_cmp_gt_i32_e64 s[18:19], v36, v83
                                        ; implicit-def: $vgpr5_vgpr6
	s_waitcnt lgkmcnt(0)
	v_cmp_lt_i64_e64 s[20:21], v[9:10], v[7:8]
	s_or_b64 s[20:21], s[22:23], s[20:21]
	s_and_b64 s[18:19], s[18:19], s[20:21]
	s_xor_b64 s[20:21], s[18:19], -1
	s_and_saveexec_b64 s[22:23], s[20:21]
	s_xor_b64 s[20:21], exec, s[22:23]
; %bb.7:                                ;   in Loop: Header=BB153_2 Depth=1
	ds_read_b64 v[5:6], v11 offset:8
                                        ; implicit-def: $vgpr85
; %bb.8:                                ;   in Loop: Header=BB153_2 Depth=1
	s_or_saveexec_b64 s[20:21], s[20:21]
	v_mov_b32_e32 v12, v10
	v_mov_b32_e32 v11, v9
	s_xor_b64 exec, exec, s[20:21]
	s_cbranch_execz .LBB153_10
; %bb.9:                                ;   in Loop: Header=BB153_2 Depth=1
	ds_read_b64 v[11:12], v85 offset:8
	s_waitcnt lgkmcnt(1)
	v_mov_b32_e32 v5, v7
	v_mov_b32_e32 v6, v8
.LBB153_10:                             ;   in Loop: Header=BB153_2 Depth=1
	s_or_b64 exec, exec, s[20:21]
	v_cndmask_b32_e64 v8, v8, v10, s[18:19]
	v_cndmask_b32_e64 v7, v7, v9, s[18:19]
	v_add_u32_e32 v9, 1, v83
	v_add_u32_e32 v10, 1, v84
	v_cndmask_b32_e64 v85, v83, v9, s[18:19]
	v_cndmask_b32_e64 v86, v10, v84, s[18:19]
	;; [unrolled: 1-line block ×3, first 2 shown]
	s_waitcnt lgkmcnt(0)
	v_cmp_lt_i64_e64 s[18:19], v[11:12], v[5:6]
	v_cmp_ge_i32_e64 s[20:21], v86, v35
	v_cndmask_b32_e64 v10, v2, v4, s[16:17]
	v_cndmask_b32_e64 v9, v1, v3, s[16:17]
	;; [unrolled: 1-line block ×4, first 2 shown]
	v_cmp_lt_i32_e64 s[16:17], v85, v36
	s_or_b64 s[18:19], s[20:21], s[18:19]
	s_and_b64 s[16:17], s[16:17], s[18:19]
	v_cndmask_b32_e64 v3, v86, v85, s[16:17]
	s_barrier
	ds_write2_b64 v73, v[1:2], v[9:10] offset1:1
	v_lshlrev_b32_e32 v1, 3, v83
	v_lshlrev_b32_e32 v3, 3, v3
	s_waitcnt lgkmcnt(0)
	s_barrier
	ds_read_b64 v[1:2], v1
	ds_read_b64 v[3:4], v3
	v_cndmask_b32_e64 v6, v6, v12, s[16:17]
	v_cndmask_b32_e64 v5, v5, v11, s[16:17]
	s_waitcnt lgkmcnt(0)
	s_barrier
	ds_write2_b64 v73, v[7:8], v[5:6] offset1:1
	v_mov_b32_e32 v7, v40
	s_waitcnt lgkmcnt(0)
	s_barrier
	s_and_saveexec_b64 s[18:19], s[0:1]
	s_cbranch_execz .LBB153_14
; %bb.11:                               ;   in Loop: Header=BB153_2 Depth=1
	s_mov_b64 s[20:21], 0
	v_mov_b32_e32 v7, v40
	v_mov_b32_e32 v5, v38
.LBB153_12:                             ;   Parent Loop BB153_2 Depth=1
                                        ; =>  This Inner Loop Header: Depth=2
	v_sub_u32_e32 v6, v5, v7
	v_lshrrev_b32_e32 v6, 1, v6
	v_add_u32_e32 v6, v6, v7
	v_not_b32_e32 v9, v6
	v_lshl_add_u32 v8, v6, 3, v75
	v_lshl_add_u32 v10, v9, 3, v60
	ds_read_b64 v[8:9], v8
	ds_read_b64 v[10:11], v10
	v_add_u32_e32 v12, 1, v6
	s_waitcnt lgkmcnt(0)
	v_cmp_lt_i64_e64 s[16:17], v[10:11], v[8:9]
	v_cndmask_b32_e64 v5, v5, v6, s[16:17]
	v_cndmask_b32_e64 v7, v12, v7, s[16:17]
	v_cmp_ge_i32_e64 s[16:17], v7, v5
	s_or_b64 s[20:21], s[16:17], s[20:21]
	s_andn2_b64 exec, exec, s[20:21]
	s_cbranch_execnz .LBB153_12
; %bb.13:                               ;   in Loop: Header=BB153_2 Depth=1
	s_or_b64 exec, exec, s[20:21]
.LBB153_14:                             ;   in Loop: Header=BB153_2 Depth=1
	s_or_b64 exec, exec, s[18:19]
	v_sub_u32_e32 v83, v59, v7
	v_lshl_add_u32 v11, v7, 3, v75
	v_lshlrev_b32_e32 v85, 3, v83
	ds_read_b64 v[5:6], v11
	ds_read_b64 v[9:10], v85
	v_add_u32_e32 v84, v7, v13
	v_cmp_le_i32_e64 s[20:21], v21, v84
	v_cmp_gt_i32_e64 s[16:17], v22, v83
                                        ; implicit-def: $vgpr7_vgpr8
	s_waitcnt lgkmcnt(0)
	v_cmp_lt_i64_e64 s[18:19], v[9:10], v[5:6]
	s_or_b64 s[18:19], s[20:21], s[18:19]
	s_and_b64 s[16:17], s[16:17], s[18:19]
	s_xor_b64 s[18:19], s[16:17], -1
	s_and_saveexec_b64 s[20:21], s[18:19]
	s_xor_b64 s[18:19], exec, s[20:21]
; %bb.15:                               ;   in Loop: Header=BB153_2 Depth=1
	ds_read_b64 v[7:8], v11 offset:8
                                        ; implicit-def: $vgpr85
; %bb.16:                               ;   in Loop: Header=BB153_2 Depth=1
	s_or_saveexec_b64 s[18:19], s[18:19]
	v_mov_b32_e32 v12, v10
	v_mov_b32_e32 v11, v9
	s_xor_b64 exec, exec, s[18:19]
	s_cbranch_execz .LBB153_18
; %bb.17:                               ;   in Loop: Header=BB153_2 Depth=1
	ds_read_b64 v[11:12], v85 offset:8
	s_waitcnt lgkmcnt(1)
	v_mov_b32_e32 v8, v6
	v_mov_b32_e32 v7, v5
.LBB153_18:                             ;   in Loop: Header=BB153_2 Depth=1
	s_or_b64 exec, exec, s[18:19]
	v_cndmask_b32_e64 v6, v6, v10, s[16:17]
	v_add_u32_e32 v10, 1, v84
	v_cndmask_b32_e64 v5, v5, v9, s[16:17]
	v_add_u32_e32 v9, 1, v83
	v_cndmask_b32_e64 v10, v10, v84, s[16:17]
	s_waitcnt lgkmcnt(0)
	v_cmp_lt_i64_e64 s[18:19], v[11:12], v[7:8]
	v_cndmask_b32_e64 v9, v83, v9, s[16:17]
	v_cmp_ge_i32_e64 s[20:21], v10, v21
	v_cndmask_b32_e64 v83, v84, v83, s[16:17]
	v_cmp_lt_i32_e64 s[16:17], v9, v22
	s_or_b64 s[18:19], s[20:21], s[18:19]
	s_and_b64 s[16:17], s[16:17], s[18:19]
	v_cndmask_b32_e64 v9, v10, v9, s[16:17]
	s_barrier
	ds_write2_b64 v73, v[1:2], v[3:4] offset1:1
	v_lshlrev_b32_e32 v1, 3, v83
	v_lshlrev_b32_e32 v3, 3, v9
	s_waitcnt lgkmcnt(0)
	s_barrier
	ds_read_b64 v[1:2], v1
	ds_read_b64 v[3:4], v3
	v_cndmask_b32_e64 v8, v8, v12, s[16:17]
	v_cndmask_b32_e64 v7, v7, v11, s[16:17]
	s_waitcnt lgkmcnt(0)
	s_barrier
	ds_write2_b64 v73, v[5:6], v[7:8] offset1:1
	v_mov_b32_e32 v7, v41
	s_waitcnt lgkmcnt(0)
	s_barrier
	s_and_saveexec_b64 s[18:19], s[2:3]
	s_cbranch_execz .LBB153_22
; %bb.19:                               ;   in Loop: Header=BB153_2 Depth=1
	s_mov_b64 s[20:21], 0
	v_mov_b32_e32 v7, v41
	v_mov_b32_e32 v5, v42
.LBB153_20:                             ;   Parent Loop BB153_2 Depth=1
                                        ; =>  This Inner Loop Header: Depth=2
	v_sub_u32_e32 v6, v5, v7
	v_lshrrev_b32_e32 v6, 1, v6
	v_add_u32_e32 v6, v6, v7
	v_not_b32_e32 v9, v6
	v_lshl_add_u32 v8, v6, 3, v76
	v_lshl_add_u32 v10, v9, 3, v62
	ds_read_b64 v[8:9], v8
	ds_read_b64 v[10:11], v10
	v_add_u32_e32 v12, 1, v6
	s_waitcnt lgkmcnt(0)
	v_cmp_lt_i64_e64 s[16:17], v[10:11], v[8:9]
	v_cndmask_b32_e64 v5, v5, v6, s[16:17]
	v_cndmask_b32_e64 v7, v12, v7, s[16:17]
	v_cmp_ge_i32_e64 s[16:17], v7, v5
	s_or_b64 s[20:21], s[16:17], s[20:21]
	s_andn2_b64 exec, exec, s[20:21]
	s_cbranch_execnz .LBB153_20
; %bb.21:                               ;   in Loop: Header=BB153_2 Depth=1
	s_or_b64 exec, exec, s[20:21]
.LBB153_22:                             ;   in Loop: Header=BB153_2 Depth=1
	s_or_b64 exec, exec, s[18:19]
	v_sub_u32_e32 v83, v61, v7
	v_lshl_add_u32 v11, v7, 3, v76
	v_lshlrev_b32_e32 v85, 3, v83
	ds_read_b64 v[5:6], v11
	ds_read_b64 v[9:10], v85
	v_add_u32_e32 v84, v7, v14
	v_cmp_le_i32_e64 s[20:21], v23, v84
	v_cmp_gt_i32_e64 s[16:17], v24, v83
                                        ; implicit-def: $vgpr7_vgpr8
	s_waitcnt lgkmcnt(0)
	v_cmp_lt_i64_e64 s[18:19], v[9:10], v[5:6]
	s_or_b64 s[18:19], s[20:21], s[18:19]
	s_and_b64 s[16:17], s[16:17], s[18:19]
	s_xor_b64 s[18:19], s[16:17], -1
	s_and_saveexec_b64 s[20:21], s[18:19]
	s_xor_b64 s[18:19], exec, s[20:21]
; %bb.23:                               ;   in Loop: Header=BB153_2 Depth=1
	ds_read_b64 v[7:8], v11 offset:8
                                        ; implicit-def: $vgpr85
; %bb.24:                               ;   in Loop: Header=BB153_2 Depth=1
	s_or_saveexec_b64 s[18:19], s[18:19]
	v_mov_b32_e32 v12, v10
	v_mov_b32_e32 v11, v9
	s_xor_b64 exec, exec, s[18:19]
	s_cbranch_execz .LBB153_26
; %bb.25:                               ;   in Loop: Header=BB153_2 Depth=1
	ds_read_b64 v[11:12], v85 offset:8
	s_waitcnt lgkmcnt(1)
	v_mov_b32_e32 v8, v6
	v_mov_b32_e32 v7, v5
.LBB153_26:                             ;   in Loop: Header=BB153_2 Depth=1
	s_or_b64 exec, exec, s[18:19]
	v_cndmask_b32_e64 v6, v6, v10, s[16:17]
	v_add_u32_e32 v10, 1, v84
	v_cndmask_b32_e64 v5, v5, v9, s[16:17]
	v_add_u32_e32 v9, 1, v83
	v_cndmask_b32_e64 v10, v10, v84, s[16:17]
	s_waitcnt lgkmcnt(0)
	v_cmp_lt_i64_e64 s[18:19], v[11:12], v[7:8]
	v_cndmask_b32_e64 v9, v83, v9, s[16:17]
	v_cmp_ge_i32_e64 s[20:21], v10, v23
	v_cndmask_b32_e64 v83, v84, v83, s[16:17]
	v_cmp_lt_i32_e64 s[16:17], v9, v24
	s_or_b64 s[18:19], s[20:21], s[18:19]
	s_and_b64 s[16:17], s[16:17], s[18:19]
	v_cndmask_b32_e64 v9, v10, v9, s[16:17]
	s_barrier
	ds_write2_b64 v73, v[1:2], v[3:4] offset1:1
	v_lshlrev_b32_e32 v1, 3, v83
	v_lshlrev_b32_e32 v3, 3, v9
	s_waitcnt lgkmcnt(0)
	s_barrier
	ds_read_b64 v[1:2], v1
	ds_read_b64 v[3:4], v3
	v_cndmask_b32_e64 v8, v8, v12, s[16:17]
	v_cndmask_b32_e64 v7, v7, v11, s[16:17]
	s_waitcnt lgkmcnt(0)
	s_barrier
	ds_write2_b64 v73, v[5:6], v[7:8] offset1:1
	v_mov_b32_e32 v7, v43
	s_waitcnt lgkmcnt(0)
	s_barrier
	s_and_saveexec_b64 s[18:19], s[4:5]
	s_cbranch_execz .LBB153_30
; %bb.27:                               ;   in Loop: Header=BB153_2 Depth=1
	s_mov_b64 s[20:21], 0
	v_mov_b32_e32 v7, v43
	v_mov_b32_e32 v5, v44
.LBB153_28:                             ;   Parent Loop BB153_2 Depth=1
                                        ; =>  This Inner Loop Header: Depth=2
	v_sub_u32_e32 v6, v5, v7
	v_lshrrev_b32_e32 v6, 1, v6
	v_add_u32_e32 v6, v6, v7
	v_not_b32_e32 v9, v6
	v_lshl_add_u32 v8, v6, 3, v77
	v_lshl_add_u32 v10, v9, 3, v64
	ds_read_b64 v[8:9], v8
	ds_read_b64 v[10:11], v10
	v_add_u32_e32 v12, 1, v6
	s_waitcnt lgkmcnt(0)
	v_cmp_lt_i64_e64 s[16:17], v[10:11], v[8:9]
	v_cndmask_b32_e64 v5, v5, v6, s[16:17]
	v_cndmask_b32_e64 v7, v12, v7, s[16:17]
	v_cmp_ge_i32_e64 s[16:17], v7, v5
	s_or_b64 s[20:21], s[16:17], s[20:21]
	s_andn2_b64 exec, exec, s[20:21]
	s_cbranch_execnz .LBB153_28
; %bb.29:                               ;   in Loop: Header=BB153_2 Depth=1
	s_or_b64 exec, exec, s[20:21]
.LBB153_30:                             ;   in Loop: Header=BB153_2 Depth=1
	s_or_b64 exec, exec, s[18:19]
	v_sub_u32_e32 v83, v63, v7
	v_lshl_add_u32 v11, v7, 3, v77
	v_lshlrev_b32_e32 v85, 3, v83
	ds_read_b64 v[5:6], v11
	ds_read_b64 v[9:10], v85
	v_add_u32_e32 v84, v7, v15
	v_cmp_le_i32_e64 s[20:21], v25, v84
	v_cmp_gt_i32_e64 s[16:17], v26, v83
                                        ; implicit-def: $vgpr7_vgpr8
	s_waitcnt lgkmcnt(0)
	v_cmp_lt_i64_e64 s[18:19], v[9:10], v[5:6]
	s_or_b64 s[18:19], s[20:21], s[18:19]
	s_and_b64 s[16:17], s[16:17], s[18:19]
	s_xor_b64 s[18:19], s[16:17], -1
	s_and_saveexec_b64 s[20:21], s[18:19]
	s_xor_b64 s[18:19], exec, s[20:21]
; %bb.31:                               ;   in Loop: Header=BB153_2 Depth=1
	ds_read_b64 v[7:8], v11 offset:8
                                        ; implicit-def: $vgpr85
; %bb.32:                               ;   in Loop: Header=BB153_2 Depth=1
	s_or_saveexec_b64 s[18:19], s[18:19]
	v_mov_b32_e32 v12, v10
	v_mov_b32_e32 v11, v9
	s_xor_b64 exec, exec, s[18:19]
	s_cbranch_execz .LBB153_34
; %bb.33:                               ;   in Loop: Header=BB153_2 Depth=1
	ds_read_b64 v[11:12], v85 offset:8
	s_waitcnt lgkmcnt(1)
	v_mov_b32_e32 v8, v6
	v_mov_b32_e32 v7, v5
.LBB153_34:                             ;   in Loop: Header=BB153_2 Depth=1
	s_or_b64 exec, exec, s[18:19]
	v_cndmask_b32_e64 v6, v6, v10, s[16:17]
	v_add_u32_e32 v10, 1, v84
	v_cndmask_b32_e64 v5, v5, v9, s[16:17]
	v_add_u32_e32 v9, 1, v83
	v_cndmask_b32_e64 v10, v10, v84, s[16:17]
	s_waitcnt lgkmcnt(0)
	v_cmp_lt_i64_e64 s[18:19], v[11:12], v[7:8]
	v_cndmask_b32_e64 v9, v83, v9, s[16:17]
	v_cmp_ge_i32_e64 s[20:21], v10, v25
	v_cndmask_b32_e64 v83, v84, v83, s[16:17]
	v_cmp_lt_i32_e64 s[16:17], v9, v26
	s_or_b64 s[18:19], s[20:21], s[18:19]
	s_and_b64 s[16:17], s[16:17], s[18:19]
	v_cndmask_b32_e64 v9, v10, v9, s[16:17]
	s_barrier
	ds_write2_b64 v73, v[1:2], v[3:4] offset1:1
	v_lshlrev_b32_e32 v1, 3, v83
	v_lshlrev_b32_e32 v3, 3, v9
	s_waitcnt lgkmcnt(0)
	s_barrier
	ds_read_b64 v[1:2], v1
	ds_read_b64 v[3:4], v3
	v_cndmask_b32_e64 v8, v8, v12, s[16:17]
	v_cndmask_b32_e64 v7, v7, v11, s[16:17]
	s_waitcnt lgkmcnt(0)
	s_barrier
	ds_write2_b64 v73, v[5:6], v[7:8] offset1:1
	v_mov_b32_e32 v7, v45
	s_waitcnt lgkmcnt(0)
	s_barrier
	s_and_saveexec_b64 s[18:19], s[6:7]
	s_cbranch_execz .LBB153_38
; %bb.35:                               ;   in Loop: Header=BB153_2 Depth=1
	s_mov_b64 s[20:21], 0
	v_mov_b32_e32 v7, v45
	v_mov_b32_e32 v5, v46
.LBB153_36:                             ;   Parent Loop BB153_2 Depth=1
                                        ; =>  This Inner Loop Header: Depth=2
	v_sub_u32_e32 v6, v5, v7
	v_lshrrev_b32_e32 v6, 1, v6
	v_add_u32_e32 v6, v6, v7
	v_not_b32_e32 v9, v6
	v_lshl_add_u32 v8, v6, 3, v78
	v_lshl_add_u32 v10, v9, 3, v66
	ds_read_b64 v[8:9], v8
	ds_read_b64 v[10:11], v10
	v_add_u32_e32 v12, 1, v6
	s_waitcnt lgkmcnt(0)
	v_cmp_lt_i64_e64 s[16:17], v[10:11], v[8:9]
	v_cndmask_b32_e64 v5, v5, v6, s[16:17]
	v_cndmask_b32_e64 v7, v12, v7, s[16:17]
	v_cmp_ge_i32_e64 s[16:17], v7, v5
	s_or_b64 s[20:21], s[16:17], s[20:21]
	s_andn2_b64 exec, exec, s[20:21]
	s_cbranch_execnz .LBB153_36
; %bb.37:                               ;   in Loop: Header=BB153_2 Depth=1
	s_or_b64 exec, exec, s[20:21]
.LBB153_38:                             ;   in Loop: Header=BB153_2 Depth=1
	s_or_b64 exec, exec, s[18:19]
	v_sub_u32_e32 v83, v65, v7
	v_lshl_add_u32 v11, v7, 3, v78
	v_lshlrev_b32_e32 v85, 3, v83
	ds_read_b64 v[5:6], v11
	ds_read_b64 v[9:10], v85
	v_add_u32_e32 v84, v7, v16
	v_cmp_le_i32_e64 s[20:21], v27, v84
	v_cmp_gt_i32_e64 s[16:17], v28, v83
                                        ; implicit-def: $vgpr7_vgpr8
	s_waitcnt lgkmcnt(0)
	v_cmp_lt_i64_e64 s[18:19], v[9:10], v[5:6]
	s_or_b64 s[18:19], s[20:21], s[18:19]
	s_and_b64 s[16:17], s[16:17], s[18:19]
	s_xor_b64 s[18:19], s[16:17], -1
	s_and_saveexec_b64 s[20:21], s[18:19]
	s_xor_b64 s[18:19], exec, s[20:21]
; %bb.39:                               ;   in Loop: Header=BB153_2 Depth=1
	ds_read_b64 v[7:8], v11 offset:8
                                        ; implicit-def: $vgpr85
; %bb.40:                               ;   in Loop: Header=BB153_2 Depth=1
	s_or_saveexec_b64 s[18:19], s[18:19]
	v_mov_b32_e32 v12, v10
	v_mov_b32_e32 v11, v9
	s_xor_b64 exec, exec, s[18:19]
	s_cbranch_execz .LBB153_42
; %bb.41:                               ;   in Loop: Header=BB153_2 Depth=1
	ds_read_b64 v[11:12], v85 offset:8
	s_waitcnt lgkmcnt(1)
	v_mov_b32_e32 v8, v6
	v_mov_b32_e32 v7, v5
.LBB153_42:                             ;   in Loop: Header=BB153_2 Depth=1
	s_or_b64 exec, exec, s[18:19]
	v_cndmask_b32_e64 v6, v6, v10, s[16:17]
	v_add_u32_e32 v10, 1, v84
	v_cndmask_b32_e64 v5, v5, v9, s[16:17]
	v_add_u32_e32 v9, 1, v83
	v_cndmask_b32_e64 v10, v10, v84, s[16:17]
	s_waitcnt lgkmcnt(0)
	v_cmp_lt_i64_e64 s[18:19], v[11:12], v[7:8]
	v_cndmask_b32_e64 v9, v83, v9, s[16:17]
	v_cmp_ge_i32_e64 s[20:21], v10, v27
	v_cndmask_b32_e64 v83, v84, v83, s[16:17]
	v_cmp_lt_i32_e64 s[16:17], v9, v28
	s_or_b64 s[18:19], s[20:21], s[18:19]
	s_and_b64 s[16:17], s[16:17], s[18:19]
	v_cndmask_b32_e64 v9, v10, v9, s[16:17]
	s_barrier
	ds_write2_b64 v73, v[1:2], v[3:4] offset1:1
	v_lshlrev_b32_e32 v1, 3, v83
	v_lshlrev_b32_e32 v3, 3, v9
	s_waitcnt lgkmcnt(0)
	s_barrier
	ds_read_b64 v[1:2], v1
	ds_read_b64 v[3:4], v3
	v_cndmask_b32_e64 v8, v8, v12, s[16:17]
	v_cndmask_b32_e64 v7, v7, v11, s[16:17]
	s_waitcnt lgkmcnt(0)
	s_barrier
	ds_write2_b64 v73, v[5:6], v[7:8] offset1:1
	v_mov_b32_e32 v7, v47
	s_waitcnt lgkmcnt(0)
	s_barrier
	s_and_saveexec_b64 s[18:19], s[8:9]
	s_cbranch_execz .LBB153_46
; %bb.43:                               ;   in Loop: Header=BB153_2 Depth=1
	s_mov_b64 s[20:21], 0
	v_mov_b32_e32 v7, v47
	v_mov_b32_e32 v5, v48
.LBB153_44:                             ;   Parent Loop BB153_2 Depth=1
                                        ; =>  This Inner Loop Header: Depth=2
	v_sub_u32_e32 v6, v5, v7
	v_lshrrev_b32_e32 v6, 1, v6
	v_add_u32_e32 v6, v6, v7
	v_not_b32_e32 v9, v6
	v_lshl_add_u32 v8, v6, 3, v79
	v_lshl_add_u32 v10, v9, 3, v68
	ds_read_b64 v[8:9], v8
	ds_read_b64 v[10:11], v10
	v_add_u32_e32 v12, 1, v6
	s_waitcnt lgkmcnt(0)
	v_cmp_lt_i64_e64 s[16:17], v[10:11], v[8:9]
	v_cndmask_b32_e64 v5, v5, v6, s[16:17]
	v_cndmask_b32_e64 v7, v12, v7, s[16:17]
	v_cmp_ge_i32_e64 s[16:17], v7, v5
	s_or_b64 s[20:21], s[16:17], s[20:21]
	s_andn2_b64 exec, exec, s[20:21]
	s_cbranch_execnz .LBB153_44
; %bb.45:                               ;   in Loop: Header=BB153_2 Depth=1
	s_or_b64 exec, exec, s[20:21]
.LBB153_46:                             ;   in Loop: Header=BB153_2 Depth=1
	s_or_b64 exec, exec, s[18:19]
	v_sub_u32_e32 v83, v67, v7
	v_lshl_add_u32 v11, v7, 3, v79
	v_lshlrev_b32_e32 v85, 3, v83
	ds_read_b64 v[5:6], v11
	ds_read_b64 v[9:10], v85
	v_add_u32_e32 v84, v7, v17
	v_cmp_le_i32_e64 s[20:21], v29, v84
	v_cmp_gt_i32_e64 s[16:17], v30, v83
                                        ; implicit-def: $vgpr7_vgpr8
	s_waitcnt lgkmcnt(0)
	v_cmp_lt_i64_e64 s[18:19], v[9:10], v[5:6]
	s_or_b64 s[18:19], s[20:21], s[18:19]
	s_and_b64 s[16:17], s[16:17], s[18:19]
	s_xor_b64 s[18:19], s[16:17], -1
	s_and_saveexec_b64 s[20:21], s[18:19]
	s_xor_b64 s[18:19], exec, s[20:21]
; %bb.47:                               ;   in Loop: Header=BB153_2 Depth=1
	ds_read_b64 v[7:8], v11 offset:8
                                        ; implicit-def: $vgpr85
; %bb.48:                               ;   in Loop: Header=BB153_2 Depth=1
	s_or_saveexec_b64 s[18:19], s[18:19]
	v_mov_b32_e32 v12, v10
	v_mov_b32_e32 v11, v9
	s_xor_b64 exec, exec, s[18:19]
	s_cbranch_execz .LBB153_50
; %bb.49:                               ;   in Loop: Header=BB153_2 Depth=1
	ds_read_b64 v[11:12], v85 offset:8
	s_waitcnt lgkmcnt(1)
	v_mov_b32_e32 v8, v6
	v_mov_b32_e32 v7, v5
.LBB153_50:                             ;   in Loop: Header=BB153_2 Depth=1
	s_or_b64 exec, exec, s[18:19]
	v_cndmask_b32_e64 v6, v6, v10, s[16:17]
	v_add_u32_e32 v10, 1, v84
	v_cndmask_b32_e64 v5, v5, v9, s[16:17]
	v_add_u32_e32 v9, 1, v83
	v_cndmask_b32_e64 v10, v10, v84, s[16:17]
	s_waitcnt lgkmcnt(0)
	v_cmp_lt_i64_e64 s[18:19], v[11:12], v[7:8]
	v_cndmask_b32_e64 v9, v83, v9, s[16:17]
	v_cmp_ge_i32_e64 s[20:21], v10, v29
	v_cndmask_b32_e64 v83, v84, v83, s[16:17]
	v_cmp_lt_i32_e64 s[16:17], v9, v30
	s_or_b64 s[18:19], s[20:21], s[18:19]
	s_and_b64 s[16:17], s[16:17], s[18:19]
	v_cndmask_b32_e64 v9, v10, v9, s[16:17]
	s_barrier
	ds_write2_b64 v73, v[1:2], v[3:4] offset1:1
	v_lshlrev_b32_e32 v1, 3, v83
	v_lshlrev_b32_e32 v3, 3, v9
	s_waitcnt lgkmcnt(0)
	s_barrier
	ds_read_b64 v[1:2], v1
	ds_read_b64 v[3:4], v3
	v_cndmask_b32_e64 v8, v8, v12, s[16:17]
	v_cndmask_b32_e64 v7, v7, v11, s[16:17]
	s_waitcnt lgkmcnt(0)
	s_barrier
	ds_write2_b64 v73, v[5:6], v[7:8] offset1:1
	v_mov_b32_e32 v7, v49
	s_waitcnt lgkmcnt(0)
	s_barrier
	s_and_saveexec_b64 s[18:19], s[10:11]
	s_cbranch_execz .LBB153_54
; %bb.51:                               ;   in Loop: Header=BB153_2 Depth=1
	s_mov_b64 s[20:21], 0
	v_mov_b32_e32 v7, v49
	v_mov_b32_e32 v5, v50
.LBB153_52:                             ;   Parent Loop BB153_2 Depth=1
                                        ; =>  This Inner Loop Header: Depth=2
	v_sub_u32_e32 v6, v5, v7
	v_lshrrev_b32_e32 v6, 1, v6
	v_add_u32_e32 v6, v6, v7
	v_not_b32_e32 v9, v6
	v_lshl_add_u32 v8, v6, 3, v80
	v_lshl_add_u32 v10, v9, 3, v70
	ds_read_b64 v[8:9], v8
	ds_read_b64 v[10:11], v10
	v_add_u32_e32 v12, 1, v6
	s_waitcnt lgkmcnt(0)
	v_cmp_lt_i64_e64 s[16:17], v[10:11], v[8:9]
	v_cndmask_b32_e64 v5, v5, v6, s[16:17]
	v_cndmask_b32_e64 v7, v12, v7, s[16:17]
	v_cmp_ge_i32_e64 s[16:17], v7, v5
	s_or_b64 s[20:21], s[16:17], s[20:21]
	s_andn2_b64 exec, exec, s[20:21]
	s_cbranch_execnz .LBB153_52
; %bb.53:                               ;   in Loop: Header=BB153_2 Depth=1
	s_or_b64 exec, exec, s[20:21]
.LBB153_54:                             ;   in Loop: Header=BB153_2 Depth=1
	s_or_b64 exec, exec, s[18:19]
	v_sub_u32_e32 v83, v69, v7
	v_lshl_add_u32 v11, v7, 3, v80
	v_lshlrev_b32_e32 v85, 3, v83
	ds_read_b64 v[5:6], v11
	ds_read_b64 v[9:10], v85
	v_add_u32_e32 v84, v7, v18
	v_cmp_le_i32_e64 s[20:21], v31, v84
	v_cmp_gt_i32_e64 s[16:17], v32, v83
                                        ; implicit-def: $vgpr7_vgpr8
	s_waitcnt lgkmcnt(0)
	v_cmp_lt_i64_e64 s[18:19], v[9:10], v[5:6]
	s_or_b64 s[18:19], s[20:21], s[18:19]
	s_and_b64 s[16:17], s[16:17], s[18:19]
	s_xor_b64 s[18:19], s[16:17], -1
	s_and_saveexec_b64 s[20:21], s[18:19]
	s_xor_b64 s[18:19], exec, s[20:21]
; %bb.55:                               ;   in Loop: Header=BB153_2 Depth=1
	ds_read_b64 v[7:8], v11 offset:8
                                        ; implicit-def: $vgpr85
; %bb.56:                               ;   in Loop: Header=BB153_2 Depth=1
	s_or_saveexec_b64 s[18:19], s[18:19]
	v_mov_b32_e32 v12, v10
	v_mov_b32_e32 v11, v9
	s_xor_b64 exec, exec, s[18:19]
	s_cbranch_execz .LBB153_58
; %bb.57:                               ;   in Loop: Header=BB153_2 Depth=1
	ds_read_b64 v[11:12], v85 offset:8
	s_waitcnt lgkmcnt(1)
	v_mov_b32_e32 v8, v6
	v_mov_b32_e32 v7, v5
.LBB153_58:                             ;   in Loop: Header=BB153_2 Depth=1
	s_or_b64 exec, exec, s[18:19]
	v_cndmask_b32_e64 v6, v6, v10, s[16:17]
	v_add_u32_e32 v10, 1, v84
	v_cndmask_b32_e64 v5, v5, v9, s[16:17]
	v_add_u32_e32 v9, 1, v83
	v_cndmask_b32_e64 v10, v10, v84, s[16:17]
	s_waitcnt lgkmcnt(0)
	v_cmp_lt_i64_e64 s[18:19], v[11:12], v[7:8]
	v_cndmask_b32_e64 v9, v83, v9, s[16:17]
	v_cmp_ge_i32_e64 s[20:21], v10, v31
	v_cndmask_b32_e64 v83, v84, v83, s[16:17]
	v_cmp_lt_i32_e64 s[16:17], v9, v32
	s_or_b64 s[18:19], s[20:21], s[18:19]
	s_and_b64 s[16:17], s[16:17], s[18:19]
	v_cndmask_b32_e64 v9, v10, v9, s[16:17]
	s_barrier
	ds_write2_b64 v73, v[1:2], v[3:4] offset1:1
	v_lshlrev_b32_e32 v1, 3, v83
	v_lshlrev_b32_e32 v3, 3, v9
	s_waitcnt lgkmcnt(0)
	s_barrier
	ds_read_b64 v[1:2], v1
	ds_read_b64 v[3:4], v3
	v_cndmask_b32_e64 v8, v8, v12, s[16:17]
	v_cndmask_b32_e64 v7, v7, v11, s[16:17]
	s_waitcnt lgkmcnt(0)
	s_barrier
	ds_write2_b64 v73, v[5:6], v[7:8] offset1:1
	v_mov_b32_e32 v7, v51
	s_waitcnt lgkmcnt(0)
	s_barrier
	s_and_saveexec_b64 s[18:19], s[12:13]
	s_cbranch_execz .LBB153_62
; %bb.59:                               ;   in Loop: Header=BB153_2 Depth=1
	s_mov_b64 s[20:21], 0
	v_mov_b32_e32 v7, v51
	v_mov_b32_e32 v5, v52
.LBB153_60:                             ;   Parent Loop BB153_2 Depth=1
                                        ; =>  This Inner Loop Header: Depth=2
	v_sub_u32_e32 v6, v5, v7
	v_lshrrev_b32_e32 v6, 1, v6
	v_add_u32_e32 v6, v6, v7
	v_not_b32_e32 v9, v6
	v_lshl_add_u32 v8, v6, 3, v81
	v_lshl_add_u32 v10, v9, 3, v72
	ds_read_b64 v[8:9], v8
	ds_read_b64 v[10:11], v10
	v_add_u32_e32 v12, 1, v6
	s_waitcnt lgkmcnt(0)
	v_cmp_lt_i64_e64 s[16:17], v[10:11], v[8:9]
	v_cndmask_b32_e64 v5, v5, v6, s[16:17]
	v_cndmask_b32_e64 v7, v12, v7, s[16:17]
	v_cmp_ge_i32_e64 s[16:17], v7, v5
	s_or_b64 s[20:21], s[16:17], s[20:21]
	s_andn2_b64 exec, exec, s[20:21]
	s_cbranch_execnz .LBB153_60
; %bb.61:                               ;   in Loop: Header=BB153_2 Depth=1
	s_or_b64 exec, exec, s[20:21]
.LBB153_62:                             ;   in Loop: Header=BB153_2 Depth=1
	s_or_b64 exec, exec, s[18:19]
	v_sub_u32_e32 v83, v71, v7
	v_lshl_add_u32 v11, v7, 3, v81
	v_lshlrev_b32_e32 v85, 3, v83
	ds_read_b64 v[5:6], v11
	ds_read_b64 v[9:10], v85
	v_add_u32_e32 v84, v7, v19
	v_cmp_le_i32_e64 s[20:21], v33, v84
	v_cmp_gt_i32_e64 s[16:17], v34, v83
                                        ; implicit-def: $vgpr7_vgpr8
	s_waitcnt lgkmcnt(0)
	v_cmp_lt_i64_e64 s[18:19], v[9:10], v[5:6]
	s_or_b64 s[18:19], s[20:21], s[18:19]
	s_and_b64 s[16:17], s[16:17], s[18:19]
	s_xor_b64 s[18:19], s[16:17], -1
	s_and_saveexec_b64 s[20:21], s[18:19]
	s_xor_b64 s[18:19], exec, s[20:21]
; %bb.63:                               ;   in Loop: Header=BB153_2 Depth=1
	ds_read_b64 v[7:8], v11 offset:8
                                        ; implicit-def: $vgpr85
; %bb.64:                               ;   in Loop: Header=BB153_2 Depth=1
	s_or_saveexec_b64 s[18:19], s[18:19]
	v_mov_b32_e32 v12, v10
	v_mov_b32_e32 v11, v9
	s_xor_b64 exec, exec, s[18:19]
	s_cbranch_execz .LBB153_66
; %bb.65:                               ;   in Loop: Header=BB153_2 Depth=1
	ds_read_b64 v[11:12], v85 offset:8
	s_waitcnt lgkmcnt(1)
	v_mov_b32_e32 v8, v6
	v_mov_b32_e32 v7, v5
.LBB153_66:                             ;   in Loop: Header=BB153_2 Depth=1
	s_or_b64 exec, exec, s[18:19]
	v_cndmask_b32_e64 v6, v6, v10, s[16:17]
	v_add_u32_e32 v10, 1, v84
	v_cndmask_b32_e64 v5, v5, v9, s[16:17]
	v_add_u32_e32 v9, 1, v83
	v_cndmask_b32_e64 v10, v10, v84, s[16:17]
	s_waitcnt lgkmcnt(0)
	v_cmp_lt_i64_e64 s[18:19], v[11:12], v[7:8]
	v_cndmask_b32_e64 v9, v83, v9, s[16:17]
	v_cmp_ge_i32_e64 s[20:21], v10, v33
	v_cndmask_b32_e64 v83, v84, v83, s[16:17]
	v_cmp_lt_i32_e64 s[16:17], v9, v34
	s_or_b64 s[18:19], s[20:21], s[18:19]
	s_and_b64 s[16:17], s[16:17], s[18:19]
	v_cndmask_b32_e64 v9, v10, v9, s[16:17]
	s_barrier
	ds_write2_b64 v73, v[1:2], v[3:4] offset1:1
	v_lshlrev_b32_e32 v1, 3, v83
	v_lshlrev_b32_e32 v3, 3, v9
	s_waitcnt lgkmcnt(0)
	s_barrier
	ds_read_b64 v[1:2], v1
	ds_read_b64 v[3:4], v3
	v_cndmask_b32_e64 v8, v8, v12, s[16:17]
	v_cndmask_b32_e64 v7, v7, v11, s[16:17]
	v_mov_b32_e32 v83, v54
	s_waitcnt lgkmcnt(0)
	s_barrier
	ds_write2_b64 v73, v[5:6], v[7:8] offset1:1
	s_waitcnt lgkmcnt(0)
	s_barrier
	s_and_saveexec_b64 s[18:19], s[14:15]
	s_cbranch_execz .LBB153_70
; %bb.67:                               ;   in Loop: Header=BB153_2 Depth=1
	s_mov_b64 s[20:21], 0
	v_mov_b32_e32 v83, v54
	v_mov_b32_e32 v5, v55
.LBB153_68:                             ;   Parent Loop BB153_2 Depth=1
                                        ; =>  This Inner Loop Header: Depth=2
	v_sub_u32_e32 v6, v5, v83
	v_lshrrev_b32_e32 v6, 1, v6
	v_add_u32_e32 v10, v6, v83
	v_not_b32_e32 v7, v10
	v_lshlrev_b32_e32 v6, 3, v10
	v_lshl_add_u32 v8, v7, 3, v82
	ds_read_b64 v[6:7], v6
	ds_read_b64 v[8:9], v8
	v_add_u32_e32 v11, 1, v10
	s_waitcnt lgkmcnt(0)
	v_cmp_lt_i64_e64 s[16:17], v[8:9], v[6:7]
	v_cndmask_b32_e64 v5, v5, v10, s[16:17]
	v_cndmask_b32_e64 v83, v11, v83, s[16:17]
	v_cmp_ge_i32_e64 s[16:17], v83, v5
	s_or_b64 s[20:21], s[16:17], s[20:21]
	s_andn2_b64 exec, exec, s[20:21]
	s_cbranch_execnz .LBB153_68
; %bb.69:                               ;   in Loop: Header=BB153_2 Depth=1
	s_or_b64 exec, exec, s[20:21]
.LBB153_70:                             ;   in Loop: Header=BB153_2 Depth=1
	s_or_b64 exec, exec, s[18:19]
	v_sub_u32_e32 v84, v56, v83
	v_lshlrev_b32_e32 v11, 3, v83
	v_lshlrev_b32_e32 v87, 3, v84
	ds_read_b64 v[5:6], v11
	ds_read_b64 v[7:8], v87
	v_cmp_le_i32_e64 s[20:21], v53, v83
	v_cmp_gt_i32_e64 s[16:17], s24, v84
                                        ; implicit-def: $vgpr9_vgpr10
                                        ; implicit-def: $vgpr85
	s_waitcnt lgkmcnt(0)
	v_cmp_lt_i64_e64 s[18:19], v[7:8], v[5:6]
	s_or_b64 s[18:19], s[20:21], s[18:19]
	s_and_b64 s[16:17], s[16:17], s[18:19]
	s_xor_b64 s[18:19], s[16:17], -1
	s_and_saveexec_b64 s[20:21], s[18:19]
	s_xor_b64 s[18:19], exec, s[20:21]
; %bb.71:                               ;   in Loop: Header=BB153_2 Depth=1
	ds_read_b64 v[9:10], v11 offset:8
	v_add_u32_e32 v85, 1, v83
                                        ; implicit-def: $vgpr87
; %bb.72:                               ;   in Loop: Header=BB153_2 Depth=1
	s_or_saveexec_b64 s[18:19], s[18:19]
	v_mov_b32_e32 v12, v8
	v_mov_b32_e32 v86, v83
	;; [unrolled: 1-line block ×3, first 2 shown]
	s_xor_b64 exec, exec, s[18:19]
	s_cbranch_execz .LBB153_1
; %bb.73:                               ;   in Loop: Header=BB153_2 Depth=1
	ds_read_b64 v[11:12], v87 offset:8
	s_waitcnt lgkmcnt(1)
	v_add_u32_e32 v9, 1, v84
	v_mov_b32_e32 v86, v84
	v_mov_b32_e32 v84, v9
	;; [unrolled: 1-line block ×5, first 2 shown]
	s_branch .LBB153_1
.LBB153_74:
	s_waitcnt lgkmcnt(1)
	v_add_co_u32_e32 v3, vcc, v5, v3
	v_addc_co_u32_e32 v4, vcc, v6, v4, vcc
	s_waitcnt lgkmcnt(0)
	v_add_co_u32_e32 v1, vcc, v7, v1
	s_add_u32 s0, s26, s28
	v_addc_co_u32_e32 v2, vcc, v8, v2, vcc
	s_addc_u32 s1, s27, s29
	v_lshlrev_b32_e32 v0, 3, v0
	v_mov_b32_e32 v5, s1
	v_add_co_u32_e32 v6, vcc, s0, v0
	v_addc_co_u32_e32 v5, vcc, 0, v5, vcc
	global_store_dwordx2 v0, v[3:4], s[0:1]
	v_add_co_u32_e32 v3, vcc, 0x1000, v6
	v_addc_co_u32_e32 v4, vcc, 0, v5, vcc
	global_store_dwordx2 v[3:4], v[1:2], off
	s_endpgm
	.section	.rodata,"a",@progbits
	.p2align	6, 0x0
	.amdhsa_kernel _Z17sort_pairs_kernelIxLj512ELj2EN10test_utils4lessELj10EEvPKT_PS2_T2_
		.amdhsa_group_segment_fixed_size 8200
		.amdhsa_private_segment_fixed_size 0
		.amdhsa_kernarg_size 20
		.amdhsa_user_sgpr_count 6
		.amdhsa_user_sgpr_private_segment_buffer 1
		.amdhsa_user_sgpr_dispatch_ptr 0
		.amdhsa_user_sgpr_queue_ptr 0
		.amdhsa_user_sgpr_kernarg_segment_ptr 1
		.amdhsa_user_sgpr_dispatch_id 0
		.amdhsa_user_sgpr_flat_scratch_init 0
		.amdhsa_user_sgpr_private_segment_size 0
		.amdhsa_uses_dynamic_stack 0
		.amdhsa_system_sgpr_private_segment_wavefront_offset 0
		.amdhsa_system_sgpr_workgroup_id_x 1
		.amdhsa_system_sgpr_workgroup_id_y 0
		.amdhsa_system_sgpr_workgroup_id_z 0
		.amdhsa_system_sgpr_workgroup_info 0
		.amdhsa_system_vgpr_workitem_id 0
		.amdhsa_next_free_vgpr 88
		.amdhsa_next_free_sgpr 32
		.amdhsa_reserve_vcc 1
		.amdhsa_reserve_flat_scratch 0
		.amdhsa_float_round_mode_32 0
		.amdhsa_float_round_mode_16_64 0
		.amdhsa_float_denorm_mode_32 3
		.amdhsa_float_denorm_mode_16_64 3
		.amdhsa_dx10_clamp 1
		.amdhsa_ieee_mode 1
		.amdhsa_fp16_overflow 0
		.amdhsa_exception_fp_ieee_invalid_op 0
		.amdhsa_exception_fp_denorm_src 0
		.amdhsa_exception_fp_ieee_div_zero 0
		.amdhsa_exception_fp_ieee_overflow 0
		.amdhsa_exception_fp_ieee_underflow 0
		.amdhsa_exception_fp_ieee_inexact 0
		.amdhsa_exception_int_div_zero 0
	.end_amdhsa_kernel
	.section	.text._Z17sort_pairs_kernelIxLj512ELj2EN10test_utils4lessELj10EEvPKT_PS2_T2_,"axG",@progbits,_Z17sort_pairs_kernelIxLj512ELj2EN10test_utils4lessELj10EEvPKT_PS2_T2_,comdat
.Lfunc_end153:
	.size	_Z17sort_pairs_kernelIxLj512ELj2EN10test_utils4lessELj10EEvPKT_PS2_T2_, .Lfunc_end153-_Z17sort_pairs_kernelIxLj512ELj2EN10test_utils4lessELj10EEvPKT_PS2_T2_
                                        ; -- End function
	.set _Z17sort_pairs_kernelIxLj512ELj2EN10test_utils4lessELj10EEvPKT_PS2_T2_.num_vgpr, 88
	.set _Z17sort_pairs_kernelIxLj512ELj2EN10test_utils4lessELj10EEvPKT_PS2_T2_.num_agpr, 0
	.set _Z17sort_pairs_kernelIxLj512ELj2EN10test_utils4lessELj10EEvPKT_PS2_T2_.numbered_sgpr, 32
	.set _Z17sort_pairs_kernelIxLj512ELj2EN10test_utils4lessELj10EEvPKT_PS2_T2_.num_named_barrier, 0
	.set _Z17sort_pairs_kernelIxLj512ELj2EN10test_utils4lessELj10EEvPKT_PS2_T2_.private_seg_size, 0
	.set _Z17sort_pairs_kernelIxLj512ELj2EN10test_utils4lessELj10EEvPKT_PS2_T2_.uses_vcc, 1
	.set _Z17sort_pairs_kernelIxLj512ELj2EN10test_utils4lessELj10EEvPKT_PS2_T2_.uses_flat_scratch, 0
	.set _Z17sort_pairs_kernelIxLj512ELj2EN10test_utils4lessELj10EEvPKT_PS2_T2_.has_dyn_sized_stack, 0
	.set _Z17sort_pairs_kernelIxLj512ELj2EN10test_utils4lessELj10EEvPKT_PS2_T2_.has_recursion, 0
	.set _Z17sort_pairs_kernelIxLj512ELj2EN10test_utils4lessELj10EEvPKT_PS2_T2_.has_indirect_call, 0
	.section	.AMDGPU.csdata,"",@progbits
; Kernel info:
; codeLenInByte = 4968
; TotalNumSgprs: 36
; NumVgprs: 88
; ScratchSize: 0
; MemoryBound: 0
; FloatMode: 240
; IeeeMode: 1
; LDSByteSize: 8200 bytes/workgroup (compile time only)
; SGPRBlocks: 4
; VGPRBlocks: 21
; NumSGPRsForWavesPerEU: 36
; NumVGPRsForWavesPerEU: 88
; Occupancy: 2
; WaveLimiterHint : 1
; COMPUTE_PGM_RSRC2:SCRATCH_EN: 0
; COMPUTE_PGM_RSRC2:USER_SGPR: 6
; COMPUTE_PGM_RSRC2:TRAP_HANDLER: 0
; COMPUTE_PGM_RSRC2:TGID_X_EN: 1
; COMPUTE_PGM_RSRC2:TGID_Y_EN: 0
; COMPUTE_PGM_RSRC2:TGID_Z_EN: 0
; COMPUTE_PGM_RSRC2:TIDIG_COMP_CNT: 0
	.section	.text._Z16sort_keys_kernelIxLj512ELj3EN10test_utils4lessELj10EEvPKT_PS2_T2_,"axG",@progbits,_Z16sort_keys_kernelIxLj512ELj3EN10test_utils4lessELj10EEvPKT_PS2_T2_,comdat
	.protected	_Z16sort_keys_kernelIxLj512ELj3EN10test_utils4lessELj10EEvPKT_PS2_T2_ ; -- Begin function _Z16sort_keys_kernelIxLj512ELj3EN10test_utils4lessELj10EEvPKT_PS2_T2_
	.globl	_Z16sort_keys_kernelIxLj512ELj3EN10test_utils4lessELj10EEvPKT_PS2_T2_
	.p2align	8
	.type	_Z16sort_keys_kernelIxLj512ELj3EN10test_utils4lessELj10EEvPKT_PS2_T2_,@function
_Z16sort_keys_kernelIxLj512ELj3EN10test_utils4lessELj10EEvPKT_PS2_T2_: ; @_Z16sort_keys_kernelIxLj512ELj3EN10test_utils4lessELj10EEvPKT_PS2_T2_
; %bb.0:
	s_load_dwordx4 s[24:27], s[4:5], 0x0
	s_mul_i32 s28, s6, 0x600
	s_mov_b32 s29, 0
	s_lshl_b64 s[30:31], s[28:29], 3
	v_lshlrev_b32_e32 v5, 3, v0
	s_waitcnt lgkmcnt(0)
	s_add_u32 s2, s24, s30
	s_addc_u32 s3, s25, s31
	v_mov_b32_e32 v1, s3
	v_add_co_u32_e32 v2, vcc, s2, v5
	v_addc_co_u32_e32 v3, vcc, 0, v1, vcc
	s_movk_i32 s0, 0x2000
	v_add_co_u32_e32 v1, vcc, s0, v2
	v_addc_co_u32_e32 v2, vcc, 0, v3, vcc
	v_and_b32_e32 v3, 0x1fe, v0
	v_mul_u32_u24_e32 v3, 3, v3
	v_and_b32_e32 v4, 1, v0
	v_min_u32_e32 v6, 0x5fd, v3
	v_and_b32_e32 v9, 0x1fc, v0
	v_cmp_eq_u32_e32 vcc, 1, v4
	v_add_u32_e32 v15, 3, v6
	v_mul_u32_u24_e32 v9, 3, v9
	v_min_u32_e32 v31, 0x600, v3
	v_cndmask_b32_e64 v4, 0, 3, vcc
	v_min_u32_e32 v7, 0x5fa, v3
	v_min_u32_e32 v12, 0x5fa, v9
	v_sub_u32_e32 v3, v15, v31
	v_add_u32_e32 v16, 6, v7
	v_and_b32_e32 v10, 3, v0
	v_add_u32_e32 v17, 6, v12
	v_min_i32_e32 v33, v4, v3
	v_lshlrev_b32_e32 v3, 3, v4
	v_min_u32_e32 v37, 0x600, v9
	v_sub_u32_e32 v7, v16, v15
	v_mul_u32_u24_e32 v11, 3, v10
	v_lshl_add_u32 v34, v6, 3, v3
	v_sub_u32_e32 v3, v17, v37
	v_sub_u32_e32 v8, v4, v7
	v_cmp_ge_i32_e32 vcc, v4, v7
	v_add_u32_e32 v35, v6, v4
	v_add_u32_e32 v36, v15, v4
	v_min_i32_e32 v39, v11, v3
	global_load_dwordx2 v[3:4], v[1:2], off offset:-4096
	s_nop 0
	global_load_dwordx2 v[1:2], v[1:2], off
	s_nop 0
	global_load_dwordx2 v[5:6], v5, s[2:3]
	v_and_b32_e32 v19, 0x1f8, v0
	v_mul_u32_u24_e32 v43, 3, v19
	v_min_u32_e32 v19, 0x5e8, v43
	v_min_u32_e32 v47, 0x5f4, v43
	v_and_b32_e32 v21, 0x1f0, v0
	v_and_b32_e32 v48, 7, v0
	v_add_u32_e32 v19, 24, v19
	v_add_u32_e32 v20, 12, v47
	v_mul_u32_u24_e32 v49, 3, v21
	v_mul_u32_u24_e32 v46, 3, v48
	v_sub_u32_e32 v44, v19, v20
	v_min_u32_e32 v21, 0x5d0, v49
	v_min_u32_e32 v53, 0x5e8, v49
	v_and_b32_e32 v23, 0x1e0, v0
	v_lshlrev_b32_e32 v7, 3, v11
	v_min_u32_e32 v43, 0x600, v43
	v_sub_u32_e32 v45, v46, v44
	v_add_u32_e32 v21, 48, v21
	v_and_b32_e32 v54, 15, v0
	v_add_u32_e32 v22, 24, v53
	v_mul_u32_u24_e32 v55, 3, v23
	v_lshl_add_u32 v40, v12, 3, v7
	v_cmp_ge_i32_e64 s[2:3], v46, v44
	v_sub_u32_e32 v7, v20, v43
	v_mul_u32_u24_e32 v52, 3, v54
	v_sub_u32_e32 v50, v21, v22
	v_min_u32_e32 v23, 0x5a0, v55
	v_min_u32_e32 v59, 0x5d0, v55
	v_and_b32_e32 v25, 0x1c0, v0
	v_cndmask_b32_e64 v44, 0, v45, s[2:3]
	v_min_i32_e32 v45, v46, v7
	v_lshlrev_b32_e32 v7, 3, v46
	v_min_u32_e32 v49, 0x600, v49
	v_sub_u32_e32 v51, v52, v50
	v_add_u32_e32 v23, 0x60, v23
	v_and_b32_e32 v60, 31, v0
	v_add_u32_e32 v24, 48, v59
	v_mul_u32_u24_e32 v61, 3, v25
	v_lshl_add_u32 v46, v47, 3, v7
	v_cmp_ge_i32_e64 s[4:5], v52, v50
	v_sub_u32_e32 v7, v22, v49
	v_mul_u32_u24_e32 v58, 3, v60
	v_sub_u32_e32 v56, v23, v24
	v_min_u32_e32 v25, 0x540, v61
	v_min_u32_e32 v65, 0x5a0, v61
	v_and_b32_e32 v27, 0x180, v0
	v_cndmask_b32_e64 v50, 0, v51, s[4:5]
	v_min_i32_e32 v51, v52, v7
	;; [unrolled: 17-line block ×3, first 2 shown]
	v_lshlrev_b32_e32 v7, 3, v58
	v_min_u32_e32 v61, 0x600, v61
	v_sub_u32_e32 v63, v64, v62
	v_add_u32_e32 v27, 0x180, v27
	v_and_b32_e32 v72, 0x7f, v0
	v_add_u32_e32 v28, 0xc0, v71
	v_mul_u32_u24_e32 v73, 3, v29
	v_lshl_add_u32 v58, v59, 3, v7
	v_cmp_ge_i32_e64 s[8:9], v64, v62
	v_sub_u32_e32 v7, v26, v61
	v_min_u32_e32 v13, 0x5f4, v9
	v_mul_u32_u24_e32 v70, 3, v72
	v_sub_u32_e32 v68, v27, v28
	v_min_u32_e32 v29, 0x300, v73
	v_min_u32_e32 v77, 0x480, v73
	v_cndmask_b32_e64 v62, 0, v63, s[8:9]
	v_min_i32_e32 v63, v64, v7
	v_lshlrev_b32_e32 v7, 3, v64
	v_min_u32_e32 v67, 0x600, v67
	v_add_u32_e32 v18, 12, v13
	v_sub_u32_e32 v69, v70, v68
	v_add_u32_e32 v29, 0x300, v29
	v_and_b32_e32 v78, 0xff, v0
	v_add_u32_e32 v30, 0x180, v77
	v_lshl_add_u32 v64, v65, 3, v7
	v_cmp_ge_i32_e64 s[10:11], v70, v68
	v_sub_u32_e32 v7, v28, v67
	v_sub_u32_e32 v13, v18, v17
	v_mul_u32_u24_e32 v76, 3, v78
	v_sub_u32_e32 v74, v29, v30
	v_cndmask_b32_e64 v68, 0, v69, s[10:11]
	v_min_i32_e32 v69, v70, v7
	v_lshlrev_b32_e32 v7, 3, v70
	v_min_u32_e32 v73, 0x600, v73
	v_sub_u32_e32 v14, v11, v13
	v_sub_u32_e32 v75, v76, v74
	v_cmp_ge_i32_e64 s[0:1], v11, v13
	v_lshl_add_u32 v70, v71, 3, v7
	v_cmp_ge_i32_e64 s[12:13], v76, v74
	v_sub_u32_e32 v7, v30, v73
	v_mov_b32_e32 v79, 0x300
	v_mul_u32_u24_e32 v80, 3, v0
	v_cndmask_b32_e32 v32, 0, v8, vcc
	v_cndmask_b32_e64 v38, 0, v14, s[0:1]
	v_cndmask_b32_e64 v74, 0, v75, s[12:13]
	v_min_i32_e32 v75, v76, v7
	v_lshlrev_b32_e32 v7, 3, v76
	v_sub_u32_e64 v81, v80, v79 clamp
	v_min_i32_e32 v82, 0x300, v80
	s_movk_i32 s24, 0x600
	v_cmp_lt_i32_e32 vcc, v32, v33
	v_cmp_lt_i32_e64 s[0:1], v38, v39
	v_mad_u32_u24 v41, v10, 3, v12
	v_mad_u32_u24 v42, v10, 3, v17
	v_cmp_lt_i32_e64 s[2:3], v44, v45
	v_mad_u32_u24 v47, v48, 3, v47
	v_mad_u32_u24 v48, v48, 3, v20
	;; [unrolled: 3-line block ×6, first 2 shown]
	v_cmp_lt_i32_e64 s[12:13], v74, v75
	v_lshl_add_u32 v76, v77, 3, v7
	v_mad_u32_u24 v77, v78, 3, v77
	v_mad_u32_u24 v78, v78, 3, v30
	v_cmp_lt_i32_e64 s[14:15], v81, v82
	v_mul_u32_u24_e32 v83, 24, v0
	v_lshlrev_b32_e32 v84, 3, v31
	v_lshlrev_b32_e32 v85, 3, v37
	;; [unrolled: 1-line block ×8, first 2 shown]
	v_mad_u32_u24 v92, v0, 3, v79
	v_lshlrev_b32_e32 v93, 3, v80
	s_branch .LBB154_2
.LBB154_1:                              ;   in Loop: Header=BB154_2 Depth=1
	s_or_b64 exec, exec, s[20:21]
	v_cndmask_b32_e64 v6, v2, v4, s[16:17]
	v_cndmask_b32_e64 v5, v1, v3, s[16:17]
	v_cndmask_b32_e64 v4, v8, v10, s[18:19]
	v_cndmask_b32_e64 v3, v7, v9, s[18:19]
	s_waitcnt lgkmcnt(0)
	v_cmp_lt_i64_e64 s[18:19], v[13:14], v[11:12]
	v_cmp_ge_i32_e64 s[20:21], v95, v79
	v_cmp_gt_i32_e64 s[16:17], s24, v94
	s_or_b64 s[18:19], s[20:21], s[18:19]
	s_and_b64 s[16:17], s[16:17], s[18:19]
	s_add_i32 s29, s29, 1
	v_cndmask_b32_e64 v2, v12, v14, s[16:17]
	s_cmp_eq_u32 s29, 10
	v_cndmask_b32_e64 v1, v11, v13, s[16:17]
	s_cbranch_scc1 .LBB154_110
.LBB154_2:                              ; =>This Loop Header: Depth=1
                                        ;     Child Loop BB154_4 Depth 2
                                        ;     Child Loop BB154_16 Depth 2
	;; [unrolled: 1-line block ×9, first 2 shown]
	s_waitcnt vmcnt(0)
	v_cmp_lt_i64_e64 s[16:17], v[3:4], v[5:6]
	v_cndmask_b32_e64 v8, v6, v4, s[16:17]
	v_cndmask_b32_e64 v7, v5, v3, s[16:17]
	;; [unrolled: 1-line block ×4, first 2 shown]
	v_cmp_gt_i64_e64 s[16:17], v[3:4], v[5:6]
	s_barrier
	v_cndmask_b32_e64 v4, v6, v4, s[16:17]
	v_cndmask_b32_e64 v3, v5, v3, s[16:17]
	v_cmp_lt_i64_e64 s[16:17], v[1:2], v[3:4]
	v_cndmask_b32_e64 v6, v2, v4, s[16:17]
	v_cndmask_b32_e64 v5, v1, v3, s[16:17]
	;; [unrolled: 1-line block ×6, first 2 shown]
	v_cmp_lt_i64_e64 s[16:17], v[1:2], v[7:8]
	v_cndmask_b32_e64 v2, v9, v8, s[16:17]
	v_cndmask_b32_e64 v1, v10, v7, s[16:17]
	;; [unrolled: 1-line block ×4, first 2 shown]
	ds_write2_b64 v83, v[3:4], v[1:2] offset1:1
	ds_write_b64 v83, v[5:6] offset:16
	v_mov_b32_e32 v5, v32
	s_waitcnt lgkmcnt(0)
	s_barrier
	s_and_saveexec_b64 s[18:19], vcc
	s_cbranch_execz .LBB154_6
; %bb.3:                                ;   in Loop: Header=BB154_2 Depth=1
	s_mov_b64 s[20:21], 0
	v_mov_b32_e32 v5, v32
	v_mov_b32_e32 v1, v33
.LBB154_4:                              ;   Parent Loop BB154_2 Depth=1
                                        ; =>  This Inner Loop Header: Depth=2
	v_sub_u32_e32 v2, v1, v5
	v_lshrrev_b32_e32 v2, 1, v2
	v_add_u32_e32 v4, v2, v5
	v_not_b32_e32 v3, v4
	v_lshl_add_u32 v2, v4, 3, v84
	v_lshl_add_u32 v6, v3, 3, v34
	ds_read_b64 v[2:3], v2
	ds_read_b64 v[6:7], v6 offset:24
	v_add_u32_e32 v8, 1, v4
	s_waitcnt lgkmcnt(0)
	v_cmp_lt_i64_e64 s[16:17], v[6:7], v[2:3]
	v_cndmask_b32_e64 v1, v1, v4, s[16:17]
	v_cndmask_b32_e64 v5, v8, v5, s[16:17]
	v_cmp_ge_i32_e64 s[16:17], v5, v1
	s_or_b64 s[20:21], s[16:17], s[20:21]
	s_andn2_b64 exec, exec, s[20:21]
	s_cbranch_execnz .LBB154_4
; %bb.5:                                ;   in Loop: Header=BB154_2 Depth=1
	s_or_b64 exec, exec, s[20:21]
.LBB154_6:                              ;   in Loop: Header=BB154_2 Depth=1
	s_or_b64 exec, exec, s[18:19]
	v_lshl_add_u32 v7, v5, 3, v84
	v_sub_u32_e32 v1, v35, v5
	v_lshlrev_b32_e32 v11, 3, v1
	ds_read_b64 v[1:2], v7
	ds_read_b64 v[3:4], v11 offset:24
	v_add_u32_e32 v9, v5, v31
	v_sub_u32_e32 v10, v36, v5
	v_cmp_le_i32_e64 s[20:21], v15, v9
	v_cmp_gt_i32_e64 s[16:17], v16, v10
	s_waitcnt lgkmcnt(0)
	v_cmp_lt_i64_e64 s[18:19], v[3:4], v[1:2]
                                        ; implicit-def: $vgpr5_vgpr6
	s_or_b64 s[18:19], s[20:21], s[18:19]
	s_and_b64 s[16:17], s[16:17], s[18:19]
	s_xor_b64 s[18:19], s[16:17], -1
	s_and_saveexec_b64 s[20:21], s[18:19]
	s_xor_b64 s[18:19], exec, s[20:21]
; %bb.7:                                ;   in Loop: Header=BB154_2 Depth=1
	ds_read_b64 v[5:6], v7 offset:8
                                        ; implicit-def: $vgpr11
; %bb.8:                                ;   in Loop: Header=BB154_2 Depth=1
	s_or_saveexec_b64 s[18:19], s[18:19]
	v_mov_b32_e32 v8, v4
	v_mov_b32_e32 v7, v3
	s_xor_b64 exec, exec, s[18:19]
	s_cbranch_execz .LBB154_10
; %bb.9:                                ;   in Loop: Header=BB154_2 Depth=1
	ds_read_b64 v[7:8], v11 offset:32
	s_waitcnt lgkmcnt(1)
	v_mov_b32_e32 v6, v2
	v_mov_b32_e32 v5, v1
.LBB154_10:                             ;   in Loop: Header=BB154_2 Depth=1
	s_or_b64 exec, exec, s[18:19]
	v_add_u32_e32 v12, 1, v9
	v_add_u32_e32 v11, 1, v10
	v_cndmask_b32_e64 v14, v12, v9, s[16:17]
	s_waitcnt lgkmcnt(0)
	v_cmp_lt_i64_e64 s[20:21], v[7:8], v[5:6]
	v_cndmask_b32_e64 v13, v10, v11, s[16:17]
	v_cmp_ge_i32_e64 s[22:23], v14, v15
	v_cmp_lt_i32_e64 s[18:19], v13, v16
	s_or_b64 s[20:21], s[22:23], s[20:21]
	s_and_b64 s[18:19], s[18:19], s[20:21]
	s_xor_b64 s[20:21], s[18:19], -1
                                        ; implicit-def: $vgpr9_vgpr10
	s_and_saveexec_b64 s[22:23], s[20:21]
	s_xor_b64 s[20:21], exec, s[22:23]
; %bb.11:                               ;   in Loop: Header=BB154_2 Depth=1
	v_lshlrev_b32_e32 v9, 3, v14
	ds_read_b64 v[9:10], v9 offset:8
; %bb.12:                               ;   in Loop: Header=BB154_2 Depth=1
	s_or_saveexec_b64 s[20:21], s[20:21]
	v_mov_b32_e32 v12, v8
	v_mov_b32_e32 v11, v7
	s_xor_b64 exec, exec, s[20:21]
	s_cbranch_execz .LBB154_14
; %bb.13:                               ;   in Loop: Header=BB154_2 Depth=1
	s_waitcnt lgkmcnt(0)
	v_lshlrev_b32_e32 v9, 3, v13
	ds_read_b64 v[11:12], v9 offset:8
	v_mov_b32_e32 v10, v6
	v_mov_b32_e32 v9, v5
.LBB154_14:                             ;   in Loop: Header=BB154_2 Depth=1
	s_or_b64 exec, exec, s[20:21]
	v_cndmask_b32_e64 v6, v6, v8, s[18:19]
	v_cndmask_b32_e64 v5, v5, v7, s[18:19]
	v_add_u32_e32 v7, 1, v13
	v_add_u32_e32 v8, 1, v14
	v_cndmask_b32_e64 v7, v13, v7, s[18:19]
	v_cndmask_b32_e64 v8, v8, v14, s[18:19]
	s_waitcnt lgkmcnt(0)
	v_cmp_lt_i64_e64 s[18:19], v[11:12], v[9:10]
	v_cmp_ge_i32_e64 s[20:21], v8, v15
	v_cndmask_b32_e64 v2, v2, v4, s[16:17]
	v_cndmask_b32_e64 v1, v1, v3, s[16:17]
	v_cmp_lt_i32_e64 s[16:17], v7, v16
	s_or_b64 s[18:19], s[20:21], s[18:19]
	s_and_b64 s[16:17], s[16:17], s[18:19]
	v_cndmask_b32_e64 v4, v10, v12, s[16:17]
	v_cndmask_b32_e64 v3, v9, v11, s[16:17]
	s_barrier
	ds_write2_b64 v83, v[1:2], v[5:6] offset1:1
	ds_write_b64 v83, v[3:4] offset:16
	v_mov_b32_e32 v5, v38
	s_waitcnt lgkmcnt(0)
	s_barrier
	s_and_saveexec_b64 s[18:19], s[0:1]
	s_cbranch_execz .LBB154_18
; %bb.15:                               ;   in Loop: Header=BB154_2 Depth=1
	s_mov_b64 s[20:21], 0
	v_mov_b32_e32 v5, v38
	v_mov_b32_e32 v1, v39
.LBB154_16:                             ;   Parent Loop BB154_2 Depth=1
                                        ; =>  This Inner Loop Header: Depth=2
	v_sub_u32_e32 v2, v1, v5
	v_lshrrev_b32_e32 v2, 1, v2
	v_add_u32_e32 v4, v2, v5
	v_not_b32_e32 v3, v4
	v_lshl_add_u32 v2, v4, 3, v85
	v_lshl_add_u32 v6, v3, 3, v40
	ds_read_b64 v[2:3], v2
	ds_read_b64 v[6:7], v6 offset:48
	v_add_u32_e32 v8, 1, v4
	s_waitcnt lgkmcnt(0)
	v_cmp_lt_i64_e64 s[16:17], v[6:7], v[2:3]
	v_cndmask_b32_e64 v1, v1, v4, s[16:17]
	v_cndmask_b32_e64 v5, v8, v5, s[16:17]
	v_cmp_ge_i32_e64 s[16:17], v5, v1
	s_or_b64 s[20:21], s[16:17], s[20:21]
	s_andn2_b64 exec, exec, s[20:21]
	s_cbranch_execnz .LBB154_16
; %bb.17:                               ;   in Loop: Header=BB154_2 Depth=1
	s_or_b64 exec, exec, s[20:21]
.LBB154_18:                             ;   in Loop: Header=BB154_2 Depth=1
	s_or_b64 exec, exec, s[18:19]
	v_lshl_add_u32 v7, v5, 3, v85
	v_sub_u32_e32 v1, v41, v5
	v_lshlrev_b32_e32 v11, 3, v1
	ds_read_b64 v[1:2], v7
	ds_read_b64 v[3:4], v11 offset:48
	v_add_u32_e32 v9, v5, v37
	v_sub_u32_e32 v10, v42, v5
	v_cmp_le_i32_e64 s[20:21], v17, v9
	v_cmp_gt_i32_e64 s[16:17], v18, v10
	s_waitcnt lgkmcnt(0)
	v_cmp_lt_i64_e64 s[18:19], v[3:4], v[1:2]
                                        ; implicit-def: $vgpr5_vgpr6
	s_or_b64 s[18:19], s[20:21], s[18:19]
	s_and_b64 s[16:17], s[16:17], s[18:19]
	s_xor_b64 s[18:19], s[16:17], -1
	s_and_saveexec_b64 s[20:21], s[18:19]
	s_xor_b64 s[18:19], exec, s[20:21]
; %bb.19:                               ;   in Loop: Header=BB154_2 Depth=1
	ds_read_b64 v[5:6], v7 offset:8
                                        ; implicit-def: $vgpr11
; %bb.20:                               ;   in Loop: Header=BB154_2 Depth=1
	s_or_saveexec_b64 s[18:19], s[18:19]
	v_mov_b32_e32 v8, v4
	v_mov_b32_e32 v7, v3
	s_xor_b64 exec, exec, s[18:19]
	s_cbranch_execz .LBB154_22
; %bb.21:                               ;   in Loop: Header=BB154_2 Depth=1
	ds_read_b64 v[7:8], v11 offset:56
	s_waitcnt lgkmcnt(1)
	v_mov_b32_e32 v6, v2
	v_mov_b32_e32 v5, v1
.LBB154_22:                             ;   in Loop: Header=BB154_2 Depth=1
	s_or_b64 exec, exec, s[18:19]
	v_add_u32_e32 v12, 1, v9
	v_add_u32_e32 v11, 1, v10
	v_cndmask_b32_e64 v14, v12, v9, s[16:17]
	s_waitcnt lgkmcnt(0)
	v_cmp_lt_i64_e64 s[20:21], v[7:8], v[5:6]
	v_cndmask_b32_e64 v13, v10, v11, s[16:17]
	v_cmp_ge_i32_e64 s[22:23], v14, v17
	v_cmp_lt_i32_e64 s[18:19], v13, v18
	s_or_b64 s[20:21], s[22:23], s[20:21]
	s_and_b64 s[18:19], s[18:19], s[20:21]
	s_xor_b64 s[20:21], s[18:19], -1
                                        ; implicit-def: $vgpr9_vgpr10
	s_and_saveexec_b64 s[22:23], s[20:21]
	s_xor_b64 s[20:21], exec, s[22:23]
; %bb.23:                               ;   in Loop: Header=BB154_2 Depth=1
	v_lshlrev_b32_e32 v9, 3, v14
	ds_read_b64 v[9:10], v9 offset:8
; %bb.24:                               ;   in Loop: Header=BB154_2 Depth=1
	s_or_saveexec_b64 s[20:21], s[20:21]
	v_mov_b32_e32 v12, v8
	v_mov_b32_e32 v11, v7
	s_xor_b64 exec, exec, s[20:21]
	s_cbranch_execz .LBB154_26
; %bb.25:                               ;   in Loop: Header=BB154_2 Depth=1
	s_waitcnt lgkmcnt(0)
	v_lshlrev_b32_e32 v9, 3, v13
	ds_read_b64 v[11:12], v9 offset:8
	v_mov_b32_e32 v10, v6
	v_mov_b32_e32 v9, v5
.LBB154_26:                             ;   in Loop: Header=BB154_2 Depth=1
	s_or_b64 exec, exec, s[20:21]
	v_cndmask_b32_e64 v6, v6, v8, s[18:19]
	v_cndmask_b32_e64 v5, v5, v7, s[18:19]
	v_add_u32_e32 v7, 1, v13
	v_add_u32_e32 v8, 1, v14
	v_cndmask_b32_e64 v7, v13, v7, s[18:19]
	v_cndmask_b32_e64 v8, v8, v14, s[18:19]
	s_waitcnt lgkmcnt(0)
	v_cmp_lt_i64_e64 s[18:19], v[11:12], v[9:10]
	v_cmp_ge_i32_e64 s[20:21], v8, v17
	v_cndmask_b32_e64 v2, v2, v4, s[16:17]
	v_cndmask_b32_e64 v1, v1, v3, s[16:17]
	v_cmp_lt_i32_e64 s[16:17], v7, v18
	s_or_b64 s[18:19], s[20:21], s[18:19]
	s_and_b64 s[16:17], s[16:17], s[18:19]
	v_cndmask_b32_e64 v4, v10, v12, s[16:17]
	v_cndmask_b32_e64 v3, v9, v11, s[16:17]
	s_barrier
	ds_write2_b64 v83, v[1:2], v[5:6] offset1:1
	ds_write_b64 v83, v[3:4] offset:16
	v_mov_b32_e32 v5, v44
	s_waitcnt lgkmcnt(0)
	s_barrier
	s_and_saveexec_b64 s[18:19], s[2:3]
	s_cbranch_execz .LBB154_30
; %bb.27:                               ;   in Loop: Header=BB154_2 Depth=1
	s_mov_b64 s[20:21], 0
	v_mov_b32_e32 v5, v44
	v_mov_b32_e32 v1, v45
.LBB154_28:                             ;   Parent Loop BB154_2 Depth=1
                                        ; =>  This Inner Loop Header: Depth=2
	v_sub_u32_e32 v2, v1, v5
	v_lshrrev_b32_e32 v2, 1, v2
	v_add_u32_e32 v4, v2, v5
	v_not_b32_e32 v3, v4
	v_lshl_add_u32 v2, v4, 3, v86
	v_lshl_add_u32 v6, v3, 3, v46
	ds_read_b64 v[2:3], v2
	ds_read_b64 v[6:7], v6 offset:96
	v_add_u32_e32 v8, 1, v4
	s_waitcnt lgkmcnt(0)
	v_cmp_lt_i64_e64 s[16:17], v[6:7], v[2:3]
	v_cndmask_b32_e64 v1, v1, v4, s[16:17]
	v_cndmask_b32_e64 v5, v8, v5, s[16:17]
	v_cmp_ge_i32_e64 s[16:17], v5, v1
	s_or_b64 s[20:21], s[16:17], s[20:21]
	s_andn2_b64 exec, exec, s[20:21]
	s_cbranch_execnz .LBB154_28
; %bb.29:                               ;   in Loop: Header=BB154_2 Depth=1
	s_or_b64 exec, exec, s[20:21]
.LBB154_30:                             ;   in Loop: Header=BB154_2 Depth=1
	s_or_b64 exec, exec, s[18:19]
	v_lshl_add_u32 v7, v5, 3, v86
	v_sub_u32_e32 v1, v47, v5
	v_lshlrev_b32_e32 v11, 3, v1
	ds_read_b64 v[1:2], v7
	ds_read_b64 v[3:4], v11 offset:96
	v_add_u32_e32 v9, v5, v43
	v_sub_u32_e32 v10, v48, v5
	v_cmp_le_i32_e64 s[20:21], v20, v9
	v_cmp_gt_i32_e64 s[16:17], v19, v10
	s_waitcnt lgkmcnt(0)
	v_cmp_lt_i64_e64 s[18:19], v[3:4], v[1:2]
                                        ; implicit-def: $vgpr5_vgpr6
	s_or_b64 s[18:19], s[20:21], s[18:19]
	s_and_b64 s[16:17], s[16:17], s[18:19]
	s_xor_b64 s[18:19], s[16:17], -1
	s_and_saveexec_b64 s[20:21], s[18:19]
	s_xor_b64 s[18:19], exec, s[20:21]
; %bb.31:                               ;   in Loop: Header=BB154_2 Depth=1
	ds_read_b64 v[5:6], v7 offset:8
                                        ; implicit-def: $vgpr11
; %bb.32:                               ;   in Loop: Header=BB154_2 Depth=1
	s_or_saveexec_b64 s[18:19], s[18:19]
	v_mov_b32_e32 v8, v4
	v_mov_b32_e32 v7, v3
	s_xor_b64 exec, exec, s[18:19]
	s_cbranch_execz .LBB154_34
; %bb.33:                               ;   in Loop: Header=BB154_2 Depth=1
	ds_read_b64 v[7:8], v11 offset:104
	s_waitcnt lgkmcnt(1)
	v_mov_b32_e32 v6, v2
	v_mov_b32_e32 v5, v1
.LBB154_34:                             ;   in Loop: Header=BB154_2 Depth=1
	s_or_b64 exec, exec, s[18:19]
	v_add_u32_e32 v12, 1, v9
	v_add_u32_e32 v11, 1, v10
	v_cndmask_b32_e64 v14, v12, v9, s[16:17]
	s_waitcnt lgkmcnt(0)
	v_cmp_lt_i64_e64 s[20:21], v[7:8], v[5:6]
	v_cndmask_b32_e64 v13, v10, v11, s[16:17]
	v_cmp_ge_i32_e64 s[22:23], v14, v20
	v_cmp_lt_i32_e64 s[18:19], v13, v19
	s_or_b64 s[20:21], s[22:23], s[20:21]
	s_and_b64 s[18:19], s[18:19], s[20:21]
	s_xor_b64 s[20:21], s[18:19], -1
                                        ; implicit-def: $vgpr9_vgpr10
	s_and_saveexec_b64 s[22:23], s[20:21]
	s_xor_b64 s[20:21], exec, s[22:23]
; %bb.35:                               ;   in Loop: Header=BB154_2 Depth=1
	v_lshlrev_b32_e32 v9, 3, v14
	ds_read_b64 v[9:10], v9 offset:8
; %bb.36:                               ;   in Loop: Header=BB154_2 Depth=1
	s_or_saveexec_b64 s[20:21], s[20:21]
	v_mov_b32_e32 v12, v8
	v_mov_b32_e32 v11, v7
	s_xor_b64 exec, exec, s[20:21]
	s_cbranch_execz .LBB154_38
; %bb.37:                               ;   in Loop: Header=BB154_2 Depth=1
	s_waitcnt lgkmcnt(0)
	v_lshlrev_b32_e32 v9, 3, v13
	ds_read_b64 v[11:12], v9 offset:8
	v_mov_b32_e32 v10, v6
	v_mov_b32_e32 v9, v5
.LBB154_38:                             ;   in Loop: Header=BB154_2 Depth=1
	s_or_b64 exec, exec, s[20:21]
	v_cndmask_b32_e64 v6, v6, v8, s[18:19]
	v_cndmask_b32_e64 v5, v5, v7, s[18:19]
	v_add_u32_e32 v7, 1, v13
	v_add_u32_e32 v8, 1, v14
	v_cndmask_b32_e64 v7, v13, v7, s[18:19]
	v_cndmask_b32_e64 v8, v8, v14, s[18:19]
	s_waitcnt lgkmcnt(0)
	v_cmp_lt_i64_e64 s[18:19], v[11:12], v[9:10]
	v_cmp_ge_i32_e64 s[20:21], v8, v20
	v_cndmask_b32_e64 v2, v2, v4, s[16:17]
	v_cndmask_b32_e64 v1, v1, v3, s[16:17]
	v_cmp_lt_i32_e64 s[16:17], v7, v19
	s_or_b64 s[18:19], s[20:21], s[18:19]
	s_and_b64 s[16:17], s[16:17], s[18:19]
	v_cndmask_b32_e64 v4, v10, v12, s[16:17]
	v_cndmask_b32_e64 v3, v9, v11, s[16:17]
	s_barrier
	ds_write2_b64 v83, v[1:2], v[5:6] offset1:1
	ds_write_b64 v83, v[3:4] offset:16
	v_mov_b32_e32 v5, v50
	s_waitcnt lgkmcnt(0)
	s_barrier
	s_and_saveexec_b64 s[18:19], s[4:5]
	s_cbranch_execz .LBB154_42
; %bb.39:                               ;   in Loop: Header=BB154_2 Depth=1
	s_mov_b64 s[20:21], 0
	v_mov_b32_e32 v5, v50
	v_mov_b32_e32 v1, v51
.LBB154_40:                             ;   Parent Loop BB154_2 Depth=1
                                        ; =>  This Inner Loop Header: Depth=2
	v_sub_u32_e32 v2, v1, v5
	v_lshrrev_b32_e32 v2, 1, v2
	v_add_u32_e32 v4, v2, v5
	v_not_b32_e32 v3, v4
	v_lshl_add_u32 v2, v4, 3, v87
	v_lshl_add_u32 v6, v3, 3, v52
	ds_read_b64 v[2:3], v2
	ds_read_b64 v[6:7], v6 offset:192
	v_add_u32_e32 v8, 1, v4
	s_waitcnt lgkmcnt(0)
	v_cmp_lt_i64_e64 s[16:17], v[6:7], v[2:3]
	v_cndmask_b32_e64 v1, v1, v4, s[16:17]
	v_cndmask_b32_e64 v5, v8, v5, s[16:17]
	v_cmp_ge_i32_e64 s[16:17], v5, v1
	s_or_b64 s[20:21], s[16:17], s[20:21]
	s_andn2_b64 exec, exec, s[20:21]
	s_cbranch_execnz .LBB154_40
; %bb.41:                               ;   in Loop: Header=BB154_2 Depth=1
	s_or_b64 exec, exec, s[20:21]
.LBB154_42:                             ;   in Loop: Header=BB154_2 Depth=1
	s_or_b64 exec, exec, s[18:19]
	v_lshl_add_u32 v7, v5, 3, v87
	v_sub_u32_e32 v1, v53, v5
	v_lshlrev_b32_e32 v11, 3, v1
	ds_read_b64 v[1:2], v7
	ds_read_b64 v[3:4], v11 offset:192
	v_add_u32_e32 v9, v5, v49
	v_sub_u32_e32 v10, v54, v5
	v_cmp_le_i32_e64 s[20:21], v22, v9
	v_cmp_gt_i32_e64 s[16:17], v21, v10
	s_waitcnt lgkmcnt(0)
	v_cmp_lt_i64_e64 s[18:19], v[3:4], v[1:2]
                                        ; implicit-def: $vgpr5_vgpr6
	s_or_b64 s[18:19], s[20:21], s[18:19]
	s_and_b64 s[16:17], s[16:17], s[18:19]
	s_xor_b64 s[18:19], s[16:17], -1
	s_and_saveexec_b64 s[20:21], s[18:19]
	s_xor_b64 s[18:19], exec, s[20:21]
; %bb.43:                               ;   in Loop: Header=BB154_2 Depth=1
	ds_read_b64 v[5:6], v7 offset:8
                                        ; implicit-def: $vgpr11
; %bb.44:                               ;   in Loop: Header=BB154_2 Depth=1
	s_or_saveexec_b64 s[18:19], s[18:19]
	v_mov_b32_e32 v8, v4
	v_mov_b32_e32 v7, v3
	s_xor_b64 exec, exec, s[18:19]
	s_cbranch_execz .LBB154_46
; %bb.45:                               ;   in Loop: Header=BB154_2 Depth=1
	ds_read_b64 v[7:8], v11 offset:200
	s_waitcnt lgkmcnt(1)
	v_mov_b32_e32 v6, v2
	v_mov_b32_e32 v5, v1
.LBB154_46:                             ;   in Loop: Header=BB154_2 Depth=1
	s_or_b64 exec, exec, s[18:19]
	v_add_u32_e32 v12, 1, v9
	v_add_u32_e32 v11, 1, v10
	v_cndmask_b32_e64 v14, v12, v9, s[16:17]
	s_waitcnt lgkmcnt(0)
	v_cmp_lt_i64_e64 s[20:21], v[7:8], v[5:6]
	v_cndmask_b32_e64 v13, v10, v11, s[16:17]
	v_cmp_ge_i32_e64 s[22:23], v14, v22
	v_cmp_lt_i32_e64 s[18:19], v13, v21
	s_or_b64 s[20:21], s[22:23], s[20:21]
	s_and_b64 s[18:19], s[18:19], s[20:21]
	s_xor_b64 s[20:21], s[18:19], -1
                                        ; implicit-def: $vgpr9_vgpr10
	s_and_saveexec_b64 s[22:23], s[20:21]
	s_xor_b64 s[20:21], exec, s[22:23]
; %bb.47:                               ;   in Loop: Header=BB154_2 Depth=1
	v_lshlrev_b32_e32 v9, 3, v14
	ds_read_b64 v[9:10], v9 offset:8
; %bb.48:                               ;   in Loop: Header=BB154_2 Depth=1
	s_or_saveexec_b64 s[20:21], s[20:21]
	v_mov_b32_e32 v12, v8
	v_mov_b32_e32 v11, v7
	s_xor_b64 exec, exec, s[20:21]
	s_cbranch_execz .LBB154_50
; %bb.49:                               ;   in Loop: Header=BB154_2 Depth=1
	s_waitcnt lgkmcnt(0)
	v_lshlrev_b32_e32 v9, 3, v13
	ds_read_b64 v[11:12], v9 offset:8
	v_mov_b32_e32 v10, v6
	v_mov_b32_e32 v9, v5
.LBB154_50:                             ;   in Loop: Header=BB154_2 Depth=1
	s_or_b64 exec, exec, s[20:21]
	v_cndmask_b32_e64 v6, v6, v8, s[18:19]
	v_cndmask_b32_e64 v5, v5, v7, s[18:19]
	v_add_u32_e32 v7, 1, v13
	v_add_u32_e32 v8, 1, v14
	v_cndmask_b32_e64 v7, v13, v7, s[18:19]
	v_cndmask_b32_e64 v8, v8, v14, s[18:19]
	s_waitcnt lgkmcnt(0)
	v_cmp_lt_i64_e64 s[18:19], v[11:12], v[9:10]
	v_cmp_ge_i32_e64 s[20:21], v8, v22
	v_cndmask_b32_e64 v2, v2, v4, s[16:17]
	v_cndmask_b32_e64 v1, v1, v3, s[16:17]
	v_cmp_lt_i32_e64 s[16:17], v7, v21
	s_or_b64 s[18:19], s[20:21], s[18:19]
	s_and_b64 s[16:17], s[16:17], s[18:19]
	v_cndmask_b32_e64 v4, v10, v12, s[16:17]
	v_cndmask_b32_e64 v3, v9, v11, s[16:17]
	s_barrier
	ds_write2_b64 v83, v[1:2], v[5:6] offset1:1
	ds_write_b64 v83, v[3:4] offset:16
	v_mov_b32_e32 v5, v56
	s_waitcnt lgkmcnt(0)
	s_barrier
	s_and_saveexec_b64 s[18:19], s[6:7]
	s_cbranch_execz .LBB154_54
; %bb.51:                               ;   in Loop: Header=BB154_2 Depth=1
	s_mov_b64 s[20:21], 0
	v_mov_b32_e32 v5, v56
	v_mov_b32_e32 v1, v57
.LBB154_52:                             ;   Parent Loop BB154_2 Depth=1
                                        ; =>  This Inner Loop Header: Depth=2
	v_sub_u32_e32 v2, v1, v5
	v_lshrrev_b32_e32 v2, 1, v2
	v_add_u32_e32 v4, v2, v5
	v_not_b32_e32 v3, v4
	v_lshl_add_u32 v2, v4, 3, v88
	v_lshl_add_u32 v6, v3, 3, v58
	ds_read_b64 v[2:3], v2
	ds_read_b64 v[6:7], v6 offset:384
	v_add_u32_e32 v8, 1, v4
	s_waitcnt lgkmcnt(0)
	v_cmp_lt_i64_e64 s[16:17], v[6:7], v[2:3]
	v_cndmask_b32_e64 v1, v1, v4, s[16:17]
	v_cndmask_b32_e64 v5, v8, v5, s[16:17]
	v_cmp_ge_i32_e64 s[16:17], v5, v1
	s_or_b64 s[20:21], s[16:17], s[20:21]
	s_andn2_b64 exec, exec, s[20:21]
	s_cbranch_execnz .LBB154_52
; %bb.53:                               ;   in Loop: Header=BB154_2 Depth=1
	s_or_b64 exec, exec, s[20:21]
.LBB154_54:                             ;   in Loop: Header=BB154_2 Depth=1
	s_or_b64 exec, exec, s[18:19]
	v_lshl_add_u32 v7, v5, 3, v88
	v_sub_u32_e32 v1, v59, v5
	v_lshlrev_b32_e32 v11, 3, v1
	ds_read_b64 v[1:2], v7
	ds_read_b64 v[3:4], v11 offset:384
	v_add_u32_e32 v9, v5, v55
	v_sub_u32_e32 v10, v60, v5
	v_cmp_le_i32_e64 s[20:21], v24, v9
	v_cmp_gt_i32_e64 s[16:17], v23, v10
	s_waitcnt lgkmcnt(0)
	v_cmp_lt_i64_e64 s[18:19], v[3:4], v[1:2]
                                        ; implicit-def: $vgpr5_vgpr6
	s_or_b64 s[18:19], s[20:21], s[18:19]
	s_and_b64 s[16:17], s[16:17], s[18:19]
	s_xor_b64 s[18:19], s[16:17], -1
	s_and_saveexec_b64 s[20:21], s[18:19]
	s_xor_b64 s[18:19], exec, s[20:21]
; %bb.55:                               ;   in Loop: Header=BB154_2 Depth=1
	ds_read_b64 v[5:6], v7 offset:8
                                        ; implicit-def: $vgpr11
; %bb.56:                               ;   in Loop: Header=BB154_2 Depth=1
	s_or_saveexec_b64 s[18:19], s[18:19]
	v_mov_b32_e32 v8, v4
	v_mov_b32_e32 v7, v3
	s_xor_b64 exec, exec, s[18:19]
	s_cbranch_execz .LBB154_58
; %bb.57:                               ;   in Loop: Header=BB154_2 Depth=1
	ds_read_b64 v[7:8], v11 offset:392
	s_waitcnt lgkmcnt(1)
	v_mov_b32_e32 v6, v2
	v_mov_b32_e32 v5, v1
.LBB154_58:                             ;   in Loop: Header=BB154_2 Depth=1
	s_or_b64 exec, exec, s[18:19]
	v_add_u32_e32 v12, 1, v9
	v_add_u32_e32 v11, 1, v10
	v_cndmask_b32_e64 v14, v12, v9, s[16:17]
	s_waitcnt lgkmcnt(0)
	v_cmp_lt_i64_e64 s[20:21], v[7:8], v[5:6]
	v_cndmask_b32_e64 v13, v10, v11, s[16:17]
	v_cmp_ge_i32_e64 s[22:23], v14, v24
	v_cmp_lt_i32_e64 s[18:19], v13, v23
	s_or_b64 s[20:21], s[22:23], s[20:21]
	s_and_b64 s[18:19], s[18:19], s[20:21]
	s_xor_b64 s[20:21], s[18:19], -1
                                        ; implicit-def: $vgpr9_vgpr10
	s_and_saveexec_b64 s[22:23], s[20:21]
	s_xor_b64 s[20:21], exec, s[22:23]
; %bb.59:                               ;   in Loop: Header=BB154_2 Depth=1
	v_lshlrev_b32_e32 v9, 3, v14
	ds_read_b64 v[9:10], v9 offset:8
; %bb.60:                               ;   in Loop: Header=BB154_2 Depth=1
	s_or_saveexec_b64 s[20:21], s[20:21]
	v_mov_b32_e32 v12, v8
	v_mov_b32_e32 v11, v7
	s_xor_b64 exec, exec, s[20:21]
	s_cbranch_execz .LBB154_62
; %bb.61:                               ;   in Loop: Header=BB154_2 Depth=1
	s_waitcnt lgkmcnt(0)
	v_lshlrev_b32_e32 v9, 3, v13
	ds_read_b64 v[11:12], v9 offset:8
	v_mov_b32_e32 v10, v6
	v_mov_b32_e32 v9, v5
.LBB154_62:                             ;   in Loop: Header=BB154_2 Depth=1
	s_or_b64 exec, exec, s[20:21]
	v_cndmask_b32_e64 v6, v6, v8, s[18:19]
	v_cndmask_b32_e64 v5, v5, v7, s[18:19]
	v_add_u32_e32 v7, 1, v13
	v_add_u32_e32 v8, 1, v14
	v_cndmask_b32_e64 v7, v13, v7, s[18:19]
	v_cndmask_b32_e64 v8, v8, v14, s[18:19]
	s_waitcnt lgkmcnt(0)
	v_cmp_lt_i64_e64 s[18:19], v[11:12], v[9:10]
	v_cmp_ge_i32_e64 s[20:21], v8, v24
	v_cndmask_b32_e64 v2, v2, v4, s[16:17]
	v_cndmask_b32_e64 v1, v1, v3, s[16:17]
	v_cmp_lt_i32_e64 s[16:17], v7, v23
	s_or_b64 s[18:19], s[20:21], s[18:19]
	s_and_b64 s[16:17], s[16:17], s[18:19]
	v_cndmask_b32_e64 v4, v10, v12, s[16:17]
	v_cndmask_b32_e64 v3, v9, v11, s[16:17]
	s_barrier
	ds_write2_b64 v83, v[1:2], v[5:6] offset1:1
	ds_write_b64 v83, v[3:4] offset:16
	v_mov_b32_e32 v5, v62
	s_waitcnt lgkmcnt(0)
	s_barrier
	s_and_saveexec_b64 s[18:19], s[8:9]
	s_cbranch_execz .LBB154_66
; %bb.63:                               ;   in Loop: Header=BB154_2 Depth=1
	s_mov_b64 s[20:21], 0
	v_mov_b32_e32 v5, v62
	v_mov_b32_e32 v1, v63
.LBB154_64:                             ;   Parent Loop BB154_2 Depth=1
                                        ; =>  This Inner Loop Header: Depth=2
	v_sub_u32_e32 v2, v1, v5
	v_lshrrev_b32_e32 v2, 1, v2
	v_add_u32_e32 v4, v2, v5
	v_not_b32_e32 v3, v4
	v_lshl_add_u32 v2, v4, 3, v89
	v_lshl_add_u32 v6, v3, 3, v64
	ds_read_b64 v[2:3], v2
	ds_read_b64 v[6:7], v6 offset:768
	v_add_u32_e32 v8, 1, v4
	s_waitcnt lgkmcnt(0)
	v_cmp_lt_i64_e64 s[16:17], v[6:7], v[2:3]
	v_cndmask_b32_e64 v1, v1, v4, s[16:17]
	v_cndmask_b32_e64 v5, v8, v5, s[16:17]
	v_cmp_ge_i32_e64 s[16:17], v5, v1
	s_or_b64 s[20:21], s[16:17], s[20:21]
	s_andn2_b64 exec, exec, s[20:21]
	s_cbranch_execnz .LBB154_64
; %bb.65:                               ;   in Loop: Header=BB154_2 Depth=1
	s_or_b64 exec, exec, s[20:21]
.LBB154_66:                             ;   in Loop: Header=BB154_2 Depth=1
	s_or_b64 exec, exec, s[18:19]
	v_lshl_add_u32 v7, v5, 3, v89
	v_sub_u32_e32 v1, v65, v5
	v_lshlrev_b32_e32 v11, 3, v1
	ds_read_b64 v[1:2], v7
	ds_read_b64 v[3:4], v11 offset:768
	v_add_u32_e32 v9, v5, v61
	v_sub_u32_e32 v10, v66, v5
	v_cmp_le_i32_e64 s[20:21], v26, v9
	v_cmp_gt_i32_e64 s[16:17], v25, v10
	s_waitcnt lgkmcnt(0)
	v_cmp_lt_i64_e64 s[18:19], v[3:4], v[1:2]
                                        ; implicit-def: $vgpr5_vgpr6
	s_or_b64 s[18:19], s[20:21], s[18:19]
	s_and_b64 s[16:17], s[16:17], s[18:19]
	s_xor_b64 s[18:19], s[16:17], -1
	s_and_saveexec_b64 s[20:21], s[18:19]
	s_xor_b64 s[18:19], exec, s[20:21]
; %bb.67:                               ;   in Loop: Header=BB154_2 Depth=1
	ds_read_b64 v[5:6], v7 offset:8
                                        ; implicit-def: $vgpr11
; %bb.68:                               ;   in Loop: Header=BB154_2 Depth=1
	s_or_saveexec_b64 s[18:19], s[18:19]
	v_mov_b32_e32 v8, v4
	v_mov_b32_e32 v7, v3
	s_xor_b64 exec, exec, s[18:19]
	s_cbranch_execz .LBB154_70
; %bb.69:                               ;   in Loop: Header=BB154_2 Depth=1
	ds_read_b64 v[7:8], v11 offset:776
	s_waitcnt lgkmcnt(1)
	v_mov_b32_e32 v6, v2
	v_mov_b32_e32 v5, v1
.LBB154_70:                             ;   in Loop: Header=BB154_2 Depth=1
	s_or_b64 exec, exec, s[18:19]
	v_add_u32_e32 v12, 1, v9
	v_add_u32_e32 v11, 1, v10
	v_cndmask_b32_e64 v14, v12, v9, s[16:17]
	s_waitcnt lgkmcnt(0)
	v_cmp_lt_i64_e64 s[20:21], v[7:8], v[5:6]
	v_cndmask_b32_e64 v13, v10, v11, s[16:17]
	v_cmp_ge_i32_e64 s[22:23], v14, v26
	v_cmp_lt_i32_e64 s[18:19], v13, v25
	s_or_b64 s[20:21], s[22:23], s[20:21]
	s_and_b64 s[18:19], s[18:19], s[20:21]
	s_xor_b64 s[20:21], s[18:19], -1
                                        ; implicit-def: $vgpr9_vgpr10
	s_and_saveexec_b64 s[22:23], s[20:21]
	s_xor_b64 s[20:21], exec, s[22:23]
; %bb.71:                               ;   in Loop: Header=BB154_2 Depth=1
	v_lshlrev_b32_e32 v9, 3, v14
	ds_read_b64 v[9:10], v9 offset:8
; %bb.72:                               ;   in Loop: Header=BB154_2 Depth=1
	s_or_saveexec_b64 s[20:21], s[20:21]
	v_mov_b32_e32 v12, v8
	v_mov_b32_e32 v11, v7
	s_xor_b64 exec, exec, s[20:21]
	s_cbranch_execz .LBB154_74
; %bb.73:                               ;   in Loop: Header=BB154_2 Depth=1
	s_waitcnt lgkmcnt(0)
	v_lshlrev_b32_e32 v9, 3, v13
	ds_read_b64 v[11:12], v9 offset:8
	v_mov_b32_e32 v10, v6
	v_mov_b32_e32 v9, v5
.LBB154_74:                             ;   in Loop: Header=BB154_2 Depth=1
	s_or_b64 exec, exec, s[20:21]
	v_cndmask_b32_e64 v6, v6, v8, s[18:19]
	v_cndmask_b32_e64 v5, v5, v7, s[18:19]
	v_add_u32_e32 v7, 1, v13
	v_add_u32_e32 v8, 1, v14
	v_cndmask_b32_e64 v7, v13, v7, s[18:19]
	v_cndmask_b32_e64 v8, v8, v14, s[18:19]
	s_waitcnt lgkmcnt(0)
	v_cmp_lt_i64_e64 s[18:19], v[11:12], v[9:10]
	v_cmp_ge_i32_e64 s[20:21], v8, v26
	v_cndmask_b32_e64 v2, v2, v4, s[16:17]
	v_cndmask_b32_e64 v1, v1, v3, s[16:17]
	v_cmp_lt_i32_e64 s[16:17], v7, v25
	s_or_b64 s[18:19], s[20:21], s[18:19]
	s_and_b64 s[16:17], s[16:17], s[18:19]
	v_cndmask_b32_e64 v4, v10, v12, s[16:17]
	v_cndmask_b32_e64 v3, v9, v11, s[16:17]
	s_barrier
	ds_write2_b64 v83, v[1:2], v[5:6] offset1:1
	ds_write_b64 v83, v[3:4] offset:16
	v_mov_b32_e32 v5, v68
	s_waitcnt lgkmcnt(0)
	s_barrier
	s_and_saveexec_b64 s[18:19], s[10:11]
	s_cbranch_execz .LBB154_78
; %bb.75:                               ;   in Loop: Header=BB154_2 Depth=1
	s_mov_b64 s[20:21], 0
	v_mov_b32_e32 v5, v68
	v_mov_b32_e32 v1, v69
.LBB154_76:                             ;   Parent Loop BB154_2 Depth=1
                                        ; =>  This Inner Loop Header: Depth=2
	v_sub_u32_e32 v2, v1, v5
	v_lshrrev_b32_e32 v2, 1, v2
	v_add_u32_e32 v4, v2, v5
	v_not_b32_e32 v3, v4
	v_lshl_add_u32 v2, v4, 3, v90
	v_lshl_add_u32 v6, v3, 3, v70
	ds_read_b64 v[2:3], v2
	ds_read_b64 v[6:7], v6 offset:1536
	v_add_u32_e32 v8, 1, v4
	s_waitcnt lgkmcnt(0)
	v_cmp_lt_i64_e64 s[16:17], v[6:7], v[2:3]
	v_cndmask_b32_e64 v1, v1, v4, s[16:17]
	v_cndmask_b32_e64 v5, v8, v5, s[16:17]
	v_cmp_ge_i32_e64 s[16:17], v5, v1
	s_or_b64 s[20:21], s[16:17], s[20:21]
	s_andn2_b64 exec, exec, s[20:21]
	s_cbranch_execnz .LBB154_76
; %bb.77:                               ;   in Loop: Header=BB154_2 Depth=1
	s_or_b64 exec, exec, s[20:21]
.LBB154_78:                             ;   in Loop: Header=BB154_2 Depth=1
	s_or_b64 exec, exec, s[18:19]
	v_lshl_add_u32 v7, v5, 3, v90
	v_sub_u32_e32 v1, v71, v5
	v_lshlrev_b32_e32 v11, 3, v1
	ds_read_b64 v[1:2], v7
	ds_read_b64 v[3:4], v11 offset:1536
	v_add_u32_e32 v9, v5, v67
	v_sub_u32_e32 v10, v72, v5
	v_cmp_le_i32_e64 s[20:21], v28, v9
	v_cmp_gt_i32_e64 s[16:17], v27, v10
	s_waitcnt lgkmcnt(0)
	v_cmp_lt_i64_e64 s[18:19], v[3:4], v[1:2]
                                        ; implicit-def: $vgpr5_vgpr6
	s_or_b64 s[18:19], s[20:21], s[18:19]
	s_and_b64 s[16:17], s[16:17], s[18:19]
	s_xor_b64 s[18:19], s[16:17], -1
	s_and_saveexec_b64 s[20:21], s[18:19]
	s_xor_b64 s[18:19], exec, s[20:21]
; %bb.79:                               ;   in Loop: Header=BB154_2 Depth=1
	ds_read_b64 v[5:6], v7 offset:8
                                        ; implicit-def: $vgpr11
; %bb.80:                               ;   in Loop: Header=BB154_2 Depth=1
	s_or_saveexec_b64 s[18:19], s[18:19]
	v_mov_b32_e32 v8, v4
	v_mov_b32_e32 v7, v3
	s_xor_b64 exec, exec, s[18:19]
	s_cbranch_execz .LBB154_82
; %bb.81:                               ;   in Loop: Header=BB154_2 Depth=1
	ds_read_b64 v[7:8], v11 offset:1544
	s_waitcnt lgkmcnt(1)
	v_mov_b32_e32 v6, v2
	v_mov_b32_e32 v5, v1
.LBB154_82:                             ;   in Loop: Header=BB154_2 Depth=1
	s_or_b64 exec, exec, s[18:19]
	v_add_u32_e32 v12, 1, v9
	v_add_u32_e32 v11, 1, v10
	v_cndmask_b32_e64 v14, v12, v9, s[16:17]
	s_waitcnt lgkmcnt(0)
	v_cmp_lt_i64_e64 s[20:21], v[7:8], v[5:6]
	v_cndmask_b32_e64 v13, v10, v11, s[16:17]
	v_cmp_ge_i32_e64 s[22:23], v14, v28
	v_cmp_lt_i32_e64 s[18:19], v13, v27
	s_or_b64 s[20:21], s[22:23], s[20:21]
	s_and_b64 s[18:19], s[18:19], s[20:21]
	s_xor_b64 s[20:21], s[18:19], -1
                                        ; implicit-def: $vgpr9_vgpr10
	s_and_saveexec_b64 s[22:23], s[20:21]
	s_xor_b64 s[20:21], exec, s[22:23]
; %bb.83:                               ;   in Loop: Header=BB154_2 Depth=1
	v_lshlrev_b32_e32 v9, 3, v14
	ds_read_b64 v[9:10], v9 offset:8
; %bb.84:                               ;   in Loop: Header=BB154_2 Depth=1
	s_or_saveexec_b64 s[20:21], s[20:21]
	v_mov_b32_e32 v12, v8
	v_mov_b32_e32 v11, v7
	s_xor_b64 exec, exec, s[20:21]
	s_cbranch_execz .LBB154_86
; %bb.85:                               ;   in Loop: Header=BB154_2 Depth=1
	s_waitcnt lgkmcnt(0)
	v_lshlrev_b32_e32 v9, 3, v13
	ds_read_b64 v[11:12], v9 offset:8
	v_mov_b32_e32 v10, v6
	v_mov_b32_e32 v9, v5
.LBB154_86:                             ;   in Loop: Header=BB154_2 Depth=1
	s_or_b64 exec, exec, s[20:21]
	v_cndmask_b32_e64 v6, v6, v8, s[18:19]
	v_cndmask_b32_e64 v5, v5, v7, s[18:19]
	v_add_u32_e32 v7, 1, v13
	v_add_u32_e32 v8, 1, v14
	v_cndmask_b32_e64 v7, v13, v7, s[18:19]
	v_cndmask_b32_e64 v8, v8, v14, s[18:19]
	s_waitcnt lgkmcnt(0)
	v_cmp_lt_i64_e64 s[18:19], v[11:12], v[9:10]
	v_cmp_ge_i32_e64 s[20:21], v8, v28
	v_cndmask_b32_e64 v2, v2, v4, s[16:17]
	v_cndmask_b32_e64 v1, v1, v3, s[16:17]
	v_cmp_lt_i32_e64 s[16:17], v7, v27
	s_or_b64 s[18:19], s[20:21], s[18:19]
	s_and_b64 s[16:17], s[16:17], s[18:19]
	v_cndmask_b32_e64 v4, v10, v12, s[16:17]
	v_cndmask_b32_e64 v3, v9, v11, s[16:17]
	s_barrier
	ds_write2_b64 v83, v[1:2], v[5:6] offset1:1
	ds_write_b64 v83, v[3:4] offset:16
	v_mov_b32_e32 v5, v74
	s_waitcnt lgkmcnt(0)
	s_barrier
	s_and_saveexec_b64 s[18:19], s[12:13]
	s_cbranch_execz .LBB154_90
; %bb.87:                               ;   in Loop: Header=BB154_2 Depth=1
	s_mov_b64 s[20:21], 0
	v_mov_b32_e32 v5, v74
	v_mov_b32_e32 v1, v75
.LBB154_88:                             ;   Parent Loop BB154_2 Depth=1
                                        ; =>  This Inner Loop Header: Depth=2
	v_sub_u32_e32 v2, v1, v5
	v_lshrrev_b32_e32 v2, 1, v2
	v_add_u32_e32 v4, v2, v5
	v_not_b32_e32 v3, v4
	v_lshl_add_u32 v2, v4, 3, v91
	v_lshl_add_u32 v6, v3, 3, v76
	ds_read_b64 v[2:3], v2
	ds_read_b64 v[6:7], v6 offset:3072
	v_add_u32_e32 v8, 1, v4
	s_waitcnt lgkmcnt(0)
	v_cmp_lt_i64_e64 s[16:17], v[6:7], v[2:3]
	v_cndmask_b32_e64 v1, v1, v4, s[16:17]
	v_cndmask_b32_e64 v5, v8, v5, s[16:17]
	v_cmp_ge_i32_e64 s[16:17], v5, v1
	s_or_b64 s[20:21], s[16:17], s[20:21]
	s_andn2_b64 exec, exec, s[20:21]
	s_cbranch_execnz .LBB154_88
; %bb.89:                               ;   in Loop: Header=BB154_2 Depth=1
	s_or_b64 exec, exec, s[20:21]
.LBB154_90:                             ;   in Loop: Header=BB154_2 Depth=1
	s_or_b64 exec, exec, s[18:19]
	v_lshl_add_u32 v7, v5, 3, v91
	v_sub_u32_e32 v1, v77, v5
	v_lshlrev_b32_e32 v11, 3, v1
	ds_read_b64 v[1:2], v7
	ds_read_b64 v[3:4], v11 offset:3072
	v_add_u32_e32 v9, v5, v73
	v_sub_u32_e32 v10, v78, v5
	v_cmp_le_i32_e64 s[20:21], v30, v9
	v_cmp_gt_i32_e64 s[16:17], v29, v10
	s_waitcnt lgkmcnt(0)
	v_cmp_lt_i64_e64 s[18:19], v[3:4], v[1:2]
                                        ; implicit-def: $vgpr5_vgpr6
	s_or_b64 s[18:19], s[20:21], s[18:19]
	s_and_b64 s[16:17], s[16:17], s[18:19]
	s_xor_b64 s[18:19], s[16:17], -1
	s_and_saveexec_b64 s[20:21], s[18:19]
	s_xor_b64 s[18:19], exec, s[20:21]
; %bb.91:                               ;   in Loop: Header=BB154_2 Depth=1
	ds_read_b64 v[5:6], v7 offset:8
                                        ; implicit-def: $vgpr11
; %bb.92:                               ;   in Loop: Header=BB154_2 Depth=1
	s_or_saveexec_b64 s[18:19], s[18:19]
	v_mov_b32_e32 v8, v4
	v_mov_b32_e32 v7, v3
	s_xor_b64 exec, exec, s[18:19]
	s_cbranch_execz .LBB154_94
; %bb.93:                               ;   in Loop: Header=BB154_2 Depth=1
	ds_read_b64 v[7:8], v11 offset:3080
	s_waitcnt lgkmcnt(1)
	v_mov_b32_e32 v6, v2
	v_mov_b32_e32 v5, v1
.LBB154_94:                             ;   in Loop: Header=BB154_2 Depth=1
	s_or_b64 exec, exec, s[18:19]
	v_add_u32_e32 v12, 1, v9
	v_add_u32_e32 v11, 1, v10
	v_cndmask_b32_e64 v14, v12, v9, s[16:17]
	s_waitcnt lgkmcnt(0)
	v_cmp_lt_i64_e64 s[20:21], v[7:8], v[5:6]
	v_cndmask_b32_e64 v13, v10, v11, s[16:17]
	v_cmp_ge_i32_e64 s[22:23], v14, v30
	v_cmp_lt_i32_e64 s[18:19], v13, v29
	s_or_b64 s[20:21], s[22:23], s[20:21]
	s_and_b64 s[18:19], s[18:19], s[20:21]
	s_xor_b64 s[20:21], s[18:19], -1
                                        ; implicit-def: $vgpr9_vgpr10
	s_and_saveexec_b64 s[22:23], s[20:21]
	s_xor_b64 s[20:21], exec, s[22:23]
; %bb.95:                               ;   in Loop: Header=BB154_2 Depth=1
	v_lshlrev_b32_e32 v9, 3, v14
	ds_read_b64 v[9:10], v9 offset:8
; %bb.96:                               ;   in Loop: Header=BB154_2 Depth=1
	s_or_saveexec_b64 s[20:21], s[20:21]
	v_mov_b32_e32 v12, v8
	v_mov_b32_e32 v11, v7
	s_xor_b64 exec, exec, s[20:21]
	s_cbranch_execz .LBB154_98
; %bb.97:                               ;   in Loop: Header=BB154_2 Depth=1
	s_waitcnt lgkmcnt(0)
	v_lshlrev_b32_e32 v9, 3, v13
	ds_read_b64 v[11:12], v9 offset:8
	v_mov_b32_e32 v10, v6
	v_mov_b32_e32 v9, v5
.LBB154_98:                             ;   in Loop: Header=BB154_2 Depth=1
	s_or_b64 exec, exec, s[20:21]
	v_cndmask_b32_e64 v6, v6, v8, s[18:19]
	v_cndmask_b32_e64 v5, v5, v7, s[18:19]
	v_add_u32_e32 v7, 1, v13
	v_add_u32_e32 v8, 1, v14
	v_cndmask_b32_e64 v7, v13, v7, s[18:19]
	v_cndmask_b32_e64 v8, v8, v14, s[18:19]
	s_waitcnt lgkmcnt(0)
	v_cmp_lt_i64_e64 s[18:19], v[11:12], v[9:10]
	v_cmp_ge_i32_e64 s[20:21], v8, v30
	v_cndmask_b32_e64 v2, v2, v4, s[16:17]
	v_cndmask_b32_e64 v1, v1, v3, s[16:17]
	v_cmp_lt_i32_e64 s[16:17], v7, v29
	s_or_b64 s[18:19], s[20:21], s[18:19]
	s_and_b64 s[16:17], s[16:17], s[18:19]
	v_cndmask_b32_e64 v4, v10, v12, s[16:17]
	v_cndmask_b32_e64 v3, v9, v11, s[16:17]
	s_barrier
	ds_write2_b64 v83, v[1:2], v[5:6] offset1:1
	ds_write_b64 v83, v[3:4] offset:16
	v_mov_b32_e32 v5, v81
	s_waitcnt lgkmcnt(0)
	s_barrier
	s_and_saveexec_b64 s[18:19], s[14:15]
	s_cbranch_execz .LBB154_102
; %bb.99:                               ;   in Loop: Header=BB154_2 Depth=1
	s_mov_b64 s[20:21], 0
	v_mov_b32_e32 v5, v81
	v_mov_b32_e32 v1, v82
.LBB154_100:                            ;   Parent Loop BB154_2 Depth=1
                                        ; =>  This Inner Loop Header: Depth=2
	v_sub_u32_e32 v2, v1, v5
	v_lshrrev_b32_e32 v2, 1, v2
	v_add_u32_e32 v4, v2, v5
	v_not_b32_e32 v3, v4
	v_lshlrev_b32_e32 v2, 3, v4
	v_lshl_add_u32 v6, v3, 3, v93
	ds_read_b64 v[2:3], v2
	ds_read_b64 v[6:7], v6 offset:6144
	v_add_u32_e32 v8, 1, v4
	s_waitcnt lgkmcnt(0)
	v_cmp_lt_i64_e64 s[16:17], v[6:7], v[2:3]
	v_cndmask_b32_e64 v1, v1, v4, s[16:17]
	v_cndmask_b32_e64 v5, v8, v5, s[16:17]
	v_cmp_ge_i32_e64 s[16:17], v5, v1
	s_or_b64 s[20:21], s[16:17], s[20:21]
	s_andn2_b64 exec, exec, s[20:21]
	s_cbranch_execnz .LBB154_100
; %bb.101:                              ;   in Loop: Header=BB154_2 Depth=1
	s_or_b64 exec, exec, s[20:21]
.LBB154_102:                            ;   in Loop: Header=BB154_2 Depth=1
	s_or_b64 exec, exec, s[18:19]
	v_lshlrev_b32_e32 v9, 3, v5
	v_sub_u32_e32 v1, v80, v5
	v_lshlrev_b32_e32 v11, 3, v1
	ds_read_b64 v[1:2], v9
	ds_read_b64 v[3:4], v11 offset:6144
	v_sub_u32_e32 v6, v92, v5
	v_cmp_le_i32_e64 s[20:21], v79, v5
	v_cmp_gt_i32_e64 s[16:17], s24, v6
                                        ; implicit-def: $vgpr7_vgpr8
	s_waitcnt lgkmcnt(0)
	v_cmp_lt_i64_e64 s[18:19], v[3:4], v[1:2]
	s_or_b64 s[18:19], s[20:21], s[18:19]
	s_and_b64 s[16:17], s[16:17], s[18:19]
	s_xor_b64 s[18:19], s[16:17], -1
	s_and_saveexec_b64 s[20:21], s[18:19]
	s_xor_b64 s[18:19], exec, s[20:21]
; %bb.103:                              ;   in Loop: Header=BB154_2 Depth=1
	ds_read_b64 v[7:8], v9 offset:8
                                        ; implicit-def: $vgpr11
; %bb.104:                              ;   in Loop: Header=BB154_2 Depth=1
	s_or_saveexec_b64 s[18:19], s[18:19]
	v_mov_b32_e32 v10, v4
	v_mov_b32_e32 v9, v3
	s_xor_b64 exec, exec, s[18:19]
	s_cbranch_execz .LBB154_106
; %bb.105:                              ;   in Loop: Header=BB154_2 Depth=1
	ds_read_b64 v[9:10], v11 offset:6152
	s_waitcnt lgkmcnt(1)
	v_mov_b32_e32 v8, v2
	v_mov_b32_e32 v7, v1
.LBB154_106:                            ;   in Loop: Header=BB154_2 Depth=1
	s_or_b64 exec, exec, s[18:19]
	v_add_u32_e32 v12, 1, v5
	v_add_u32_e32 v11, 1, v6
	v_cndmask_b32_e64 v5, v12, v5, s[16:17]
	s_waitcnt lgkmcnt(0)
	v_cmp_lt_i64_e64 s[20:21], v[9:10], v[7:8]
	v_cndmask_b32_e64 v94, v6, v11, s[16:17]
	v_cmp_ge_i32_e64 s[22:23], v5, v79
	v_cmp_gt_i32_e64 s[18:19], s24, v94
	s_or_b64 s[20:21], s[22:23], s[20:21]
	s_and_b64 s[18:19], s[18:19], s[20:21]
	s_xor_b64 s[20:21], s[18:19], -1
                                        ; implicit-def: $vgpr11_vgpr12
                                        ; implicit-def: $vgpr95
	s_and_saveexec_b64 s[22:23], s[20:21]
	s_xor_b64 s[20:21], exec, s[22:23]
; %bb.107:                              ;   in Loop: Header=BB154_2 Depth=1
	v_lshlrev_b32_e32 v6, 3, v5
	ds_read_b64 v[11:12], v6 offset:8
	v_add_u32_e32 v95, 1, v5
                                        ; implicit-def: $vgpr5
; %bb.108:                              ;   in Loop: Header=BB154_2 Depth=1
	s_or_saveexec_b64 s[20:21], s[20:21]
	v_mov_b32_e32 v14, v10
	v_mov_b32_e32 v13, v9
	s_xor_b64 exec, exec, s[20:21]
	s_cbranch_execz .LBB154_1
; %bb.109:                              ;   in Loop: Header=BB154_2 Depth=1
	v_lshlrev_b32_e32 v6, 3, v94
	ds_read_b64 v[13:14], v6 offset:8
	s_waitcnt lgkmcnt(1)
	v_mov_b32_e32 v12, v8
	v_add_u32_e32 v94, 1, v94
	v_mov_b32_e32 v95, v5
	v_mov_b32_e32 v11, v7
	s_branch .LBB154_1
.LBB154_110:
	s_add_u32 s0, s26, s30
	s_addc_u32 s1, s27, s31
	v_lshlrev_b32_e32 v0, 3, v0
	v_mov_b32_e32 v7, s1
	v_add_co_u32_e32 v8, vcc, s0, v0
	v_addc_co_u32_e32 v7, vcc, 0, v7, vcc
	global_store_dwordx2 v0, v[5:6], s[0:1]
	v_add_co_u32_e32 v5, vcc, 0x1000, v8
	v_addc_co_u32_e32 v6, vcc, 0, v7, vcc
	global_store_dwordx2 v[5:6], v[3:4], off
	v_add_co_u32_e32 v3, vcc, 0x2000, v8
	v_addc_co_u32_e32 v4, vcc, 0, v7, vcc
	global_store_dwordx2 v[3:4], v[1:2], off
	s_endpgm
	.section	.rodata,"a",@progbits
	.p2align	6, 0x0
	.amdhsa_kernel _Z16sort_keys_kernelIxLj512ELj3EN10test_utils4lessELj10EEvPKT_PS2_T2_
		.amdhsa_group_segment_fixed_size 12296
		.amdhsa_private_segment_fixed_size 0
		.amdhsa_kernarg_size 20
		.amdhsa_user_sgpr_count 6
		.amdhsa_user_sgpr_private_segment_buffer 1
		.amdhsa_user_sgpr_dispatch_ptr 0
		.amdhsa_user_sgpr_queue_ptr 0
		.amdhsa_user_sgpr_kernarg_segment_ptr 1
		.amdhsa_user_sgpr_dispatch_id 0
		.amdhsa_user_sgpr_flat_scratch_init 0
		.amdhsa_user_sgpr_private_segment_size 0
		.amdhsa_uses_dynamic_stack 0
		.amdhsa_system_sgpr_private_segment_wavefront_offset 0
		.amdhsa_system_sgpr_workgroup_id_x 1
		.amdhsa_system_sgpr_workgroup_id_y 0
		.amdhsa_system_sgpr_workgroup_id_z 0
		.amdhsa_system_sgpr_workgroup_info 0
		.amdhsa_system_vgpr_workitem_id 0
		.amdhsa_next_free_vgpr 96
		.amdhsa_next_free_sgpr 32
		.amdhsa_reserve_vcc 1
		.amdhsa_reserve_flat_scratch 0
		.amdhsa_float_round_mode_32 0
		.amdhsa_float_round_mode_16_64 0
		.amdhsa_float_denorm_mode_32 3
		.amdhsa_float_denorm_mode_16_64 3
		.amdhsa_dx10_clamp 1
		.amdhsa_ieee_mode 1
		.amdhsa_fp16_overflow 0
		.amdhsa_exception_fp_ieee_invalid_op 0
		.amdhsa_exception_fp_denorm_src 0
		.amdhsa_exception_fp_ieee_div_zero 0
		.amdhsa_exception_fp_ieee_overflow 0
		.amdhsa_exception_fp_ieee_underflow 0
		.amdhsa_exception_fp_ieee_inexact 0
		.amdhsa_exception_int_div_zero 0
	.end_amdhsa_kernel
	.section	.text._Z16sort_keys_kernelIxLj512ELj3EN10test_utils4lessELj10EEvPKT_PS2_T2_,"axG",@progbits,_Z16sort_keys_kernelIxLj512ELj3EN10test_utils4lessELj10EEvPKT_PS2_T2_,comdat
.Lfunc_end154:
	.size	_Z16sort_keys_kernelIxLj512ELj3EN10test_utils4lessELj10EEvPKT_PS2_T2_, .Lfunc_end154-_Z16sort_keys_kernelIxLj512ELj3EN10test_utils4lessELj10EEvPKT_PS2_T2_
                                        ; -- End function
	.set _Z16sort_keys_kernelIxLj512ELj3EN10test_utils4lessELj10EEvPKT_PS2_T2_.num_vgpr, 96
	.set _Z16sort_keys_kernelIxLj512ELj3EN10test_utils4lessELj10EEvPKT_PS2_T2_.num_agpr, 0
	.set _Z16sort_keys_kernelIxLj512ELj3EN10test_utils4lessELj10EEvPKT_PS2_T2_.numbered_sgpr, 32
	.set _Z16sort_keys_kernelIxLj512ELj3EN10test_utils4lessELj10EEvPKT_PS2_T2_.num_named_barrier, 0
	.set _Z16sort_keys_kernelIxLj512ELj3EN10test_utils4lessELj10EEvPKT_PS2_T2_.private_seg_size, 0
	.set _Z16sort_keys_kernelIxLj512ELj3EN10test_utils4lessELj10EEvPKT_PS2_T2_.uses_vcc, 1
	.set _Z16sort_keys_kernelIxLj512ELj3EN10test_utils4lessELj10EEvPKT_PS2_T2_.uses_flat_scratch, 0
	.set _Z16sort_keys_kernelIxLj512ELj3EN10test_utils4lessELj10EEvPKT_PS2_T2_.has_dyn_sized_stack, 0
	.set _Z16sort_keys_kernelIxLj512ELj3EN10test_utils4lessELj10EEvPKT_PS2_T2_.has_recursion, 0
	.set _Z16sort_keys_kernelIxLj512ELj3EN10test_utils4lessELj10EEvPKT_PS2_T2_.has_indirect_call, 0
	.section	.AMDGPU.csdata,"",@progbits
; Kernel info:
; codeLenInByte = 6264
; TotalNumSgprs: 36
; NumVgprs: 96
; ScratchSize: 0
; MemoryBound: 0
; FloatMode: 240
; IeeeMode: 1
; LDSByteSize: 12296 bytes/workgroup (compile time only)
; SGPRBlocks: 4
; VGPRBlocks: 23
; NumSGPRsForWavesPerEU: 36
; NumVGPRsForWavesPerEU: 96
; Occupancy: 2
; WaveLimiterHint : 1
; COMPUTE_PGM_RSRC2:SCRATCH_EN: 0
; COMPUTE_PGM_RSRC2:USER_SGPR: 6
; COMPUTE_PGM_RSRC2:TRAP_HANDLER: 0
; COMPUTE_PGM_RSRC2:TGID_X_EN: 1
; COMPUTE_PGM_RSRC2:TGID_Y_EN: 0
; COMPUTE_PGM_RSRC2:TGID_Z_EN: 0
; COMPUTE_PGM_RSRC2:TIDIG_COMP_CNT: 0
	.section	.text._Z17sort_pairs_kernelIxLj512ELj3EN10test_utils4lessELj10EEvPKT_PS2_T2_,"axG",@progbits,_Z17sort_pairs_kernelIxLj512ELj3EN10test_utils4lessELj10EEvPKT_PS2_T2_,comdat
	.protected	_Z17sort_pairs_kernelIxLj512ELj3EN10test_utils4lessELj10EEvPKT_PS2_T2_ ; -- Begin function _Z17sort_pairs_kernelIxLj512ELj3EN10test_utils4lessELj10EEvPKT_PS2_T2_
	.globl	_Z17sort_pairs_kernelIxLj512ELj3EN10test_utils4lessELj10EEvPKT_PS2_T2_
	.p2align	8
	.type	_Z17sort_pairs_kernelIxLj512ELj3EN10test_utils4lessELj10EEvPKT_PS2_T2_,@function
_Z17sort_pairs_kernelIxLj512ELj3EN10test_utils4lessELj10EEvPKT_PS2_T2_: ; @_Z17sort_pairs_kernelIxLj512ELj3EN10test_utils4lessELj10EEvPKT_PS2_T2_
; %bb.0:
	s_load_dwordx4 s[28:31], s[4:5], 0x0
	s_mul_i32 s36, s6, 0x600
	s_mov_b32 s37, 0
	s_lshl_b64 s[34:35], s[36:37], 3
	v_lshlrev_b32_e32 v3, 3, v0
	s_waitcnt lgkmcnt(0)
	s_add_u32 s0, s28, s34
	s_addc_u32 s1, s29, s35
	v_mov_b32_e32 v1, s1
	v_add_co_u32_e32 v2, vcc, s0, v3
	v_addc_co_u32_e32 v4, vcc, 0, v1, vcc
	s_movk_i32 s2, 0x2000
	v_add_co_u32_e32 v1, vcc, s2, v2
	global_load_dwordx2 v[7:8], v3, s[0:1]
	v_addc_co_u32_e32 v2, vcc, 0, v4, vcc
	global_load_dwordx2 v[9:10], v[1:2], off offset:-4096
	global_load_dwordx2 v[11:12], v[1:2], off
	v_and_b32_e32 v4, 0x1fe, v0
	v_mul_u32_u24_e32 v15, 3, v4
	v_min_u32_e32 v3, 0x5fa, v15
	v_add_u32_e32 v20, 6, v3
	v_and_b32_e32 v3, 0x1fc, v0
	v_mul_u32_u24_e32 v18, 3, v3
	v_min_u32_e32 v1, 0x5f4, v18
	v_add_u32_e32 v22, 12, v1
	;; [unrolled: 4-line block ×5, first 2 shown]
	v_and_b32_e32 v1, 0x1c0, v0
	v_mul_u32_u24_e32 v65, 3, v1
	v_min_u32_e32 v1, 0x540, v65
	v_and_b32_e32 v4, 1, v0
	v_add_u32_e32 v29, 0xc0, v1
	v_and_b32_e32 v1, 0x180, v0
	v_cmp_eq_u32_e32 vcc, 1, v4
	v_mul_u32_u24_e32 v71, 3, v1
	v_cndmask_b32_e64 v13, 0, 3, vcc
	v_min_u32_e32 v1, 0x480, v71
	v_add_u32_e32 v31, 0x180, v1
	v_and_b32_e32 v1, 0x100, v0
	v_mul_u32_u24_e32 v77, 3, v1
	v_min_u32_e32 v14, 0x5fd, v15
	v_min_u32_e32 v45, 0x5fa, v18
	;; [unrolled: 1-line block ×3, first 2 shown]
	v_add_u32_e32 v19, 3, v14
	v_and_b32_e32 v46, 3, v0
	v_add_u32_e32 v21, 6, v45
	v_add_u32_e32 v33, 0x300, v1
	v_min_u32_e32 v35, 0x600, v15
	v_sub_u32_e32 v16, v20, v19
	v_mul_u32_u24_e32 v44, 3, v46
	v_sub_u32_e32 v42, v22, v21
	v_min_u32_e32 v51, 0x5f4, v47
	v_sub_u32_e32 v15, v19, v35
	v_min_u32_e32 v41, 0x600, v18
	v_sub_u32_e32 v17, v13, v16
	v_sub_u32_e32 v43, v44, v42
	v_and_b32_e32 v52, 7, v0
	v_add_u32_e32 v24, 12, v51
	v_min_i32_e32 v37, v13, v15
	v_lshlrev_b32_e32 v15, 3, v13
	v_add_u32_e32 v39, v14, v13
	v_add_u32_e32 v40, v19, v13
	v_cmp_ge_i32_e64 s[0:1], v44, v42
	v_mul_u32_u24_e32 v50, 3, v52
	v_sub_u32_e32 v48, v23, v24
	v_min_u32_e32 v57, 0x5e8, v53
	v_cndmask_b32_e64 v42, 0, v43, s[0:1]
	v_min_u32_e32 v47, 0x600, v47
	v_sub_u32_e32 v49, v50, v48
	v_and_b32_e32 v58, 15, v0
	v_add_u32_e32 v26, 24, v57
	v_cmp_ge_i32_e64 s[2:3], v50, v48
	v_mul_u32_u24_e32 v56, 3, v58
	v_sub_u32_e32 v54, v25, v26
	v_min_u32_e32 v63, 0x5d0, v59
	v_cndmask_b32_e64 v48, 0, v49, s[2:3]
	v_min_u32_e32 v53, 0x600, v53
	v_sub_u32_e32 v55, v56, v54
	v_and_b32_e32 v64, 31, v0
	v_add_u32_e32 v28, 48, v63
	v_cmp_ge_i32_e64 s[4:5], v56, v54
	v_mul_u32_u24_e32 v62, 3, v64
	s_waitcnt vmcnt(2)
	v_add_co_u32_e32 v5, vcc, 1, v7
	v_addc_co_u32_e32 v6, vcc, 0, v8, vcc
	s_waitcnt vmcnt(1)
	v_add_co_u32_e32 v3, vcc, 1, v9
	v_addc_co_u32_e32 v4, vcc, 0, v10, vcc
	;; [unrolled: 3-line block ×3, first 2 shown]
	v_cmp_ge_i32_e32 vcc, v13, v16
	v_sub_u32_e32 v13, v21, v41
	v_min_i32_e32 v43, v44, v13
	v_lshlrev_b32_e32 v13, 3, v44
	v_lshl_add_u32 v44, v45, 3, v13
	v_sub_u32_e32 v13, v24, v47
	v_min_i32_e32 v49, v50, v13
	v_lshlrev_b32_e32 v13, 3, v50
	v_lshl_add_u32 v50, v51, 3, v13
	v_sub_u32_e32 v13, v26, v53
	v_sub_u32_e32 v60, v27, v28
	v_min_u32_e32 v69, 0x5a0, v65
	v_cndmask_b32_e64 v54, 0, v55, s[4:5]
	v_min_i32_e32 v55, v56, v13
	v_lshlrev_b32_e32 v13, 3, v56
	v_min_u32_e32 v59, 0x600, v59
	v_sub_u32_e32 v61, v62, v60
	v_and_b32_e32 v70, 63, v0
	v_add_u32_e32 v30, 0x60, v69
	v_lshl_add_u32 v56, v57, 3, v13
	v_cmp_ge_i32_e64 s[6:7], v62, v60
	v_sub_u32_e32 v13, v28, v59
	v_mul_u32_u24_e32 v68, 3, v70
	v_sub_u32_e32 v66, v29, v30
	v_min_u32_e32 v75, 0x540, v71
	v_cndmask_b32_e64 v60, 0, v61, s[6:7]
	v_min_i32_e32 v61, v62, v13
	v_lshlrev_b32_e32 v13, 3, v62
	v_min_u32_e32 v65, 0x600, v65
	v_sub_u32_e32 v67, v68, v66
	v_and_b32_e32 v76, 0x7f, v0
	v_add_u32_e32 v32, 0xc0, v75
	v_lshl_add_u32 v62, v63, 3, v13
	v_cmp_ge_i32_e64 s[8:9], v68, v66
	v_sub_u32_e32 v13, v30, v65
	v_mul_u32_u24_e32 v74, 3, v76
	;; [unrolled: 13-line block ×3, first 2 shown]
	v_sub_u32_e32 v78, v33, v34
	v_cndmask_b32_e64 v72, 0, v73, s[10:11]
	v_min_i32_e32 v73, v74, v13
	v_lshlrev_b32_e32 v13, 3, v74
	v_min_u32_e32 v77, 0x600, v77
	v_sub_u32_e32 v79, v80, v78
	v_lshl_add_u32 v74, v75, 3, v13
	v_cmp_ge_i32_e64 s[12:13], v80, v78
	v_sub_u32_e32 v13, v34, v77
	v_mov_b32_e32 v83, 0x300
	v_mul_u32_u24_e32 v84, 3, v0
	v_cndmask_b32_e32 v36, 0, v17, vcc
	v_cndmask_b32_e64 v78, 0, v79, s[12:13]
	v_min_i32_e32 v79, v80, v13
	v_lshlrev_b32_e32 v13, 3, v80
	v_sub_u32_e64 v85, v84, v83 clamp
	v_min_i32_e32 v86, 0x300, v84
	s_movk_i32 s33, 0x600
	v_cmp_lt_i32_e32 vcc, v36, v37
	v_lshl_add_u32 v38, v14, 3, v15
	v_cmp_lt_i32_e64 s[0:1], v42, v43
	v_mad_u32_u24 v45, v46, 3, v45
	v_mad_u32_u24 v46, v46, 3, v21
	v_cmp_lt_i32_e64 s[2:3], v48, v49
	v_mad_u32_u24 v51, v52, 3, v51
	v_mad_u32_u24 v52, v52, 3, v24
	;; [unrolled: 3-line block ×6, first 2 shown]
	v_cmp_lt_i32_e64 s[12:13], v78, v79
	v_lshl_add_u32 v80, v81, 3, v13
	v_mad_u32_u24 v81, v82, 3, v81
	v_mad_u32_u24 v82, v82, 3, v34
	v_cmp_lt_i32_e64 s[14:15], v85, v86
	v_mul_u32_u24_e32 v87, 24, v0
	v_lshlrev_b32_e32 v88, 3, v35
	v_lshlrev_b32_e32 v89, 3, v41
	;; [unrolled: 1-line block ×8, first 2 shown]
	v_mad_u32_u24 v96, v0, 3, v83
	v_lshlrev_b32_e32 v97, 3, v84
	s_branch .LBB155_2
.LBB155_1:                              ;   in Loop: Header=BB155_2 Depth=1
	s_or_b64 exec, exec, s[20:21]
	s_waitcnt lgkmcnt(0)
	v_cmp_lt_i64_e64 s[20:21], v[17:18], v[15:16]
	v_cmp_ge_i32_e64 s[22:23], v102, v83
	v_cndmask_b32_e64 v8, v8, v14, s[16:17]
	v_cndmask_b32_e64 v7, v7, v13, s[16:17]
	;; [unrolled: 1-line block ×3, first 2 shown]
	v_cmp_gt_i32_e64 s[16:17], s33, v100
	s_or_b64 s[20:21], s[22:23], s[20:21]
	s_and_b64 s[16:17], s[16:17], s[20:21]
	v_cndmask_b32_e64 v14, v102, v100, s[16:17]
	s_barrier
	ds_write2_b64 v87, v[1:2], v[5:6] offset1:1
	ds_write_b64 v87, v[3:4] offset:16
	v_lshlrev_b32_e32 v1, 3, v13
	v_lshlrev_b32_e32 v2, 3, v101
	s_waitcnt lgkmcnt(0)
	s_barrier
	v_lshlrev_b32_e32 v13, 3, v14
	ds_read_b64 v[5:6], v1
	ds_read_b64 v[3:4], v2
	;; [unrolled: 1-line block ×3, first 2 shown]
	s_add_i32 s37, s37, 1
	v_cndmask_b32_e64 v10, v10, v12, s[18:19]
	v_cndmask_b32_e64 v12, v16, v18, s[16:17]
	;; [unrolled: 1-line block ×3, first 2 shown]
	s_cmp_eq_u32 s37, 10
	v_cndmask_b32_e64 v11, v15, v17, s[16:17]
	s_cbranch_scc1 .LBB155_110
.LBB155_2:                              ; =>This Loop Header: Depth=1
                                        ;     Child Loop BB155_4 Depth 2
                                        ;     Child Loop BB155_16 Depth 2
	;; [unrolled: 1-line block ×9, first 2 shown]
	v_cmp_lt_i64_e64 s[16:17], v[9:10], v[7:8]
	v_cmp_gt_i64_e64 s[18:19], v[9:10], v[7:8]
	v_cndmask_b32_e64 v14, v8, v10, s[16:17]
	v_cndmask_b32_e64 v13, v7, v9, s[16:17]
	;; [unrolled: 1-line block ×6, first 2 shown]
	v_cmp_lt_i64_e64 s[18:19], v[11:12], v[7:8]
	v_cndmask_b32_e64 v10, v12, v8, s[18:19]
	v_cndmask_b32_e64 v9, v11, v7, s[18:19]
	;; [unrolled: 1-line block ×4, first 2 shown]
	v_cmp_lt_i64_e64 s[20:21], v[7:8], v[13:14]
	v_cndmask_b32_e64 v16, v16, v11, s[18:19]
	v_cndmask_b32_e64 v15, v15, v12, s[18:19]
	;; [unrolled: 1-line block ×6, first 2 shown]
	s_waitcnt lgkmcnt(0)
	s_barrier
	ds_write2_b64 v87, v[7:8], v[11:12] offset1:1
	ds_write_b64 v87, v[9:10] offset:16
	v_mov_b32_e32 v11, v36
	s_waitcnt lgkmcnt(0)
	s_barrier
	s_and_saveexec_b64 s[24:25], vcc
	s_cbranch_execz .LBB155_6
; %bb.3:                                ;   in Loop: Header=BB155_2 Depth=1
	s_mov_b64 s[26:27], 0
	v_mov_b32_e32 v11, v36
	v_mov_b32_e32 v7, v37
.LBB155_4:                              ;   Parent Loop BB155_2 Depth=1
                                        ; =>  This Inner Loop Header: Depth=2
	v_sub_u32_e32 v8, v7, v11
	v_lshrrev_b32_e32 v8, 1, v8
	v_add_u32_e32 v10, v8, v11
	v_not_b32_e32 v9, v10
	v_lshl_add_u32 v8, v10, 3, v88
	v_lshl_add_u32 v12, v9, 3, v38
	ds_read_b64 v[8:9], v8
	ds_read_b64 v[12:13], v12 offset:24
	v_add_u32_e32 v14, 1, v10
	s_waitcnt lgkmcnt(0)
	v_cmp_lt_i64_e64 s[22:23], v[12:13], v[8:9]
	v_cndmask_b32_e64 v7, v7, v10, s[22:23]
	v_cndmask_b32_e64 v11, v14, v11, s[22:23]
	v_cmp_ge_i32_e64 s[22:23], v11, v7
	s_or_b64 s[26:27], s[22:23], s[26:27]
	s_andn2_b64 exec, exec, s[26:27]
	s_cbranch_execnz .LBB155_4
; %bb.5:                                ;   in Loop: Header=BB155_2 Depth=1
	s_or_b64 exec, exec, s[26:27]
.LBB155_6:                              ;   in Loop: Header=BB155_2 Depth=1
	s_or_b64 exec, exec, s[24:25]
	v_lshl_add_u32 v14, v11, 3, v88
	v_sub_u32_e32 v7, v39, v11
	v_lshlrev_b32_e32 v13, 3, v7
	ds_read_b64 v[7:8], v14
	ds_read_b64 v[9:10], v13 offset:24
	v_add_u32_e32 v98, v11, v35
	v_sub_u32_e32 v99, v40, v11
	v_cmp_le_i32_e64 s[26:27], v19, v98
	v_cmp_gt_i32_e64 s[22:23], v20, v99
	s_waitcnt lgkmcnt(0)
	v_cmp_lt_i64_e64 s[24:25], v[9:10], v[7:8]
                                        ; implicit-def: $vgpr11_vgpr12
	s_or_b64 s[24:25], s[26:27], s[24:25]
	s_and_b64 s[22:23], s[22:23], s[24:25]
	s_xor_b64 s[24:25], s[22:23], -1
	s_and_saveexec_b64 s[26:27], s[24:25]
	s_xor_b64 s[24:25], exec, s[26:27]
; %bb.7:                                ;   in Loop: Header=BB155_2 Depth=1
	ds_read_b64 v[11:12], v14 offset:8
                                        ; implicit-def: $vgpr13
; %bb.8:                                ;   in Loop: Header=BB155_2 Depth=1
	s_or_saveexec_b64 s[24:25], s[24:25]
	v_mov_b32_e32 v16, v10
	v_mov_b32_e32 v15, v9
	s_xor_b64 exec, exec, s[24:25]
	s_cbranch_execz .LBB155_10
; %bb.9:                                ;   in Loop: Header=BB155_2 Depth=1
	ds_read_b64 v[15:16], v13 offset:32
	s_waitcnt lgkmcnt(1)
	v_mov_b32_e32 v12, v8
	v_mov_b32_e32 v11, v7
.LBB155_10:                             ;   in Loop: Header=BB155_2 Depth=1
	s_or_b64 exec, exec, s[24:25]
	v_add_u32_e32 v14, 1, v98
	v_add_u32_e32 v13, 1, v99
	v_cndmask_b32_e64 v101, v14, v98, s[22:23]
	s_waitcnt lgkmcnt(0)
	v_cmp_lt_i64_e64 s[26:27], v[15:16], v[11:12]
	v_cndmask_b32_e64 v100, v99, v13, s[22:23]
	v_cmp_ge_i32_e64 s[28:29], v101, v19
	v_cmp_lt_i32_e64 s[24:25], v100, v20
	s_or_b64 s[26:27], s[28:29], s[26:27]
	s_and_b64 s[24:25], s[24:25], s[26:27]
	s_xor_b64 s[26:27], s[24:25], -1
                                        ; implicit-def: $vgpr13_vgpr14
	s_and_saveexec_b64 s[28:29], s[26:27]
	s_xor_b64 s[26:27], exec, s[28:29]
; %bb.11:                               ;   in Loop: Header=BB155_2 Depth=1
	v_lshlrev_b32_e32 v13, 3, v101
	ds_read_b64 v[13:14], v13 offset:8
; %bb.12:                               ;   in Loop: Header=BB155_2 Depth=1
	s_or_saveexec_b64 s[26:27], s[26:27]
	v_mov_b32_e32 v18, v16
	v_mov_b32_e32 v17, v15
	s_xor_b64 exec, exec, s[26:27]
	s_cbranch_execz .LBB155_14
; %bb.13:                               ;   in Loop: Header=BB155_2 Depth=1
	s_waitcnt lgkmcnt(0)
	v_lshlrev_b32_e32 v13, 3, v100
	ds_read_b64 v[17:18], v13 offset:8
	v_mov_b32_e32 v14, v12
	v_mov_b32_e32 v13, v11
.LBB155_14:                             ;   in Loop: Header=BB155_2 Depth=1
	s_or_b64 exec, exec, s[26:27]
	v_cndmask_b32_e64 v12, v12, v16, s[24:25]
	v_add_u32_e32 v16, 1, v101
	v_cndmask_b32_e64 v8, v8, v10, s[22:23]
	v_cndmask_b32_e64 v7, v7, v9, s[22:23]
	;; [unrolled: 1-line block ×7, first 2 shown]
	v_add_u32_e32 v15, 1, v100
	v_cndmask_b32_e64 v16, v16, v101, s[24:25]
	v_cndmask_b32_e64 v4, v2, v6, s[18:19]
	;; [unrolled: 1-line block ×5, first 2 shown]
	s_waitcnt lgkmcnt(0)
	v_cmp_lt_i64_e64 s[18:19], v[17:18], v[13:14]
	v_cndmask_b32_e64 v15, v100, v15, s[24:25]
	v_cndmask_b32_e64 v2, v6, v10, s[20:21]
	;; [unrolled: 1-line block ×5, first 2 shown]
	v_cmp_ge_i32_e64 s[20:21], v16, v19
	v_cmp_lt_i32_e64 s[16:17], v15, v20
	s_or_b64 s[18:19], s[20:21], s[18:19]
	s_and_b64 s[16:17], s[16:17], s[18:19]
	v_cndmask_b32_e64 v100, v101, v100, s[24:25]
	v_cndmask_b32_e64 v98, v98, v99, s[22:23]
	;; [unrolled: 1-line block ×4, first 2 shown]
	s_barrier
	ds_write2_b64 v87, v[5:6], v[1:2] offset1:1
	ds_write_b64 v87, v[3:4] offset:16
	v_lshlrev_b32_e32 v1, 3, v98
	v_lshlrev_b32_e32 v3, 3, v100
	;; [unrolled: 1-line block ×3, first 2 shown]
	s_waitcnt lgkmcnt(0)
	s_barrier
	ds_read_b64 v[1:2], v1
	ds_read_b64 v[5:6], v3
	;; [unrolled: 1-line block ×3, first 2 shown]
	v_cndmask_b32_e64 v10, v14, v18, s[16:17]
	s_waitcnt lgkmcnt(0)
	s_barrier
	ds_write2_b64 v87, v[7:8], v[11:12] offset1:1
	ds_write_b64 v87, v[9:10] offset:16
	v_mov_b32_e32 v11, v42
	s_waitcnt lgkmcnt(0)
	s_barrier
	s_and_saveexec_b64 s[18:19], s[0:1]
	s_cbranch_execz .LBB155_18
; %bb.15:                               ;   in Loop: Header=BB155_2 Depth=1
	s_mov_b64 s[20:21], 0
	v_mov_b32_e32 v11, v42
	v_mov_b32_e32 v7, v43
.LBB155_16:                             ;   Parent Loop BB155_2 Depth=1
                                        ; =>  This Inner Loop Header: Depth=2
	v_sub_u32_e32 v8, v7, v11
	v_lshrrev_b32_e32 v8, 1, v8
	v_add_u32_e32 v10, v8, v11
	v_not_b32_e32 v9, v10
	v_lshl_add_u32 v8, v10, 3, v89
	v_lshl_add_u32 v12, v9, 3, v44
	ds_read_b64 v[8:9], v8
	ds_read_b64 v[12:13], v12 offset:48
	v_add_u32_e32 v14, 1, v10
	s_waitcnt lgkmcnt(0)
	v_cmp_lt_i64_e64 s[16:17], v[12:13], v[8:9]
	v_cndmask_b32_e64 v7, v7, v10, s[16:17]
	v_cndmask_b32_e64 v11, v14, v11, s[16:17]
	v_cmp_ge_i32_e64 s[16:17], v11, v7
	s_or_b64 s[20:21], s[16:17], s[20:21]
	s_andn2_b64 exec, exec, s[20:21]
	s_cbranch_execnz .LBB155_16
; %bb.17:                               ;   in Loop: Header=BB155_2 Depth=1
	s_or_b64 exec, exec, s[20:21]
.LBB155_18:                             ;   in Loop: Header=BB155_2 Depth=1
	s_or_b64 exec, exec, s[18:19]
	v_lshl_add_u32 v13, v11, 3, v89
	v_sub_u32_e32 v7, v45, v11
	v_lshlrev_b32_e32 v15, 3, v7
	ds_read_b64 v[7:8], v13
	ds_read_b64 v[9:10], v15 offset:48
	v_add_u32_e32 v98, v11, v41
	v_sub_u32_e32 v99, v46, v11
	v_cmp_le_i32_e64 s[20:21], v21, v98
	v_cmp_gt_i32_e64 s[16:17], v22, v99
	s_waitcnt lgkmcnt(0)
	v_cmp_lt_i64_e64 s[18:19], v[9:10], v[7:8]
                                        ; implicit-def: $vgpr11_vgpr12
	s_or_b64 s[18:19], s[20:21], s[18:19]
	s_and_b64 s[16:17], s[16:17], s[18:19]
	s_xor_b64 s[18:19], s[16:17], -1
	s_and_saveexec_b64 s[20:21], s[18:19]
	s_xor_b64 s[18:19], exec, s[20:21]
; %bb.19:                               ;   in Loop: Header=BB155_2 Depth=1
	ds_read_b64 v[11:12], v13 offset:8
                                        ; implicit-def: $vgpr15
; %bb.20:                               ;   in Loop: Header=BB155_2 Depth=1
	s_or_saveexec_b64 s[18:19], s[18:19]
	v_mov_b32_e32 v14, v10
	v_mov_b32_e32 v13, v9
	s_xor_b64 exec, exec, s[18:19]
	s_cbranch_execz .LBB155_22
; %bb.21:                               ;   in Loop: Header=BB155_2 Depth=1
	ds_read_b64 v[13:14], v15 offset:56
	s_waitcnt lgkmcnt(1)
	v_mov_b32_e32 v12, v8
	v_mov_b32_e32 v11, v7
.LBB155_22:                             ;   in Loop: Header=BB155_2 Depth=1
	s_or_b64 exec, exec, s[18:19]
	v_add_u32_e32 v16, 1, v98
	v_add_u32_e32 v15, 1, v99
	v_cndmask_b32_e64 v101, v16, v98, s[16:17]
	s_waitcnt lgkmcnt(0)
	v_cmp_lt_i64_e64 s[20:21], v[13:14], v[11:12]
	v_cndmask_b32_e64 v100, v99, v15, s[16:17]
	v_cmp_ge_i32_e64 s[22:23], v101, v21
	v_cmp_lt_i32_e64 s[18:19], v100, v22
	s_or_b64 s[20:21], s[22:23], s[20:21]
	s_and_b64 s[18:19], s[18:19], s[20:21]
	s_xor_b64 s[20:21], s[18:19], -1
                                        ; implicit-def: $vgpr15_vgpr16
	s_and_saveexec_b64 s[22:23], s[20:21]
	s_xor_b64 s[20:21], exec, s[22:23]
; %bb.23:                               ;   in Loop: Header=BB155_2 Depth=1
	v_lshlrev_b32_e32 v15, 3, v101
	ds_read_b64 v[15:16], v15 offset:8
; %bb.24:                               ;   in Loop: Header=BB155_2 Depth=1
	s_or_saveexec_b64 s[20:21], s[20:21]
	v_mov_b32_e32 v18, v14
	v_mov_b32_e32 v17, v13
	s_xor_b64 exec, exec, s[20:21]
	s_cbranch_execz .LBB155_26
; %bb.25:                               ;   in Loop: Header=BB155_2 Depth=1
	s_waitcnt lgkmcnt(0)
	v_lshlrev_b32_e32 v15, 3, v100
	ds_read_b64 v[17:18], v15 offset:8
	v_mov_b32_e32 v16, v12
	v_mov_b32_e32 v15, v11
.LBB155_26:                             ;   in Loop: Header=BB155_2 Depth=1
	s_or_b64 exec, exec, s[20:21]
	v_cndmask_b32_e64 v12, v12, v14, s[18:19]
	v_cndmask_b32_e64 v11, v11, v13, s[18:19]
	v_add_u32_e32 v13, 1, v100
	v_add_u32_e32 v14, 1, v101
	v_cndmask_b32_e64 v13, v100, v13, s[18:19]
	v_cndmask_b32_e64 v14, v14, v101, s[18:19]
	v_cndmask_b32_e64 v100, v101, v100, s[18:19]
	s_waitcnt lgkmcnt(0)
	v_cmp_lt_i64_e64 s[18:19], v[17:18], v[15:16]
	v_cmp_ge_i32_e64 s[20:21], v14, v21
	v_cndmask_b32_e64 v8, v8, v10, s[16:17]
	v_cndmask_b32_e64 v7, v7, v9, s[16:17]
	;; [unrolled: 1-line block ×3, first 2 shown]
	v_cmp_lt_i32_e64 s[16:17], v13, v22
	s_or_b64 s[18:19], s[20:21], s[18:19]
	s_and_b64 s[16:17], s[16:17], s[18:19]
	v_cndmask_b32_e64 v13, v14, v13, s[16:17]
	s_barrier
	ds_write2_b64 v87, v[1:2], v[5:6] offset1:1
	ds_write_b64 v87, v[3:4] offset:16
	v_lshlrev_b32_e32 v1, 3, v98
	v_lshlrev_b32_e32 v3, 3, v100
	;; [unrolled: 1-line block ×3, first 2 shown]
	s_waitcnt lgkmcnt(0)
	s_barrier
	ds_read_b64 v[1:2], v1
	ds_read_b64 v[5:6], v3
	;; [unrolled: 1-line block ×3, first 2 shown]
	v_cndmask_b32_e64 v10, v16, v18, s[16:17]
	v_cndmask_b32_e64 v9, v15, v17, s[16:17]
	s_waitcnt lgkmcnt(0)
	s_barrier
	ds_write2_b64 v87, v[7:8], v[11:12] offset1:1
	ds_write_b64 v87, v[9:10] offset:16
	v_mov_b32_e32 v11, v48
	s_waitcnt lgkmcnt(0)
	s_barrier
	s_and_saveexec_b64 s[18:19], s[2:3]
	s_cbranch_execz .LBB155_30
; %bb.27:                               ;   in Loop: Header=BB155_2 Depth=1
	s_mov_b64 s[20:21], 0
	v_mov_b32_e32 v11, v48
	v_mov_b32_e32 v7, v49
.LBB155_28:                             ;   Parent Loop BB155_2 Depth=1
                                        ; =>  This Inner Loop Header: Depth=2
	v_sub_u32_e32 v8, v7, v11
	v_lshrrev_b32_e32 v8, 1, v8
	v_add_u32_e32 v10, v8, v11
	v_not_b32_e32 v9, v10
	v_lshl_add_u32 v8, v10, 3, v90
	v_lshl_add_u32 v12, v9, 3, v50
	ds_read_b64 v[8:9], v8
	ds_read_b64 v[12:13], v12 offset:96
	v_add_u32_e32 v14, 1, v10
	s_waitcnt lgkmcnt(0)
	v_cmp_lt_i64_e64 s[16:17], v[12:13], v[8:9]
	v_cndmask_b32_e64 v7, v7, v10, s[16:17]
	v_cndmask_b32_e64 v11, v14, v11, s[16:17]
	v_cmp_ge_i32_e64 s[16:17], v11, v7
	s_or_b64 s[20:21], s[16:17], s[20:21]
	s_andn2_b64 exec, exec, s[20:21]
	s_cbranch_execnz .LBB155_28
; %bb.29:                               ;   in Loop: Header=BB155_2 Depth=1
	s_or_b64 exec, exec, s[20:21]
.LBB155_30:                             ;   in Loop: Header=BB155_2 Depth=1
	s_or_b64 exec, exec, s[18:19]
	v_lshl_add_u32 v13, v11, 3, v90
	v_sub_u32_e32 v7, v51, v11
	v_lshlrev_b32_e32 v15, 3, v7
	ds_read_b64 v[7:8], v13
	ds_read_b64 v[9:10], v15 offset:96
	v_add_u32_e32 v98, v11, v47
	v_sub_u32_e32 v99, v52, v11
	v_cmp_le_i32_e64 s[20:21], v24, v98
	v_cmp_gt_i32_e64 s[16:17], v23, v99
	s_waitcnt lgkmcnt(0)
	v_cmp_lt_i64_e64 s[18:19], v[9:10], v[7:8]
                                        ; implicit-def: $vgpr11_vgpr12
	s_or_b64 s[18:19], s[20:21], s[18:19]
	s_and_b64 s[16:17], s[16:17], s[18:19]
	s_xor_b64 s[18:19], s[16:17], -1
	s_and_saveexec_b64 s[20:21], s[18:19]
	s_xor_b64 s[18:19], exec, s[20:21]
; %bb.31:                               ;   in Loop: Header=BB155_2 Depth=1
	ds_read_b64 v[11:12], v13 offset:8
                                        ; implicit-def: $vgpr15
; %bb.32:                               ;   in Loop: Header=BB155_2 Depth=1
	s_or_saveexec_b64 s[18:19], s[18:19]
	v_mov_b32_e32 v14, v10
	v_mov_b32_e32 v13, v9
	s_xor_b64 exec, exec, s[18:19]
	s_cbranch_execz .LBB155_34
; %bb.33:                               ;   in Loop: Header=BB155_2 Depth=1
	ds_read_b64 v[13:14], v15 offset:104
	s_waitcnt lgkmcnt(1)
	v_mov_b32_e32 v12, v8
	v_mov_b32_e32 v11, v7
.LBB155_34:                             ;   in Loop: Header=BB155_2 Depth=1
	s_or_b64 exec, exec, s[18:19]
	v_add_u32_e32 v16, 1, v98
	v_add_u32_e32 v15, 1, v99
	v_cndmask_b32_e64 v101, v16, v98, s[16:17]
	s_waitcnt lgkmcnt(0)
	v_cmp_lt_i64_e64 s[20:21], v[13:14], v[11:12]
	v_cndmask_b32_e64 v100, v99, v15, s[16:17]
	v_cmp_ge_i32_e64 s[22:23], v101, v24
	v_cmp_lt_i32_e64 s[18:19], v100, v23
	s_or_b64 s[20:21], s[22:23], s[20:21]
	s_and_b64 s[18:19], s[18:19], s[20:21]
	s_xor_b64 s[20:21], s[18:19], -1
                                        ; implicit-def: $vgpr15_vgpr16
	s_and_saveexec_b64 s[22:23], s[20:21]
	s_xor_b64 s[20:21], exec, s[22:23]
; %bb.35:                               ;   in Loop: Header=BB155_2 Depth=1
	v_lshlrev_b32_e32 v15, 3, v101
	ds_read_b64 v[15:16], v15 offset:8
; %bb.36:                               ;   in Loop: Header=BB155_2 Depth=1
	s_or_saveexec_b64 s[20:21], s[20:21]
	v_mov_b32_e32 v18, v14
	v_mov_b32_e32 v17, v13
	s_xor_b64 exec, exec, s[20:21]
	s_cbranch_execz .LBB155_38
; %bb.37:                               ;   in Loop: Header=BB155_2 Depth=1
	s_waitcnt lgkmcnt(0)
	v_lshlrev_b32_e32 v15, 3, v100
	ds_read_b64 v[17:18], v15 offset:8
	v_mov_b32_e32 v16, v12
	v_mov_b32_e32 v15, v11
.LBB155_38:                             ;   in Loop: Header=BB155_2 Depth=1
	s_or_b64 exec, exec, s[20:21]
	v_cndmask_b32_e64 v12, v12, v14, s[18:19]
	v_cndmask_b32_e64 v11, v11, v13, s[18:19]
	v_add_u32_e32 v13, 1, v100
	v_add_u32_e32 v14, 1, v101
	v_cndmask_b32_e64 v13, v100, v13, s[18:19]
	v_cndmask_b32_e64 v14, v14, v101, s[18:19]
	;; [unrolled: 1-line block ×3, first 2 shown]
	s_waitcnt lgkmcnt(0)
	v_cmp_lt_i64_e64 s[18:19], v[17:18], v[15:16]
	v_cmp_ge_i32_e64 s[20:21], v14, v24
	v_cndmask_b32_e64 v8, v8, v10, s[16:17]
	v_cndmask_b32_e64 v7, v7, v9, s[16:17]
	;; [unrolled: 1-line block ×3, first 2 shown]
	v_cmp_lt_i32_e64 s[16:17], v13, v23
	s_or_b64 s[18:19], s[20:21], s[18:19]
	s_and_b64 s[16:17], s[16:17], s[18:19]
	v_cndmask_b32_e64 v13, v14, v13, s[16:17]
	s_barrier
	ds_write2_b64 v87, v[1:2], v[5:6] offset1:1
	ds_write_b64 v87, v[3:4] offset:16
	v_lshlrev_b32_e32 v1, 3, v98
	v_lshlrev_b32_e32 v3, 3, v100
	;; [unrolled: 1-line block ×3, first 2 shown]
	s_waitcnt lgkmcnt(0)
	s_barrier
	ds_read_b64 v[1:2], v1
	ds_read_b64 v[5:6], v3
	;; [unrolled: 1-line block ×3, first 2 shown]
	v_cndmask_b32_e64 v10, v16, v18, s[16:17]
	v_cndmask_b32_e64 v9, v15, v17, s[16:17]
	s_waitcnt lgkmcnt(0)
	s_barrier
	ds_write2_b64 v87, v[7:8], v[11:12] offset1:1
	ds_write_b64 v87, v[9:10] offset:16
	v_mov_b32_e32 v11, v54
	s_waitcnt lgkmcnt(0)
	s_barrier
	s_and_saveexec_b64 s[18:19], s[4:5]
	s_cbranch_execz .LBB155_42
; %bb.39:                               ;   in Loop: Header=BB155_2 Depth=1
	s_mov_b64 s[20:21], 0
	v_mov_b32_e32 v11, v54
	v_mov_b32_e32 v7, v55
.LBB155_40:                             ;   Parent Loop BB155_2 Depth=1
                                        ; =>  This Inner Loop Header: Depth=2
	v_sub_u32_e32 v8, v7, v11
	v_lshrrev_b32_e32 v8, 1, v8
	v_add_u32_e32 v10, v8, v11
	v_not_b32_e32 v9, v10
	v_lshl_add_u32 v8, v10, 3, v91
	v_lshl_add_u32 v12, v9, 3, v56
	ds_read_b64 v[8:9], v8
	ds_read_b64 v[12:13], v12 offset:192
	v_add_u32_e32 v14, 1, v10
	s_waitcnt lgkmcnt(0)
	v_cmp_lt_i64_e64 s[16:17], v[12:13], v[8:9]
	v_cndmask_b32_e64 v7, v7, v10, s[16:17]
	v_cndmask_b32_e64 v11, v14, v11, s[16:17]
	v_cmp_ge_i32_e64 s[16:17], v11, v7
	s_or_b64 s[20:21], s[16:17], s[20:21]
	s_andn2_b64 exec, exec, s[20:21]
	s_cbranch_execnz .LBB155_40
; %bb.41:                               ;   in Loop: Header=BB155_2 Depth=1
	s_or_b64 exec, exec, s[20:21]
.LBB155_42:                             ;   in Loop: Header=BB155_2 Depth=1
	s_or_b64 exec, exec, s[18:19]
	v_lshl_add_u32 v13, v11, 3, v91
	v_sub_u32_e32 v7, v57, v11
	v_lshlrev_b32_e32 v15, 3, v7
	ds_read_b64 v[7:8], v13
	ds_read_b64 v[9:10], v15 offset:192
	v_add_u32_e32 v98, v11, v53
	v_sub_u32_e32 v99, v58, v11
	v_cmp_le_i32_e64 s[20:21], v26, v98
	v_cmp_gt_i32_e64 s[16:17], v25, v99
	s_waitcnt lgkmcnt(0)
	v_cmp_lt_i64_e64 s[18:19], v[9:10], v[7:8]
                                        ; implicit-def: $vgpr11_vgpr12
	s_or_b64 s[18:19], s[20:21], s[18:19]
	s_and_b64 s[16:17], s[16:17], s[18:19]
	s_xor_b64 s[18:19], s[16:17], -1
	s_and_saveexec_b64 s[20:21], s[18:19]
	s_xor_b64 s[18:19], exec, s[20:21]
; %bb.43:                               ;   in Loop: Header=BB155_2 Depth=1
	ds_read_b64 v[11:12], v13 offset:8
                                        ; implicit-def: $vgpr15
; %bb.44:                               ;   in Loop: Header=BB155_2 Depth=1
	s_or_saveexec_b64 s[18:19], s[18:19]
	v_mov_b32_e32 v14, v10
	v_mov_b32_e32 v13, v9
	s_xor_b64 exec, exec, s[18:19]
	s_cbranch_execz .LBB155_46
; %bb.45:                               ;   in Loop: Header=BB155_2 Depth=1
	ds_read_b64 v[13:14], v15 offset:200
	s_waitcnt lgkmcnt(1)
	v_mov_b32_e32 v12, v8
	v_mov_b32_e32 v11, v7
.LBB155_46:                             ;   in Loop: Header=BB155_2 Depth=1
	s_or_b64 exec, exec, s[18:19]
	v_add_u32_e32 v16, 1, v98
	v_add_u32_e32 v15, 1, v99
	v_cndmask_b32_e64 v101, v16, v98, s[16:17]
	s_waitcnt lgkmcnt(0)
	v_cmp_lt_i64_e64 s[20:21], v[13:14], v[11:12]
	v_cndmask_b32_e64 v100, v99, v15, s[16:17]
	v_cmp_ge_i32_e64 s[22:23], v101, v26
	v_cmp_lt_i32_e64 s[18:19], v100, v25
	s_or_b64 s[20:21], s[22:23], s[20:21]
	s_and_b64 s[18:19], s[18:19], s[20:21]
	s_xor_b64 s[20:21], s[18:19], -1
                                        ; implicit-def: $vgpr15_vgpr16
	s_and_saveexec_b64 s[22:23], s[20:21]
	s_xor_b64 s[20:21], exec, s[22:23]
; %bb.47:                               ;   in Loop: Header=BB155_2 Depth=1
	v_lshlrev_b32_e32 v15, 3, v101
	ds_read_b64 v[15:16], v15 offset:8
; %bb.48:                               ;   in Loop: Header=BB155_2 Depth=1
	s_or_saveexec_b64 s[20:21], s[20:21]
	v_mov_b32_e32 v18, v14
	v_mov_b32_e32 v17, v13
	s_xor_b64 exec, exec, s[20:21]
	s_cbranch_execz .LBB155_50
; %bb.49:                               ;   in Loop: Header=BB155_2 Depth=1
	s_waitcnt lgkmcnt(0)
	v_lshlrev_b32_e32 v15, 3, v100
	ds_read_b64 v[17:18], v15 offset:8
	v_mov_b32_e32 v16, v12
	v_mov_b32_e32 v15, v11
.LBB155_50:                             ;   in Loop: Header=BB155_2 Depth=1
	s_or_b64 exec, exec, s[20:21]
	v_cndmask_b32_e64 v12, v12, v14, s[18:19]
	v_cndmask_b32_e64 v11, v11, v13, s[18:19]
	v_add_u32_e32 v13, 1, v100
	v_add_u32_e32 v14, 1, v101
	v_cndmask_b32_e64 v13, v100, v13, s[18:19]
	v_cndmask_b32_e64 v14, v14, v101, s[18:19]
	;; [unrolled: 1-line block ×3, first 2 shown]
	s_waitcnt lgkmcnt(0)
	v_cmp_lt_i64_e64 s[18:19], v[17:18], v[15:16]
	v_cmp_ge_i32_e64 s[20:21], v14, v26
	v_cndmask_b32_e64 v8, v8, v10, s[16:17]
	v_cndmask_b32_e64 v7, v7, v9, s[16:17]
	;; [unrolled: 1-line block ×3, first 2 shown]
	v_cmp_lt_i32_e64 s[16:17], v13, v25
	s_or_b64 s[18:19], s[20:21], s[18:19]
	s_and_b64 s[16:17], s[16:17], s[18:19]
	v_cndmask_b32_e64 v13, v14, v13, s[16:17]
	s_barrier
	ds_write2_b64 v87, v[1:2], v[5:6] offset1:1
	ds_write_b64 v87, v[3:4] offset:16
	v_lshlrev_b32_e32 v1, 3, v98
	v_lshlrev_b32_e32 v3, 3, v100
	;; [unrolled: 1-line block ×3, first 2 shown]
	s_waitcnt lgkmcnt(0)
	s_barrier
	ds_read_b64 v[1:2], v1
	ds_read_b64 v[5:6], v3
	;; [unrolled: 1-line block ×3, first 2 shown]
	v_cndmask_b32_e64 v10, v16, v18, s[16:17]
	v_cndmask_b32_e64 v9, v15, v17, s[16:17]
	s_waitcnt lgkmcnt(0)
	s_barrier
	ds_write2_b64 v87, v[7:8], v[11:12] offset1:1
	ds_write_b64 v87, v[9:10] offset:16
	v_mov_b32_e32 v11, v60
	s_waitcnt lgkmcnt(0)
	s_barrier
	s_and_saveexec_b64 s[18:19], s[6:7]
	s_cbranch_execz .LBB155_54
; %bb.51:                               ;   in Loop: Header=BB155_2 Depth=1
	s_mov_b64 s[20:21], 0
	v_mov_b32_e32 v11, v60
	v_mov_b32_e32 v7, v61
.LBB155_52:                             ;   Parent Loop BB155_2 Depth=1
                                        ; =>  This Inner Loop Header: Depth=2
	v_sub_u32_e32 v8, v7, v11
	v_lshrrev_b32_e32 v8, 1, v8
	v_add_u32_e32 v10, v8, v11
	v_not_b32_e32 v9, v10
	v_lshl_add_u32 v8, v10, 3, v92
	v_lshl_add_u32 v12, v9, 3, v62
	ds_read_b64 v[8:9], v8
	ds_read_b64 v[12:13], v12 offset:384
	v_add_u32_e32 v14, 1, v10
	s_waitcnt lgkmcnt(0)
	v_cmp_lt_i64_e64 s[16:17], v[12:13], v[8:9]
	v_cndmask_b32_e64 v7, v7, v10, s[16:17]
	v_cndmask_b32_e64 v11, v14, v11, s[16:17]
	v_cmp_ge_i32_e64 s[16:17], v11, v7
	s_or_b64 s[20:21], s[16:17], s[20:21]
	s_andn2_b64 exec, exec, s[20:21]
	s_cbranch_execnz .LBB155_52
; %bb.53:                               ;   in Loop: Header=BB155_2 Depth=1
	s_or_b64 exec, exec, s[20:21]
.LBB155_54:                             ;   in Loop: Header=BB155_2 Depth=1
	s_or_b64 exec, exec, s[18:19]
	v_lshl_add_u32 v13, v11, 3, v92
	v_sub_u32_e32 v7, v63, v11
	v_lshlrev_b32_e32 v15, 3, v7
	ds_read_b64 v[7:8], v13
	ds_read_b64 v[9:10], v15 offset:384
	v_add_u32_e32 v98, v11, v59
	v_sub_u32_e32 v99, v64, v11
	v_cmp_le_i32_e64 s[20:21], v28, v98
	v_cmp_gt_i32_e64 s[16:17], v27, v99
	s_waitcnt lgkmcnt(0)
	v_cmp_lt_i64_e64 s[18:19], v[9:10], v[7:8]
                                        ; implicit-def: $vgpr11_vgpr12
	s_or_b64 s[18:19], s[20:21], s[18:19]
	s_and_b64 s[16:17], s[16:17], s[18:19]
	s_xor_b64 s[18:19], s[16:17], -1
	s_and_saveexec_b64 s[20:21], s[18:19]
	s_xor_b64 s[18:19], exec, s[20:21]
; %bb.55:                               ;   in Loop: Header=BB155_2 Depth=1
	ds_read_b64 v[11:12], v13 offset:8
                                        ; implicit-def: $vgpr15
; %bb.56:                               ;   in Loop: Header=BB155_2 Depth=1
	s_or_saveexec_b64 s[18:19], s[18:19]
	v_mov_b32_e32 v14, v10
	v_mov_b32_e32 v13, v9
	s_xor_b64 exec, exec, s[18:19]
	s_cbranch_execz .LBB155_58
; %bb.57:                               ;   in Loop: Header=BB155_2 Depth=1
	ds_read_b64 v[13:14], v15 offset:392
	s_waitcnt lgkmcnt(1)
	v_mov_b32_e32 v12, v8
	v_mov_b32_e32 v11, v7
.LBB155_58:                             ;   in Loop: Header=BB155_2 Depth=1
	s_or_b64 exec, exec, s[18:19]
	v_add_u32_e32 v16, 1, v98
	v_add_u32_e32 v15, 1, v99
	v_cndmask_b32_e64 v101, v16, v98, s[16:17]
	s_waitcnt lgkmcnt(0)
	v_cmp_lt_i64_e64 s[20:21], v[13:14], v[11:12]
	v_cndmask_b32_e64 v100, v99, v15, s[16:17]
	v_cmp_ge_i32_e64 s[22:23], v101, v28
	v_cmp_lt_i32_e64 s[18:19], v100, v27
	s_or_b64 s[20:21], s[22:23], s[20:21]
	s_and_b64 s[18:19], s[18:19], s[20:21]
	s_xor_b64 s[20:21], s[18:19], -1
                                        ; implicit-def: $vgpr15_vgpr16
	s_and_saveexec_b64 s[22:23], s[20:21]
	s_xor_b64 s[20:21], exec, s[22:23]
; %bb.59:                               ;   in Loop: Header=BB155_2 Depth=1
	v_lshlrev_b32_e32 v15, 3, v101
	ds_read_b64 v[15:16], v15 offset:8
; %bb.60:                               ;   in Loop: Header=BB155_2 Depth=1
	s_or_saveexec_b64 s[20:21], s[20:21]
	v_mov_b32_e32 v18, v14
	v_mov_b32_e32 v17, v13
	s_xor_b64 exec, exec, s[20:21]
	s_cbranch_execz .LBB155_62
; %bb.61:                               ;   in Loop: Header=BB155_2 Depth=1
	s_waitcnt lgkmcnt(0)
	v_lshlrev_b32_e32 v15, 3, v100
	ds_read_b64 v[17:18], v15 offset:8
	v_mov_b32_e32 v16, v12
	v_mov_b32_e32 v15, v11
.LBB155_62:                             ;   in Loop: Header=BB155_2 Depth=1
	s_or_b64 exec, exec, s[20:21]
	v_cndmask_b32_e64 v12, v12, v14, s[18:19]
	v_cndmask_b32_e64 v11, v11, v13, s[18:19]
	v_add_u32_e32 v13, 1, v100
	v_add_u32_e32 v14, 1, v101
	v_cndmask_b32_e64 v13, v100, v13, s[18:19]
	v_cndmask_b32_e64 v14, v14, v101, s[18:19]
	;; [unrolled: 1-line block ×3, first 2 shown]
	s_waitcnt lgkmcnt(0)
	v_cmp_lt_i64_e64 s[18:19], v[17:18], v[15:16]
	v_cmp_ge_i32_e64 s[20:21], v14, v28
	v_cndmask_b32_e64 v8, v8, v10, s[16:17]
	v_cndmask_b32_e64 v7, v7, v9, s[16:17]
	;; [unrolled: 1-line block ×3, first 2 shown]
	v_cmp_lt_i32_e64 s[16:17], v13, v27
	s_or_b64 s[18:19], s[20:21], s[18:19]
	s_and_b64 s[16:17], s[16:17], s[18:19]
	v_cndmask_b32_e64 v13, v14, v13, s[16:17]
	s_barrier
	ds_write2_b64 v87, v[1:2], v[5:6] offset1:1
	ds_write_b64 v87, v[3:4] offset:16
	v_lshlrev_b32_e32 v1, 3, v98
	v_lshlrev_b32_e32 v3, 3, v100
	;; [unrolled: 1-line block ×3, first 2 shown]
	s_waitcnt lgkmcnt(0)
	s_barrier
	ds_read_b64 v[1:2], v1
	ds_read_b64 v[5:6], v3
	ds_read_b64 v[3:4], v4
	v_cndmask_b32_e64 v10, v16, v18, s[16:17]
	v_cndmask_b32_e64 v9, v15, v17, s[16:17]
	s_waitcnt lgkmcnt(0)
	s_barrier
	ds_write2_b64 v87, v[7:8], v[11:12] offset1:1
	ds_write_b64 v87, v[9:10] offset:16
	v_mov_b32_e32 v11, v66
	s_waitcnt lgkmcnt(0)
	s_barrier
	s_and_saveexec_b64 s[18:19], s[8:9]
	s_cbranch_execz .LBB155_66
; %bb.63:                               ;   in Loop: Header=BB155_2 Depth=1
	s_mov_b64 s[20:21], 0
	v_mov_b32_e32 v11, v66
	v_mov_b32_e32 v7, v67
.LBB155_64:                             ;   Parent Loop BB155_2 Depth=1
                                        ; =>  This Inner Loop Header: Depth=2
	v_sub_u32_e32 v8, v7, v11
	v_lshrrev_b32_e32 v8, 1, v8
	v_add_u32_e32 v10, v8, v11
	v_not_b32_e32 v9, v10
	v_lshl_add_u32 v8, v10, 3, v93
	v_lshl_add_u32 v12, v9, 3, v68
	ds_read_b64 v[8:9], v8
	ds_read_b64 v[12:13], v12 offset:768
	v_add_u32_e32 v14, 1, v10
	s_waitcnt lgkmcnt(0)
	v_cmp_lt_i64_e64 s[16:17], v[12:13], v[8:9]
	v_cndmask_b32_e64 v7, v7, v10, s[16:17]
	v_cndmask_b32_e64 v11, v14, v11, s[16:17]
	v_cmp_ge_i32_e64 s[16:17], v11, v7
	s_or_b64 s[20:21], s[16:17], s[20:21]
	s_andn2_b64 exec, exec, s[20:21]
	s_cbranch_execnz .LBB155_64
; %bb.65:                               ;   in Loop: Header=BB155_2 Depth=1
	s_or_b64 exec, exec, s[20:21]
.LBB155_66:                             ;   in Loop: Header=BB155_2 Depth=1
	s_or_b64 exec, exec, s[18:19]
	v_lshl_add_u32 v13, v11, 3, v93
	v_sub_u32_e32 v7, v69, v11
	v_lshlrev_b32_e32 v15, 3, v7
	ds_read_b64 v[7:8], v13
	ds_read_b64 v[9:10], v15 offset:768
	v_add_u32_e32 v98, v11, v65
	v_sub_u32_e32 v99, v70, v11
	v_cmp_le_i32_e64 s[20:21], v30, v98
	v_cmp_gt_i32_e64 s[16:17], v29, v99
	s_waitcnt lgkmcnt(0)
	v_cmp_lt_i64_e64 s[18:19], v[9:10], v[7:8]
                                        ; implicit-def: $vgpr11_vgpr12
	s_or_b64 s[18:19], s[20:21], s[18:19]
	s_and_b64 s[16:17], s[16:17], s[18:19]
	s_xor_b64 s[18:19], s[16:17], -1
	s_and_saveexec_b64 s[20:21], s[18:19]
	s_xor_b64 s[18:19], exec, s[20:21]
; %bb.67:                               ;   in Loop: Header=BB155_2 Depth=1
	ds_read_b64 v[11:12], v13 offset:8
                                        ; implicit-def: $vgpr15
; %bb.68:                               ;   in Loop: Header=BB155_2 Depth=1
	s_or_saveexec_b64 s[18:19], s[18:19]
	v_mov_b32_e32 v14, v10
	v_mov_b32_e32 v13, v9
	s_xor_b64 exec, exec, s[18:19]
	s_cbranch_execz .LBB155_70
; %bb.69:                               ;   in Loop: Header=BB155_2 Depth=1
	ds_read_b64 v[13:14], v15 offset:776
	s_waitcnt lgkmcnt(1)
	v_mov_b32_e32 v12, v8
	v_mov_b32_e32 v11, v7
.LBB155_70:                             ;   in Loop: Header=BB155_2 Depth=1
	s_or_b64 exec, exec, s[18:19]
	v_add_u32_e32 v16, 1, v98
	v_add_u32_e32 v15, 1, v99
	v_cndmask_b32_e64 v101, v16, v98, s[16:17]
	s_waitcnt lgkmcnt(0)
	v_cmp_lt_i64_e64 s[20:21], v[13:14], v[11:12]
	v_cndmask_b32_e64 v100, v99, v15, s[16:17]
	v_cmp_ge_i32_e64 s[22:23], v101, v30
	v_cmp_lt_i32_e64 s[18:19], v100, v29
	s_or_b64 s[20:21], s[22:23], s[20:21]
	s_and_b64 s[18:19], s[18:19], s[20:21]
	s_xor_b64 s[20:21], s[18:19], -1
                                        ; implicit-def: $vgpr15_vgpr16
	s_and_saveexec_b64 s[22:23], s[20:21]
	s_xor_b64 s[20:21], exec, s[22:23]
; %bb.71:                               ;   in Loop: Header=BB155_2 Depth=1
	v_lshlrev_b32_e32 v15, 3, v101
	ds_read_b64 v[15:16], v15 offset:8
; %bb.72:                               ;   in Loop: Header=BB155_2 Depth=1
	s_or_saveexec_b64 s[20:21], s[20:21]
	v_mov_b32_e32 v18, v14
	v_mov_b32_e32 v17, v13
	s_xor_b64 exec, exec, s[20:21]
	s_cbranch_execz .LBB155_74
; %bb.73:                               ;   in Loop: Header=BB155_2 Depth=1
	s_waitcnt lgkmcnt(0)
	v_lshlrev_b32_e32 v15, 3, v100
	ds_read_b64 v[17:18], v15 offset:8
	v_mov_b32_e32 v16, v12
	v_mov_b32_e32 v15, v11
.LBB155_74:                             ;   in Loop: Header=BB155_2 Depth=1
	s_or_b64 exec, exec, s[20:21]
	v_cndmask_b32_e64 v12, v12, v14, s[18:19]
	v_cndmask_b32_e64 v11, v11, v13, s[18:19]
	v_add_u32_e32 v13, 1, v100
	v_add_u32_e32 v14, 1, v101
	v_cndmask_b32_e64 v13, v100, v13, s[18:19]
	v_cndmask_b32_e64 v14, v14, v101, s[18:19]
	;; [unrolled: 1-line block ×3, first 2 shown]
	s_waitcnt lgkmcnt(0)
	v_cmp_lt_i64_e64 s[18:19], v[17:18], v[15:16]
	v_cmp_ge_i32_e64 s[20:21], v14, v30
	v_cndmask_b32_e64 v8, v8, v10, s[16:17]
	v_cndmask_b32_e64 v7, v7, v9, s[16:17]
	;; [unrolled: 1-line block ×3, first 2 shown]
	v_cmp_lt_i32_e64 s[16:17], v13, v29
	s_or_b64 s[18:19], s[20:21], s[18:19]
	s_and_b64 s[16:17], s[16:17], s[18:19]
	v_cndmask_b32_e64 v13, v14, v13, s[16:17]
	s_barrier
	ds_write2_b64 v87, v[1:2], v[5:6] offset1:1
	ds_write_b64 v87, v[3:4] offset:16
	v_lshlrev_b32_e32 v1, 3, v98
	v_lshlrev_b32_e32 v3, 3, v100
	;; [unrolled: 1-line block ×3, first 2 shown]
	s_waitcnt lgkmcnt(0)
	s_barrier
	ds_read_b64 v[1:2], v1
	ds_read_b64 v[5:6], v3
	;; [unrolled: 1-line block ×3, first 2 shown]
	v_cndmask_b32_e64 v10, v16, v18, s[16:17]
	v_cndmask_b32_e64 v9, v15, v17, s[16:17]
	s_waitcnt lgkmcnt(0)
	s_barrier
	ds_write2_b64 v87, v[7:8], v[11:12] offset1:1
	ds_write_b64 v87, v[9:10] offset:16
	v_mov_b32_e32 v11, v72
	s_waitcnt lgkmcnt(0)
	s_barrier
	s_and_saveexec_b64 s[18:19], s[10:11]
	s_cbranch_execz .LBB155_78
; %bb.75:                               ;   in Loop: Header=BB155_2 Depth=1
	s_mov_b64 s[20:21], 0
	v_mov_b32_e32 v11, v72
	v_mov_b32_e32 v7, v73
.LBB155_76:                             ;   Parent Loop BB155_2 Depth=1
                                        ; =>  This Inner Loop Header: Depth=2
	v_sub_u32_e32 v8, v7, v11
	v_lshrrev_b32_e32 v8, 1, v8
	v_add_u32_e32 v10, v8, v11
	v_not_b32_e32 v9, v10
	v_lshl_add_u32 v8, v10, 3, v94
	v_lshl_add_u32 v12, v9, 3, v74
	ds_read_b64 v[8:9], v8
	ds_read_b64 v[12:13], v12 offset:1536
	v_add_u32_e32 v14, 1, v10
	s_waitcnt lgkmcnt(0)
	v_cmp_lt_i64_e64 s[16:17], v[12:13], v[8:9]
	v_cndmask_b32_e64 v7, v7, v10, s[16:17]
	v_cndmask_b32_e64 v11, v14, v11, s[16:17]
	v_cmp_ge_i32_e64 s[16:17], v11, v7
	s_or_b64 s[20:21], s[16:17], s[20:21]
	s_andn2_b64 exec, exec, s[20:21]
	s_cbranch_execnz .LBB155_76
; %bb.77:                               ;   in Loop: Header=BB155_2 Depth=1
	s_or_b64 exec, exec, s[20:21]
.LBB155_78:                             ;   in Loop: Header=BB155_2 Depth=1
	s_or_b64 exec, exec, s[18:19]
	v_lshl_add_u32 v13, v11, 3, v94
	v_sub_u32_e32 v7, v75, v11
	v_lshlrev_b32_e32 v15, 3, v7
	ds_read_b64 v[7:8], v13
	ds_read_b64 v[9:10], v15 offset:1536
	v_add_u32_e32 v98, v11, v71
	v_sub_u32_e32 v99, v76, v11
	v_cmp_le_i32_e64 s[20:21], v32, v98
	v_cmp_gt_i32_e64 s[16:17], v31, v99
	s_waitcnt lgkmcnt(0)
	v_cmp_lt_i64_e64 s[18:19], v[9:10], v[7:8]
                                        ; implicit-def: $vgpr11_vgpr12
	s_or_b64 s[18:19], s[20:21], s[18:19]
	s_and_b64 s[16:17], s[16:17], s[18:19]
	s_xor_b64 s[18:19], s[16:17], -1
	s_and_saveexec_b64 s[20:21], s[18:19]
	s_xor_b64 s[18:19], exec, s[20:21]
; %bb.79:                               ;   in Loop: Header=BB155_2 Depth=1
	ds_read_b64 v[11:12], v13 offset:8
                                        ; implicit-def: $vgpr15
; %bb.80:                               ;   in Loop: Header=BB155_2 Depth=1
	s_or_saveexec_b64 s[18:19], s[18:19]
	v_mov_b32_e32 v14, v10
	v_mov_b32_e32 v13, v9
	s_xor_b64 exec, exec, s[18:19]
	s_cbranch_execz .LBB155_82
; %bb.81:                               ;   in Loop: Header=BB155_2 Depth=1
	ds_read_b64 v[13:14], v15 offset:1544
	s_waitcnt lgkmcnt(1)
	v_mov_b32_e32 v12, v8
	v_mov_b32_e32 v11, v7
.LBB155_82:                             ;   in Loop: Header=BB155_2 Depth=1
	s_or_b64 exec, exec, s[18:19]
	v_add_u32_e32 v16, 1, v98
	v_add_u32_e32 v15, 1, v99
	v_cndmask_b32_e64 v101, v16, v98, s[16:17]
	s_waitcnt lgkmcnt(0)
	v_cmp_lt_i64_e64 s[20:21], v[13:14], v[11:12]
	v_cndmask_b32_e64 v100, v99, v15, s[16:17]
	v_cmp_ge_i32_e64 s[22:23], v101, v32
	v_cmp_lt_i32_e64 s[18:19], v100, v31
	s_or_b64 s[20:21], s[22:23], s[20:21]
	s_and_b64 s[18:19], s[18:19], s[20:21]
	s_xor_b64 s[20:21], s[18:19], -1
                                        ; implicit-def: $vgpr15_vgpr16
	s_and_saveexec_b64 s[22:23], s[20:21]
	s_xor_b64 s[20:21], exec, s[22:23]
; %bb.83:                               ;   in Loop: Header=BB155_2 Depth=1
	v_lshlrev_b32_e32 v15, 3, v101
	ds_read_b64 v[15:16], v15 offset:8
; %bb.84:                               ;   in Loop: Header=BB155_2 Depth=1
	s_or_saveexec_b64 s[20:21], s[20:21]
	v_mov_b32_e32 v18, v14
	v_mov_b32_e32 v17, v13
	s_xor_b64 exec, exec, s[20:21]
	s_cbranch_execz .LBB155_86
; %bb.85:                               ;   in Loop: Header=BB155_2 Depth=1
	s_waitcnt lgkmcnt(0)
	v_lshlrev_b32_e32 v15, 3, v100
	ds_read_b64 v[17:18], v15 offset:8
	v_mov_b32_e32 v16, v12
	v_mov_b32_e32 v15, v11
.LBB155_86:                             ;   in Loop: Header=BB155_2 Depth=1
	s_or_b64 exec, exec, s[20:21]
	v_cndmask_b32_e64 v12, v12, v14, s[18:19]
	v_cndmask_b32_e64 v11, v11, v13, s[18:19]
	v_add_u32_e32 v13, 1, v100
	v_add_u32_e32 v14, 1, v101
	v_cndmask_b32_e64 v13, v100, v13, s[18:19]
	v_cndmask_b32_e64 v14, v14, v101, s[18:19]
	v_cndmask_b32_e64 v100, v101, v100, s[18:19]
	s_waitcnt lgkmcnt(0)
	v_cmp_lt_i64_e64 s[18:19], v[17:18], v[15:16]
	v_cmp_ge_i32_e64 s[20:21], v14, v32
	v_cndmask_b32_e64 v8, v8, v10, s[16:17]
	v_cndmask_b32_e64 v7, v7, v9, s[16:17]
	;; [unrolled: 1-line block ×3, first 2 shown]
	v_cmp_lt_i32_e64 s[16:17], v13, v31
	s_or_b64 s[18:19], s[20:21], s[18:19]
	s_and_b64 s[16:17], s[16:17], s[18:19]
	v_cndmask_b32_e64 v13, v14, v13, s[16:17]
	s_barrier
	ds_write2_b64 v87, v[1:2], v[5:6] offset1:1
	ds_write_b64 v87, v[3:4] offset:16
	v_lshlrev_b32_e32 v1, 3, v98
	v_lshlrev_b32_e32 v3, 3, v100
	;; [unrolled: 1-line block ×3, first 2 shown]
	s_waitcnt lgkmcnt(0)
	s_barrier
	ds_read_b64 v[1:2], v1
	ds_read_b64 v[5:6], v3
	;; [unrolled: 1-line block ×3, first 2 shown]
	v_cndmask_b32_e64 v10, v16, v18, s[16:17]
	v_cndmask_b32_e64 v9, v15, v17, s[16:17]
	s_waitcnt lgkmcnt(0)
	s_barrier
	ds_write2_b64 v87, v[7:8], v[11:12] offset1:1
	ds_write_b64 v87, v[9:10] offset:16
	v_mov_b32_e32 v11, v78
	s_waitcnt lgkmcnt(0)
	s_barrier
	s_and_saveexec_b64 s[18:19], s[12:13]
	s_cbranch_execz .LBB155_90
; %bb.87:                               ;   in Loop: Header=BB155_2 Depth=1
	s_mov_b64 s[20:21], 0
	v_mov_b32_e32 v11, v78
	v_mov_b32_e32 v7, v79
.LBB155_88:                             ;   Parent Loop BB155_2 Depth=1
                                        ; =>  This Inner Loop Header: Depth=2
	v_sub_u32_e32 v8, v7, v11
	v_lshrrev_b32_e32 v8, 1, v8
	v_add_u32_e32 v10, v8, v11
	v_not_b32_e32 v9, v10
	v_lshl_add_u32 v8, v10, 3, v95
	v_lshl_add_u32 v12, v9, 3, v80
	ds_read_b64 v[8:9], v8
	ds_read_b64 v[12:13], v12 offset:3072
	v_add_u32_e32 v14, 1, v10
	s_waitcnt lgkmcnt(0)
	v_cmp_lt_i64_e64 s[16:17], v[12:13], v[8:9]
	v_cndmask_b32_e64 v7, v7, v10, s[16:17]
	v_cndmask_b32_e64 v11, v14, v11, s[16:17]
	v_cmp_ge_i32_e64 s[16:17], v11, v7
	s_or_b64 s[20:21], s[16:17], s[20:21]
	s_andn2_b64 exec, exec, s[20:21]
	s_cbranch_execnz .LBB155_88
; %bb.89:                               ;   in Loop: Header=BB155_2 Depth=1
	s_or_b64 exec, exec, s[20:21]
.LBB155_90:                             ;   in Loop: Header=BB155_2 Depth=1
	s_or_b64 exec, exec, s[18:19]
	v_lshl_add_u32 v13, v11, 3, v95
	v_sub_u32_e32 v7, v81, v11
	v_lshlrev_b32_e32 v15, 3, v7
	ds_read_b64 v[7:8], v13
	ds_read_b64 v[9:10], v15 offset:3072
	v_add_u32_e32 v98, v11, v77
	v_sub_u32_e32 v99, v82, v11
	v_cmp_le_i32_e64 s[20:21], v34, v98
	v_cmp_gt_i32_e64 s[16:17], v33, v99
	s_waitcnt lgkmcnt(0)
	v_cmp_lt_i64_e64 s[18:19], v[9:10], v[7:8]
                                        ; implicit-def: $vgpr11_vgpr12
	s_or_b64 s[18:19], s[20:21], s[18:19]
	s_and_b64 s[16:17], s[16:17], s[18:19]
	s_xor_b64 s[18:19], s[16:17], -1
	s_and_saveexec_b64 s[20:21], s[18:19]
	s_xor_b64 s[18:19], exec, s[20:21]
; %bb.91:                               ;   in Loop: Header=BB155_2 Depth=1
	ds_read_b64 v[11:12], v13 offset:8
                                        ; implicit-def: $vgpr15
; %bb.92:                               ;   in Loop: Header=BB155_2 Depth=1
	s_or_saveexec_b64 s[18:19], s[18:19]
	v_mov_b32_e32 v14, v10
	v_mov_b32_e32 v13, v9
	s_xor_b64 exec, exec, s[18:19]
	s_cbranch_execz .LBB155_94
; %bb.93:                               ;   in Loop: Header=BB155_2 Depth=1
	ds_read_b64 v[13:14], v15 offset:3080
	s_waitcnt lgkmcnt(1)
	v_mov_b32_e32 v12, v8
	v_mov_b32_e32 v11, v7
.LBB155_94:                             ;   in Loop: Header=BB155_2 Depth=1
	s_or_b64 exec, exec, s[18:19]
	v_add_u32_e32 v16, 1, v98
	v_add_u32_e32 v15, 1, v99
	v_cndmask_b32_e64 v101, v16, v98, s[16:17]
	s_waitcnt lgkmcnt(0)
	v_cmp_lt_i64_e64 s[20:21], v[13:14], v[11:12]
	v_cndmask_b32_e64 v100, v99, v15, s[16:17]
	v_cmp_ge_i32_e64 s[22:23], v101, v34
	v_cmp_lt_i32_e64 s[18:19], v100, v33
	s_or_b64 s[20:21], s[22:23], s[20:21]
	s_and_b64 s[18:19], s[18:19], s[20:21]
	s_xor_b64 s[20:21], s[18:19], -1
                                        ; implicit-def: $vgpr15_vgpr16
	s_and_saveexec_b64 s[22:23], s[20:21]
	s_xor_b64 s[20:21], exec, s[22:23]
; %bb.95:                               ;   in Loop: Header=BB155_2 Depth=1
	v_lshlrev_b32_e32 v15, 3, v101
	ds_read_b64 v[15:16], v15 offset:8
; %bb.96:                               ;   in Loop: Header=BB155_2 Depth=1
	s_or_saveexec_b64 s[20:21], s[20:21]
	v_mov_b32_e32 v18, v14
	v_mov_b32_e32 v17, v13
	s_xor_b64 exec, exec, s[20:21]
	s_cbranch_execz .LBB155_98
; %bb.97:                               ;   in Loop: Header=BB155_2 Depth=1
	s_waitcnt lgkmcnt(0)
	v_lshlrev_b32_e32 v15, 3, v100
	ds_read_b64 v[17:18], v15 offset:8
	v_mov_b32_e32 v16, v12
	v_mov_b32_e32 v15, v11
.LBB155_98:                             ;   in Loop: Header=BB155_2 Depth=1
	s_or_b64 exec, exec, s[20:21]
	v_cndmask_b32_e64 v12, v12, v14, s[18:19]
	v_cndmask_b32_e64 v11, v11, v13, s[18:19]
	v_add_u32_e32 v13, 1, v100
	v_add_u32_e32 v14, 1, v101
	v_cndmask_b32_e64 v13, v100, v13, s[18:19]
	v_cndmask_b32_e64 v14, v14, v101, s[18:19]
	;; [unrolled: 1-line block ×3, first 2 shown]
	s_waitcnt lgkmcnt(0)
	v_cmp_lt_i64_e64 s[18:19], v[17:18], v[15:16]
	v_cmp_ge_i32_e64 s[20:21], v14, v34
	v_cndmask_b32_e64 v8, v8, v10, s[16:17]
	v_cndmask_b32_e64 v7, v7, v9, s[16:17]
	;; [unrolled: 1-line block ×3, first 2 shown]
	v_cmp_lt_i32_e64 s[16:17], v13, v33
	s_or_b64 s[18:19], s[20:21], s[18:19]
	s_and_b64 s[16:17], s[16:17], s[18:19]
	v_cndmask_b32_e64 v13, v14, v13, s[16:17]
	s_barrier
	ds_write2_b64 v87, v[1:2], v[5:6] offset1:1
	ds_write_b64 v87, v[3:4] offset:16
	v_lshlrev_b32_e32 v1, 3, v98
	v_lshlrev_b32_e32 v3, 3, v100
	;; [unrolled: 1-line block ×3, first 2 shown]
	s_waitcnt lgkmcnt(0)
	s_barrier
	ds_read_b64 v[1:2], v1
	ds_read_b64 v[5:6], v3
	;; [unrolled: 1-line block ×3, first 2 shown]
	v_mov_b32_e32 v98, v85
	v_cndmask_b32_e64 v10, v16, v18, s[16:17]
	v_cndmask_b32_e64 v9, v15, v17, s[16:17]
	s_waitcnt lgkmcnt(0)
	s_barrier
	ds_write2_b64 v87, v[7:8], v[11:12] offset1:1
	ds_write_b64 v87, v[9:10] offset:16
	s_waitcnt lgkmcnt(0)
	s_barrier
	s_and_saveexec_b64 s[18:19], s[14:15]
	s_cbranch_execz .LBB155_102
; %bb.99:                               ;   in Loop: Header=BB155_2 Depth=1
	s_mov_b64 s[20:21], 0
	v_mov_b32_e32 v98, v85
	v_mov_b32_e32 v7, v86
.LBB155_100:                            ;   Parent Loop BB155_2 Depth=1
                                        ; =>  This Inner Loop Header: Depth=2
	v_sub_u32_e32 v8, v7, v98
	v_lshrrev_b32_e32 v8, 1, v8
	v_add_u32_e32 v12, v8, v98
	v_not_b32_e32 v9, v12
	v_lshlrev_b32_e32 v8, 3, v12
	v_lshl_add_u32 v10, v9, 3, v97
	ds_read_b64 v[8:9], v8
	ds_read_b64 v[10:11], v10 offset:6144
	v_add_u32_e32 v13, 1, v12
	s_waitcnt lgkmcnt(0)
	v_cmp_lt_i64_e64 s[16:17], v[10:11], v[8:9]
	v_cndmask_b32_e64 v7, v7, v12, s[16:17]
	v_cndmask_b32_e64 v98, v13, v98, s[16:17]
	v_cmp_ge_i32_e64 s[16:17], v98, v7
	s_or_b64 s[20:21], s[16:17], s[20:21]
	s_andn2_b64 exec, exec, s[20:21]
	s_cbranch_execnz .LBB155_100
; %bb.101:                              ;   in Loop: Header=BB155_2 Depth=1
	s_or_b64 exec, exec, s[20:21]
.LBB155_102:                            ;   in Loop: Header=BB155_2 Depth=1
	s_or_b64 exec, exec, s[18:19]
	v_lshlrev_b32_e32 v11, 3, v98
	v_sub_u32_e32 v7, v84, v98
	v_lshlrev_b32_e32 v15, 3, v7
	ds_read_b64 v[7:8], v11
	ds_read_b64 v[13:14], v15 offset:6144
	v_sub_u32_e32 v99, v96, v98
	v_cmp_le_i32_e64 s[20:21], v83, v98
	v_cmp_gt_i32_e64 s[16:17], s33, v99
                                        ; implicit-def: $vgpr9_vgpr10
	s_waitcnt lgkmcnt(0)
	v_cmp_lt_i64_e64 s[18:19], v[13:14], v[7:8]
	s_or_b64 s[18:19], s[20:21], s[18:19]
	s_and_b64 s[16:17], s[16:17], s[18:19]
	s_xor_b64 s[18:19], s[16:17], -1
	s_and_saveexec_b64 s[20:21], s[18:19]
	s_xor_b64 s[18:19], exec, s[20:21]
; %bb.103:                              ;   in Loop: Header=BB155_2 Depth=1
	ds_read_b64 v[9:10], v11 offset:8
                                        ; implicit-def: $vgpr15
; %bb.104:                              ;   in Loop: Header=BB155_2 Depth=1
	s_or_saveexec_b64 s[18:19], s[18:19]
	v_mov_b32_e32 v11, v13
	v_mov_b32_e32 v12, v14
	s_xor_b64 exec, exec, s[18:19]
	s_cbranch_execz .LBB155_106
; %bb.105:                              ;   in Loop: Header=BB155_2 Depth=1
	ds_read_b64 v[11:12], v15 offset:6152
	s_waitcnt lgkmcnt(1)
	v_mov_b32_e32 v10, v8
	v_mov_b32_e32 v9, v7
.LBB155_106:                            ;   in Loop: Header=BB155_2 Depth=1
	s_or_b64 exec, exec, s[18:19]
	v_add_u32_e32 v16, 1, v98
	v_add_u32_e32 v15, 1, v99
	v_cndmask_b32_e64 v103, v16, v98, s[16:17]
	s_waitcnt lgkmcnt(0)
	v_cmp_lt_i64_e64 s[20:21], v[11:12], v[9:10]
	v_cndmask_b32_e64 v100, v99, v15, s[16:17]
	v_cmp_ge_i32_e64 s[22:23], v103, v83
	v_cmp_gt_i32_e64 s[18:19], s33, v100
	s_or_b64 s[20:21], s[22:23], s[20:21]
	s_and_b64 s[18:19], s[18:19], s[20:21]
	s_xor_b64 s[20:21], s[18:19], -1
                                        ; implicit-def: $vgpr15_vgpr16
                                        ; implicit-def: $vgpr102
	s_and_saveexec_b64 s[22:23], s[20:21]
	s_xor_b64 s[20:21], exec, s[22:23]
; %bb.107:                              ;   in Loop: Header=BB155_2 Depth=1
	v_lshlrev_b32_e32 v15, 3, v103
	ds_read_b64 v[15:16], v15 offset:8
	v_add_u32_e32 v102, 1, v103
; %bb.108:                              ;   in Loop: Header=BB155_2 Depth=1
	s_or_saveexec_b64 s[20:21], s[20:21]
	v_mov_b32_e32 v18, v12
	v_mov_b32_e32 v101, v103
	;; [unrolled: 1-line block ×3, first 2 shown]
	s_xor_b64 exec, exec, s[20:21]
	s_cbranch_execz .LBB155_1
; %bb.109:                              ;   in Loop: Header=BB155_2 Depth=1
	s_waitcnt lgkmcnt(0)
	v_lshlrev_b32_e32 v16, 3, v100
	ds_read_b64 v[17:18], v16 offset:8
	v_add_u32_e32 v15, 1, v100
	v_mov_b32_e32 v101, v100
	v_mov_b32_e32 v100, v15
	;; [unrolled: 1-line block ×5, first 2 shown]
	s_branch .LBB155_1
.LBB155_110:
	s_waitcnt lgkmcnt(2)
	v_add_co_u32_e32 v5, vcc, v7, v5
	v_addc_co_u32_e32 v6, vcc, v8, v6, vcc
	s_waitcnt lgkmcnt(1)
	v_add_co_u32_e32 v3, vcc, v9, v3
	v_addc_co_u32_e32 v4, vcc, v10, v4, vcc
	s_waitcnt lgkmcnt(0)
	v_add_co_u32_e32 v1, vcc, v11, v1
	s_add_u32 s0, s30, s34
	v_addc_co_u32_e32 v2, vcc, v12, v2, vcc
	s_addc_u32 s1, s31, s35
	v_lshlrev_b32_e32 v0, 3, v0
	v_mov_b32_e32 v7, s1
	v_add_co_u32_e32 v8, vcc, s0, v0
	v_addc_co_u32_e32 v7, vcc, 0, v7, vcc
	global_store_dwordx2 v0, v[5:6], s[0:1]
	v_add_co_u32_e32 v5, vcc, 0x1000, v8
	v_addc_co_u32_e32 v6, vcc, 0, v7, vcc
	global_store_dwordx2 v[5:6], v[3:4], off
	v_add_co_u32_e32 v3, vcc, 0x2000, v8
	v_addc_co_u32_e32 v4, vcc, 0, v7, vcc
	global_store_dwordx2 v[3:4], v[1:2], off
	s_endpgm
	.section	.rodata,"a",@progbits
	.p2align	6, 0x0
	.amdhsa_kernel _Z17sort_pairs_kernelIxLj512ELj3EN10test_utils4lessELj10EEvPKT_PS2_T2_
		.amdhsa_group_segment_fixed_size 12296
		.amdhsa_private_segment_fixed_size 0
		.amdhsa_kernarg_size 20
		.amdhsa_user_sgpr_count 6
		.amdhsa_user_sgpr_private_segment_buffer 1
		.amdhsa_user_sgpr_dispatch_ptr 0
		.amdhsa_user_sgpr_queue_ptr 0
		.amdhsa_user_sgpr_kernarg_segment_ptr 1
		.amdhsa_user_sgpr_dispatch_id 0
		.amdhsa_user_sgpr_flat_scratch_init 0
		.amdhsa_user_sgpr_private_segment_size 0
		.amdhsa_uses_dynamic_stack 0
		.amdhsa_system_sgpr_private_segment_wavefront_offset 0
		.amdhsa_system_sgpr_workgroup_id_x 1
		.amdhsa_system_sgpr_workgroup_id_y 0
		.amdhsa_system_sgpr_workgroup_id_z 0
		.amdhsa_system_sgpr_workgroup_info 0
		.amdhsa_system_vgpr_workitem_id 0
		.amdhsa_next_free_vgpr 104
		.amdhsa_next_free_sgpr 38
		.amdhsa_reserve_vcc 1
		.amdhsa_reserve_flat_scratch 0
		.amdhsa_float_round_mode_32 0
		.amdhsa_float_round_mode_16_64 0
		.amdhsa_float_denorm_mode_32 3
		.amdhsa_float_denorm_mode_16_64 3
		.amdhsa_dx10_clamp 1
		.amdhsa_ieee_mode 1
		.amdhsa_fp16_overflow 0
		.amdhsa_exception_fp_ieee_invalid_op 0
		.amdhsa_exception_fp_denorm_src 0
		.amdhsa_exception_fp_ieee_div_zero 0
		.amdhsa_exception_fp_ieee_overflow 0
		.amdhsa_exception_fp_ieee_underflow 0
		.amdhsa_exception_fp_ieee_inexact 0
		.amdhsa_exception_int_div_zero 0
	.end_amdhsa_kernel
	.section	.text._Z17sort_pairs_kernelIxLj512ELj3EN10test_utils4lessELj10EEvPKT_PS2_T2_,"axG",@progbits,_Z17sort_pairs_kernelIxLj512ELj3EN10test_utils4lessELj10EEvPKT_PS2_T2_,comdat
.Lfunc_end155:
	.size	_Z17sort_pairs_kernelIxLj512ELj3EN10test_utils4lessELj10EEvPKT_PS2_T2_, .Lfunc_end155-_Z17sort_pairs_kernelIxLj512ELj3EN10test_utils4lessELj10EEvPKT_PS2_T2_
                                        ; -- End function
	.set _Z17sort_pairs_kernelIxLj512ELj3EN10test_utils4lessELj10EEvPKT_PS2_T2_.num_vgpr, 104
	.set _Z17sort_pairs_kernelIxLj512ELj3EN10test_utils4lessELj10EEvPKT_PS2_T2_.num_agpr, 0
	.set _Z17sort_pairs_kernelIxLj512ELj3EN10test_utils4lessELj10EEvPKT_PS2_T2_.numbered_sgpr, 38
	.set _Z17sort_pairs_kernelIxLj512ELj3EN10test_utils4lessELj10EEvPKT_PS2_T2_.num_named_barrier, 0
	.set _Z17sort_pairs_kernelIxLj512ELj3EN10test_utils4lessELj10EEvPKT_PS2_T2_.private_seg_size, 0
	.set _Z17sort_pairs_kernelIxLj512ELj3EN10test_utils4lessELj10EEvPKT_PS2_T2_.uses_vcc, 1
	.set _Z17sort_pairs_kernelIxLj512ELj3EN10test_utils4lessELj10EEvPKT_PS2_T2_.uses_flat_scratch, 0
	.set _Z17sort_pairs_kernelIxLj512ELj3EN10test_utils4lessELj10EEvPKT_PS2_T2_.has_dyn_sized_stack, 0
	.set _Z17sort_pairs_kernelIxLj512ELj3EN10test_utils4lessELj10EEvPKT_PS2_T2_.has_recursion, 0
	.set _Z17sort_pairs_kernelIxLj512ELj3EN10test_utils4lessELj10EEvPKT_PS2_T2_.has_indirect_call, 0
	.section	.AMDGPU.csdata,"",@progbits
; Kernel info:
; codeLenInByte = 7252
; TotalNumSgprs: 42
; NumVgprs: 104
; ScratchSize: 0
; MemoryBound: 0
; FloatMode: 240
; IeeeMode: 1
; LDSByteSize: 12296 bytes/workgroup (compile time only)
; SGPRBlocks: 5
; VGPRBlocks: 25
; NumSGPRsForWavesPerEU: 42
; NumVGPRsForWavesPerEU: 104
; Occupancy: 2
; WaveLimiterHint : 1
; COMPUTE_PGM_RSRC2:SCRATCH_EN: 0
; COMPUTE_PGM_RSRC2:USER_SGPR: 6
; COMPUTE_PGM_RSRC2:TRAP_HANDLER: 0
; COMPUTE_PGM_RSRC2:TGID_X_EN: 1
; COMPUTE_PGM_RSRC2:TGID_Y_EN: 0
; COMPUTE_PGM_RSRC2:TGID_Z_EN: 0
; COMPUTE_PGM_RSRC2:TIDIG_COMP_CNT: 0
	.section	.text._Z16sort_keys_kernelIxLj512ELj4EN10test_utils4lessELj10EEvPKT_PS2_T2_,"axG",@progbits,_Z16sort_keys_kernelIxLj512ELj4EN10test_utils4lessELj10EEvPKT_PS2_T2_,comdat
	.protected	_Z16sort_keys_kernelIxLj512ELj4EN10test_utils4lessELj10EEvPKT_PS2_T2_ ; -- Begin function _Z16sort_keys_kernelIxLj512ELj4EN10test_utils4lessELj10EEvPKT_PS2_T2_
	.globl	_Z16sort_keys_kernelIxLj512ELj4EN10test_utils4lessELj10EEvPKT_PS2_T2_
	.p2align	8
	.type	_Z16sort_keys_kernelIxLj512ELj4EN10test_utils4lessELj10EEvPKT_PS2_T2_,@function
_Z16sort_keys_kernelIxLj512ELj4EN10test_utils4lessELj10EEvPKT_PS2_T2_: ; @_Z16sort_keys_kernelIxLj512ELj4EN10test_utils4lessELj10EEvPKT_PS2_T2_
; %bb.0:
	s_load_dwordx4 s[24:27], s[4:5], 0x0
	s_lshl_b32 s28, s6, 11
	s_mov_b32 s29, 0
	s_lshl_b64 s[30:31], s[28:29], 3
	v_lshlrev_b32_e32 v13, 3, v0
	s_waitcnt lgkmcnt(0)
	s_add_u32 s0, s24, s30
	s_addc_u32 s1, s25, s31
	v_mov_b32_e32 v1, s1
	v_add_co_u32_e32 v2, vcc, s0, v13
	v_addc_co_u32_e32 v1, vcc, 0, v1, vcc
	s_movk_i32 s2, 0x2000
	v_add_co_u32_e32 v9, vcc, s2, v2
	v_addc_co_u32_e32 v10, vcc, 0, v1, vcc
	s_movk_i32 s2, 0x3000
	v_add_co_u32_e32 v11, vcc, s2, v2
	v_addc_co_u32_e32 v12, vcc, 0, v1, vcc
	global_load_dwordx2 v[5:6], v[9:10], off offset:-4096
	global_load_dwordx2 v[1:2], v[9:10], off
	global_load_dwordx2 v[3:4], v[11:12], off
	global_load_dwordx2 v[7:8], v13, s[0:1]
	v_lshlrev_b32_e32 v14, 2, v0
	v_and_b32_e32 v40, 0x7f8, v14
	v_or_b32_e32 v41, 4, v40
	v_add_u32_e32 v42, 8, v40
	v_and_b32_e32 v19, 0x7f0, v14
	v_and_b32_e32 v22, 0x7e0, v14
	;; [unrolled: 1-line block ×3, first 2 shown]
	v_sub_u32_e32 v43, v42, v41
	v_or_b32_e32 v20, 8, v19
	v_or_b32_e32 v23, 16, v22
	v_add_u32_e32 v24, 32, v22
	v_and_b32_e32 v25, 0x7c0, v14
	v_sub_u32_e32 v44, v64, v43
	v_cmp_ge_i32_e32 vcc, v64, v43
	v_sub_u32_e32 v9, v41, v40
	v_and_b32_e32 v15, 12, v14
	v_and_b32_e32 v18, 28, v14
	v_sub_u32_e32 v47, v24, v23
	v_or_b32_e32 v26, 32, v25
	v_add_u32_e32 v27, 64, v25
	v_and_b32_e32 v28, 0x780, v14
	v_cndmask_b32_e32 v43, 0, v44, vcc
	v_min_i32_e32 v44, v64, v9
	v_sub_u32_e32 v9, v20, v19
	v_sub_u32_e32 v48, v18, v47
	v_and_b32_e32 v70, 60, v14
	v_sub_u32_e32 v49, v27, v26
	v_or_b32_e32 v29, 64, v28
	v_add_u32_e32 v30, 0x80, v28
	v_and_b32_e32 v31, 0x700, v14
	v_min_i32_e32 v46, v15, v9
	v_cmp_ge_i32_e64 s[2:3], v18, v47
	v_sub_u32_e32 v9, v23, v22
	v_sub_u32_e32 v50, v70, v49
	v_and_b32_e32 v72, 0x7c, v14
	v_sub_u32_e32 v51, v30, v29
	v_or_b32_e32 v32, 0x80, v31
	v_add_u32_e32 v33, 0x100, v31
	v_and_b32_e32 v34, 0x600, v14
	v_cndmask_b32_e64 v47, 0, v48, s[2:3]
	v_min_i32_e32 v48, v18, v9
	v_cmp_ge_i32_e64 s[4:5], v70, v49
	v_sub_u32_e32 v9, v26, v25
	v_sub_u32_e32 v52, v72, v51
	v_and_b32_e32 v74, 0xfc, v14
	v_sub_u32_e32 v53, v33, v32
	v_or_b32_e32 v35, 0x100, v34
	v_add_u32_e32 v36, 0x200, v34
	v_and_b32_e32 v37, 0x400, v14
	v_cndmask_b32_e64 v49, 0, v50, s[4:5]
	v_min_i32_e32 v50, v70, v9
	v_cmp_ge_i32_e64 s[6:7], v72, v51
	v_sub_u32_e32 v9, v29, v28
	v_sub_u32_e32 v54, v74, v53
	v_and_b32_e32 v76, 0x1fc, v14
	v_sub_u32_e32 v55, v36, v35
	v_or_b32_e32 v38, 0x200, v37
	v_add_u32_e32 v39, 0x400, v37
	v_cndmask_b32_e64 v51, 0, v52, s[6:7]
	v_min_i32_e32 v52, v72, v9
	v_cmp_ge_i32_e64 s[8:9], v74, v53
	v_sub_u32_e32 v9, v32, v31
	v_sub_u32_e32 v56, v76, v55
	v_and_b32_e32 v78, 0x3fc, v14
	v_sub_u32_e32 v57, v39, v38
	v_cndmask_b32_e64 v53, 0, v54, s[8:9]
	v_min_i32_e32 v54, v74, v9
	v_cmp_ge_i32_e64 s[10:11], v76, v55
	v_sub_u32_e32 v9, v35, v34
	v_sub_u32_e32 v58, v78, v57
	v_cndmask_b32_e64 v55, 0, v56, s[10:11]
	v_min_i32_e32 v56, v76, v9
	v_cmp_ge_i32_e64 s[12:13], v78, v57
	v_sub_u32_e32 v9, v38, v37
	v_cndmask_b32_e64 v57, 0, v58, s[12:13]
	v_min_i32_e32 v58, v78, v9
	v_lshlrev_b32_e32 v9, 3, v64
	v_add_u32_e32 v63, v41, v64
	v_lshl_add_u32 v64, v41, 3, v9
	v_lshlrev_b32_e32 v9, 3, v15
	v_lshl_add_u32 v66, v20, 3, v9
	v_lshlrev_b32_e32 v9, 3, v18
	;; [unrolled: 2-line block ×3, first 2 shown]
	v_add_u32_e32 v21, 16, v19
	v_add_u32_e32 v69, v26, v70
	v_lshl_add_u32 v70, v26, 3, v9
	v_lshlrev_b32_e32 v9, 3, v72
	v_sub_u32_e32 v16, v21, v20
	v_add_u32_e32 v71, v29, v72
	v_lshl_add_u32 v72, v29, 3, v9
	v_lshlrev_b32_e32 v9, 3, v74
	v_sub_u32_e32 v17, v15, v16
	v_cmp_ge_i32_e64 s[0:1], v15, v16
	v_mov_b32_e32 v59, 0x400
	v_add_u32_e32 v73, v32, v74
	v_lshl_add_u32 v74, v32, 3, v9
	v_lshlrev_b32_e32 v9, 3, v76
	v_cndmask_b32_e64 v45, 0, v17, s[0:1]
	v_sub_u32_e64 v60, v14, v59 clamp
	v_min_i32_e32 v61, 0x400, v14
	v_add_u32_e32 v75, v35, v76
	v_lshl_add_u32 v76, v35, 3, v9
	v_lshlrev_b32_e32 v9, 3, v78
	v_lshlrev_b32_e32 v79, 5, v0
	v_cmp_lt_i32_e32 vcc, v43, v44
	v_cmp_lt_i32_e64 s[0:1], v45, v46
	v_cmp_lt_i32_e64 s[2:3], v47, v48
	;; [unrolled: 1-line block ×8, first 2 shown]
	v_add_u32_e32 v62, 0x400, v14
	v_add_u32_e32 v65, v20, v15
	;; [unrolled: 1-line block ×4, first 2 shown]
	v_lshl_add_u32 v78, v38, 3, v9
	s_movk_i32 s28, 0x800
	v_lshlrev_b32_e32 v80, 3, v40
	v_lshlrev_b32_e32 v81, 3, v19
	;; [unrolled: 1-line block ×8, first 2 shown]
	v_add_u32_e32 v88, 0x2000, v79
	s_branch .LBB156_2
.LBB156_1:                              ;   in Loop: Header=BB156_2 Depth=1
	s_or_b64 exec, exec, s[22:23]
	v_cndmask_b32_e64 v6, v6, v10, s[18:19]
	v_cndmask_b32_e64 v5, v5, v9, s[18:19]
	s_waitcnt lgkmcnt(0)
	v_cmp_lt_i64_e64 s[18:19], v[17:18], v[15:16]
	v_cndmask_b32_e64 v8, v2, v4, s[16:17]
	v_cndmask_b32_e64 v7, v1, v3, s[16:17]
	;; [unrolled: 1-line block ×4, first 2 shown]
	v_cmp_ge_i32_e64 s[20:21], v90, v59
	v_cmp_gt_i32_e64 s[16:17], s28, v89
	s_or_b64 s[18:19], s[20:21], s[18:19]
	s_and_b64 s[16:17], s[16:17], s[18:19]
	s_add_i32 s29, s29, 1
	v_cndmask_b32_e64 v4, v16, v18, s[16:17]
	s_cmp_eq_u32 s29, 10
	v_cndmask_b32_e64 v3, v15, v17, s[16:17]
	s_cbranch_scc1 .LBB156_146
.LBB156_2:                              ; =>This Loop Header: Depth=1
                                        ;     Child Loop BB156_4 Depth 2
                                        ;     Child Loop BB156_20 Depth 2
	;; [unrolled: 1-line block ×9, first 2 shown]
	s_waitcnt vmcnt(0)
	v_cmp_lt_i64_e64 s[16:17], v[5:6], v[7:8]
	v_cmp_gt_i64_e64 s[18:19], v[5:6], v[7:8]
	v_cndmask_b32_e64 v10, v8, v6, s[16:17]
	v_cndmask_b32_e64 v9, v7, v5, s[16:17]
	v_cndmask_b32_e64 v11, v5, v7, s[16:17]
	v_cndmask_b32_e64 v12, v6, v8, s[16:17]
	v_cmp_lt_i64_e64 s[16:17], v[3:4], v[1:2]
	v_cndmask_b32_e64 v6, v8, v6, s[18:19]
	v_cndmask_b32_e64 v5, v7, v5, s[18:19]
	v_cmp_gt_i64_e64 s[18:19], v[3:4], v[1:2]
	v_cndmask_b32_e64 v8, v2, v4, s[16:17]
	v_cndmask_b32_e64 v7, v1, v3, s[16:17]
	v_cndmask_b32_e64 v13, v3, v1, s[16:17]
	v_cndmask_b32_e64 v14, v4, v2, s[16:17]
	v_cndmask_b32_e64 v2, v2, v4, s[18:19]
	v_cmp_lt_i64_e64 s[16:17], v[7:8], v[5:6]
	v_cndmask_b32_e64 v1, v1, v3, s[18:19]
	v_cmp_gt_i64_e64 s[18:19], v[7:8], v[5:6]
	v_cndmask_b32_e64 v15, v8, v6, s[16:17]
	v_cndmask_b32_e64 v16, v7, v5, s[16:17]
	;; [unrolled: 1-line block ×7, first 2 shown]
	v_cmp_lt_i64_e64 s[18:19], v[7:8], v[9:10]
	v_cndmask_b32_e64 v7, v6, v8, s[16:17]
	v_cmp_gt_i64_e64 s[16:17], v[5:6], v[1:2]
	v_cndmask_b32_e64 v4, v10, v7, s[18:19]
	v_cndmask_b32_e64 v90, v11, v9, s[18:19]
	v_cndmask_b32_e64 v12, v12, v10, s[18:19]
	v_cndmask_b32_e64 v7, v7, v10, s[18:19]
	v_cndmask_b32_e64 v6, v89, v9, s[18:19]
	v_cndmask_b32_e64 v11, v18, v2, s[16:17]
	v_cndmask_b32_e64 v10, v17, v1, s[16:17]
	v_cndmask_b32_e64 v3, v9, v89, s[18:19]
	v_cmp_lt_i64_e64 s[18:19], v[10:11], v[6:7]
	v_cndmask_b32_e64 v5, v16, v1, s[16:17]
	v_cndmask_b32_e64 v1, v15, v2, s[16:17]
	;; [unrolled: 1-line block ×8, first 2 shown]
	s_barrier
	ds_write2_b64 v79, v[3:4], v[5:6] offset1:1
	ds_write2_b64 v79, v[1:2], v[8:9] offset0:2 offset1:3
	v_mov_b32_e32 v5, v43
	s_waitcnt lgkmcnt(0)
	s_barrier
	s_and_saveexec_b64 s[18:19], vcc
	s_cbranch_execz .LBB156_6
; %bb.3:                                ;   in Loop: Header=BB156_2 Depth=1
	s_mov_b64 s[20:21], 0
	v_mov_b32_e32 v5, v43
	v_mov_b32_e32 v1, v44
.LBB156_4:                              ;   Parent Loop BB156_2 Depth=1
                                        ; =>  This Inner Loop Header: Depth=2
	v_sub_u32_e32 v2, v1, v5
	v_lshrrev_b32_e32 v2, 1, v2
	v_add_u32_e32 v4, v2, v5
	v_not_b32_e32 v3, v4
	v_lshl_add_u32 v2, v4, 3, v80
	v_lshl_add_u32 v6, v3, 3, v64
	ds_read_b64 v[2:3], v2
	ds_read_b64 v[6:7], v6
	v_add_u32_e32 v8, 1, v4
	s_waitcnt lgkmcnt(0)
	v_cmp_lt_i64_e64 s[16:17], v[6:7], v[2:3]
	v_cndmask_b32_e64 v1, v1, v4, s[16:17]
	v_cndmask_b32_e64 v5, v8, v5, s[16:17]
	v_cmp_ge_i32_e64 s[16:17], v5, v1
	s_or_b64 s[20:21], s[16:17], s[20:21]
	s_andn2_b64 exec, exec, s[20:21]
	s_cbranch_execnz .LBB156_4
; %bb.5:                                ;   in Loop: Header=BB156_2 Depth=1
	s_or_b64 exec, exec, s[20:21]
.LBB156_6:                              ;   in Loop: Header=BB156_2 Depth=1
	s_or_b64 exec, exec, s[18:19]
	v_sub_u32_e32 v9, v63, v5
	v_lshl_add_u32 v7, v5, 3, v80
	v_lshlrev_b32_e32 v11, 3, v9
	ds_read_b64 v[1:2], v7
	ds_read_b64 v[3:4], v11
	v_add_u32_e32 v10, v5, v40
	v_cmp_le_i32_e64 s[20:21], v41, v10
	v_cmp_gt_i32_e64 s[16:17], v42, v9
                                        ; implicit-def: $vgpr5_vgpr6
	s_waitcnt lgkmcnt(0)
	v_cmp_lt_i64_e64 s[18:19], v[3:4], v[1:2]
	s_or_b64 s[18:19], s[20:21], s[18:19]
	s_and_b64 s[16:17], s[16:17], s[18:19]
	s_xor_b64 s[18:19], s[16:17], -1
	s_and_saveexec_b64 s[20:21], s[18:19]
	s_xor_b64 s[18:19], exec, s[20:21]
; %bb.7:                                ;   in Loop: Header=BB156_2 Depth=1
	ds_read_b64 v[5:6], v7 offset:8
                                        ; implicit-def: $vgpr11
; %bb.8:                                ;   in Loop: Header=BB156_2 Depth=1
	s_or_saveexec_b64 s[18:19], s[18:19]
	v_mov_b32_e32 v8, v4
	v_mov_b32_e32 v7, v3
	s_xor_b64 exec, exec, s[18:19]
	s_cbranch_execz .LBB156_10
; %bb.9:                                ;   in Loop: Header=BB156_2 Depth=1
	ds_read_b64 v[7:8], v11 offset:8
	s_waitcnt lgkmcnt(1)
	v_mov_b32_e32 v6, v2
	v_mov_b32_e32 v5, v1
.LBB156_10:                             ;   in Loop: Header=BB156_2 Depth=1
	s_or_b64 exec, exec, s[18:19]
	v_add_u32_e32 v12, 1, v10
	v_add_u32_e32 v11, 1, v9
	v_cndmask_b32_e64 v14, v12, v10, s[16:17]
	s_waitcnt lgkmcnt(0)
	v_cmp_lt_i64_e64 s[20:21], v[7:8], v[5:6]
	v_cndmask_b32_e64 v13, v9, v11, s[16:17]
	v_cmp_ge_i32_e64 s[22:23], v14, v41
	v_cmp_lt_i32_e64 s[18:19], v13, v42
	s_or_b64 s[20:21], s[22:23], s[20:21]
	s_and_b64 s[18:19], s[18:19], s[20:21]
	s_xor_b64 s[20:21], s[18:19], -1
                                        ; implicit-def: $vgpr9_vgpr10
	s_and_saveexec_b64 s[22:23], s[20:21]
	s_xor_b64 s[20:21], exec, s[22:23]
; %bb.11:                               ;   in Loop: Header=BB156_2 Depth=1
	v_lshlrev_b32_e32 v9, 3, v14
	ds_read_b64 v[9:10], v9 offset:8
; %bb.12:                               ;   in Loop: Header=BB156_2 Depth=1
	s_or_saveexec_b64 s[20:21], s[20:21]
	v_mov_b32_e32 v12, v8
	v_mov_b32_e32 v11, v7
	s_xor_b64 exec, exec, s[20:21]
	s_cbranch_execz .LBB156_14
; %bb.13:                               ;   in Loop: Header=BB156_2 Depth=1
	s_waitcnt lgkmcnt(0)
	v_lshlrev_b32_e32 v9, 3, v13
	ds_read_b64 v[11:12], v9 offset:8
	v_mov_b32_e32 v10, v6
	v_mov_b32_e32 v9, v5
.LBB156_14:                             ;   in Loop: Header=BB156_2 Depth=1
	s_or_b64 exec, exec, s[20:21]
	v_add_u32_e32 v16, 1, v14
	v_add_u32_e32 v15, 1, v13
	v_cndmask_b32_e64 v18, v16, v14, s[18:19]
	s_waitcnt lgkmcnt(0)
	v_cmp_lt_i64_e64 s[22:23], v[11:12], v[9:10]
	v_cndmask_b32_e64 v17, v13, v15, s[18:19]
	v_cmp_ge_i32_e64 s[24:25], v18, v41
	v_cmp_lt_i32_e64 s[20:21], v17, v42
	s_or_b64 s[22:23], s[24:25], s[22:23]
	s_and_b64 s[20:21], s[20:21], s[22:23]
	s_xor_b64 s[22:23], s[20:21], -1
                                        ; implicit-def: $vgpr13_vgpr14
	s_and_saveexec_b64 s[24:25], s[22:23]
	s_xor_b64 s[22:23], exec, s[24:25]
; %bb.15:                               ;   in Loop: Header=BB156_2 Depth=1
	v_lshlrev_b32_e32 v13, 3, v18
	ds_read_b64 v[13:14], v13 offset:8
; %bb.16:                               ;   in Loop: Header=BB156_2 Depth=1
	s_or_saveexec_b64 s[22:23], s[22:23]
	v_mov_b32_e32 v16, v12
	v_mov_b32_e32 v15, v11
	s_xor_b64 exec, exec, s[22:23]
	s_cbranch_execz .LBB156_18
; %bb.17:                               ;   in Loop: Header=BB156_2 Depth=1
	s_waitcnt lgkmcnt(0)
	v_lshlrev_b32_e32 v13, 3, v17
	ds_read_b64 v[15:16], v13 offset:8
	v_mov_b32_e32 v14, v10
	v_mov_b32_e32 v13, v9
.LBB156_18:                             ;   in Loop: Header=BB156_2 Depth=1
	s_or_b64 exec, exec, s[22:23]
	v_cndmask_b32_e64 v10, v10, v12, s[20:21]
	v_add_u32_e32 v12, 1, v18
	v_cndmask_b32_e64 v9, v9, v11, s[20:21]
	v_add_u32_e32 v11, 1, v17
	v_cndmask_b32_e64 v12, v12, v18, s[20:21]
	v_cndmask_b32_e64 v6, v6, v8, s[18:19]
	;; [unrolled: 1-line block ×3, first 2 shown]
	s_waitcnt lgkmcnt(0)
	v_cmp_lt_i64_e64 s[18:19], v[15:16], v[13:14]
	v_cndmask_b32_e64 v11, v17, v11, s[20:21]
	v_cmp_ge_i32_e64 s[20:21], v12, v41
	v_cndmask_b32_e64 v2, v2, v4, s[16:17]
	v_cndmask_b32_e64 v1, v1, v3, s[16:17]
	v_cmp_lt_i32_e64 s[16:17], v11, v42
	s_or_b64 s[18:19], s[20:21], s[18:19]
	s_and_b64 s[16:17], s[16:17], s[18:19]
	v_cndmask_b32_e64 v4, v14, v16, s[16:17]
	v_cndmask_b32_e64 v3, v13, v15, s[16:17]
	s_barrier
	ds_write2_b64 v79, v[1:2], v[5:6] offset1:1
	ds_write2_b64 v79, v[9:10], v[3:4] offset0:2 offset1:3
	v_mov_b32_e32 v5, v45
	s_waitcnt lgkmcnt(0)
	s_barrier
	s_and_saveexec_b64 s[18:19], s[0:1]
	s_cbranch_execz .LBB156_22
; %bb.19:                               ;   in Loop: Header=BB156_2 Depth=1
	s_mov_b64 s[20:21], 0
	v_mov_b32_e32 v5, v45
	v_mov_b32_e32 v1, v46
.LBB156_20:                             ;   Parent Loop BB156_2 Depth=1
                                        ; =>  This Inner Loop Header: Depth=2
	v_sub_u32_e32 v2, v1, v5
	v_lshrrev_b32_e32 v2, 1, v2
	v_add_u32_e32 v4, v2, v5
	v_not_b32_e32 v3, v4
	v_lshl_add_u32 v2, v4, 3, v81
	v_lshl_add_u32 v6, v3, 3, v66
	ds_read_b64 v[2:3], v2
	ds_read_b64 v[6:7], v6
	v_add_u32_e32 v8, 1, v4
	s_waitcnt lgkmcnt(0)
	v_cmp_lt_i64_e64 s[16:17], v[6:7], v[2:3]
	v_cndmask_b32_e64 v1, v1, v4, s[16:17]
	v_cndmask_b32_e64 v5, v8, v5, s[16:17]
	v_cmp_ge_i32_e64 s[16:17], v5, v1
	s_or_b64 s[20:21], s[16:17], s[20:21]
	s_andn2_b64 exec, exec, s[20:21]
	s_cbranch_execnz .LBB156_20
; %bb.21:                               ;   in Loop: Header=BB156_2 Depth=1
	s_or_b64 exec, exec, s[20:21]
.LBB156_22:                             ;   in Loop: Header=BB156_2 Depth=1
	s_or_b64 exec, exec, s[18:19]
	v_sub_u32_e32 v9, v65, v5
	v_lshl_add_u32 v7, v5, 3, v81
	v_lshlrev_b32_e32 v11, 3, v9
	ds_read_b64 v[1:2], v7
	ds_read_b64 v[3:4], v11
	v_add_u32_e32 v10, v5, v19
	v_cmp_le_i32_e64 s[20:21], v20, v10
	v_cmp_gt_i32_e64 s[16:17], v21, v9
                                        ; implicit-def: $vgpr5_vgpr6
	s_waitcnt lgkmcnt(0)
	v_cmp_lt_i64_e64 s[18:19], v[3:4], v[1:2]
	s_or_b64 s[18:19], s[20:21], s[18:19]
	s_and_b64 s[16:17], s[16:17], s[18:19]
	s_xor_b64 s[18:19], s[16:17], -1
	s_and_saveexec_b64 s[20:21], s[18:19]
	s_xor_b64 s[18:19], exec, s[20:21]
; %bb.23:                               ;   in Loop: Header=BB156_2 Depth=1
	ds_read_b64 v[5:6], v7 offset:8
                                        ; implicit-def: $vgpr11
; %bb.24:                               ;   in Loop: Header=BB156_2 Depth=1
	s_or_saveexec_b64 s[18:19], s[18:19]
	v_mov_b32_e32 v8, v4
	v_mov_b32_e32 v7, v3
	s_xor_b64 exec, exec, s[18:19]
	s_cbranch_execz .LBB156_26
; %bb.25:                               ;   in Loop: Header=BB156_2 Depth=1
	ds_read_b64 v[7:8], v11 offset:8
	s_waitcnt lgkmcnt(1)
	v_mov_b32_e32 v6, v2
	v_mov_b32_e32 v5, v1
.LBB156_26:                             ;   in Loop: Header=BB156_2 Depth=1
	s_or_b64 exec, exec, s[18:19]
	v_add_u32_e32 v12, 1, v10
	v_add_u32_e32 v11, 1, v9
	v_cndmask_b32_e64 v14, v12, v10, s[16:17]
	s_waitcnt lgkmcnt(0)
	v_cmp_lt_i64_e64 s[20:21], v[7:8], v[5:6]
	v_cndmask_b32_e64 v13, v9, v11, s[16:17]
	v_cmp_ge_i32_e64 s[22:23], v14, v20
	v_cmp_lt_i32_e64 s[18:19], v13, v21
	s_or_b64 s[20:21], s[22:23], s[20:21]
	s_and_b64 s[18:19], s[18:19], s[20:21]
	s_xor_b64 s[20:21], s[18:19], -1
                                        ; implicit-def: $vgpr9_vgpr10
	s_and_saveexec_b64 s[22:23], s[20:21]
	s_xor_b64 s[20:21], exec, s[22:23]
; %bb.27:                               ;   in Loop: Header=BB156_2 Depth=1
	v_lshlrev_b32_e32 v9, 3, v14
	ds_read_b64 v[9:10], v9 offset:8
; %bb.28:                               ;   in Loop: Header=BB156_2 Depth=1
	s_or_saveexec_b64 s[20:21], s[20:21]
	v_mov_b32_e32 v12, v8
	v_mov_b32_e32 v11, v7
	s_xor_b64 exec, exec, s[20:21]
	s_cbranch_execz .LBB156_30
; %bb.29:                               ;   in Loop: Header=BB156_2 Depth=1
	s_waitcnt lgkmcnt(0)
	v_lshlrev_b32_e32 v9, 3, v13
	ds_read_b64 v[11:12], v9 offset:8
	v_mov_b32_e32 v10, v6
	v_mov_b32_e32 v9, v5
.LBB156_30:                             ;   in Loop: Header=BB156_2 Depth=1
	s_or_b64 exec, exec, s[20:21]
	v_add_u32_e32 v16, 1, v14
	v_add_u32_e32 v15, 1, v13
	v_cndmask_b32_e64 v18, v16, v14, s[18:19]
	s_waitcnt lgkmcnt(0)
	v_cmp_lt_i64_e64 s[22:23], v[11:12], v[9:10]
	v_cndmask_b32_e64 v17, v13, v15, s[18:19]
	v_cmp_ge_i32_e64 s[24:25], v18, v20
	v_cmp_lt_i32_e64 s[20:21], v17, v21
	s_or_b64 s[22:23], s[24:25], s[22:23]
	s_and_b64 s[20:21], s[20:21], s[22:23]
	s_xor_b64 s[22:23], s[20:21], -1
                                        ; implicit-def: $vgpr13_vgpr14
	s_and_saveexec_b64 s[24:25], s[22:23]
	s_xor_b64 s[22:23], exec, s[24:25]
; %bb.31:                               ;   in Loop: Header=BB156_2 Depth=1
	v_lshlrev_b32_e32 v13, 3, v18
	ds_read_b64 v[13:14], v13 offset:8
; %bb.32:                               ;   in Loop: Header=BB156_2 Depth=1
	s_or_saveexec_b64 s[22:23], s[22:23]
	v_mov_b32_e32 v16, v12
	v_mov_b32_e32 v15, v11
	s_xor_b64 exec, exec, s[22:23]
	s_cbranch_execz .LBB156_34
; %bb.33:                               ;   in Loop: Header=BB156_2 Depth=1
	s_waitcnt lgkmcnt(0)
	v_lshlrev_b32_e32 v13, 3, v17
	ds_read_b64 v[15:16], v13 offset:8
	v_mov_b32_e32 v14, v10
	v_mov_b32_e32 v13, v9
.LBB156_34:                             ;   in Loop: Header=BB156_2 Depth=1
	s_or_b64 exec, exec, s[22:23]
	v_cndmask_b32_e64 v10, v10, v12, s[20:21]
	v_add_u32_e32 v12, 1, v18
	v_cndmask_b32_e64 v9, v9, v11, s[20:21]
	v_add_u32_e32 v11, 1, v17
	v_cndmask_b32_e64 v12, v12, v18, s[20:21]
	v_cndmask_b32_e64 v6, v6, v8, s[18:19]
	;; [unrolled: 1-line block ×3, first 2 shown]
	s_waitcnt lgkmcnt(0)
	v_cmp_lt_i64_e64 s[18:19], v[15:16], v[13:14]
	v_cndmask_b32_e64 v11, v17, v11, s[20:21]
	v_cmp_ge_i32_e64 s[20:21], v12, v20
	v_cndmask_b32_e64 v2, v2, v4, s[16:17]
	v_cndmask_b32_e64 v1, v1, v3, s[16:17]
	v_cmp_lt_i32_e64 s[16:17], v11, v21
	s_or_b64 s[18:19], s[20:21], s[18:19]
	s_and_b64 s[16:17], s[16:17], s[18:19]
	v_cndmask_b32_e64 v4, v14, v16, s[16:17]
	v_cndmask_b32_e64 v3, v13, v15, s[16:17]
	s_barrier
	ds_write2_b64 v79, v[1:2], v[5:6] offset1:1
	ds_write2_b64 v79, v[9:10], v[3:4] offset0:2 offset1:3
	v_mov_b32_e32 v5, v47
	s_waitcnt lgkmcnt(0)
	s_barrier
	s_and_saveexec_b64 s[18:19], s[2:3]
	s_cbranch_execz .LBB156_38
; %bb.35:                               ;   in Loop: Header=BB156_2 Depth=1
	s_mov_b64 s[20:21], 0
	v_mov_b32_e32 v5, v47
	v_mov_b32_e32 v1, v48
.LBB156_36:                             ;   Parent Loop BB156_2 Depth=1
                                        ; =>  This Inner Loop Header: Depth=2
	v_sub_u32_e32 v2, v1, v5
	v_lshrrev_b32_e32 v2, 1, v2
	v_add_u32_e32 v4, v2, v5
	v_not_b32_e32 v3, v4
	v_lshl_add_u32 v2, v4, 3, v82
	v_lshl_add_u32 v6, v3, 3, v68
	ds_read_b64 v[2:3], v2
	ds_read_b64 v[6:7], v6
	v_add_u32_e32 v8, 1, v4
	s_waitcnt lgkmcnt(0)
	v_cmp_lt_i64_e64 s[16:17], v[6:7], v[2:3]
	v_cndmask_b32_e64 v1, v1, v4, s[16:17]
	v_cndmask_b32_e64 v5, v8, v5, s[16:17]
	v_cmp_ge_i32_e64 s[16:17], v5, v1
	s_or_b64 s[20:21], s[16:17], s[20:21]
	s_andn2_b64 exec, exec, s[20:21]
	s_cbranch_execnz .LBB156_36
; %bb.37:                               ;   in Loop: Header=BB156_2 Depth=1
	s_or_b64 exec, exec, s[20:21]
.LBB156_38:                             ;   in Loop: Header=BB156_2 Depth=1
	s_or_b64 exec, exec, s[18:19]
	v_sub_u32_e32 v9, v67, v5
	v_lshl_add_u32 v7, v5, 3, v82
	v_lshlrev_b32_e32 v11, 3, v9
	ds_read_b64 v[1:2], v7
	ds_read_b64 v[3:4], v11
	v_add_u32_e32 v10, v5, v22
	v_cmp_le_i32_e64 s[20:21], v23, v10
	v_cmp_gt_i32_e64 s[16:17], v24, v9
                                        ; implicit-def: $vgpr5_vgpr6
	s_waitcnt lgkmcnt(0)
	v_cmp_lt_i64_e64 s[18:19], v[3:4], v[1:2]
	s_or_b64 s[18:19], s[20:21], s[18:19]
	s_and_b64 s[16:17], s[16:17], s[18:19]
	s_xor_b64 s[18:19], s[16:17], -1
	s_and_saveexec_b64 s[20:21], s[18:19]
	s_xor_b64 s[18:19], exec, s[20:21]
; %bb.39:                               ;   in Loop: Header=BB156_2 Depth=1
	ds_read_b64 v[5:6], v7 offset:8
                                        ; implicit-def: $vgpr11
; %bb.40:                               ;   in Loop: Header=BB156_2 Depth=1
	s_or_saveexec_b64 s[18:19], s[18:19]
	v_mov_b32_e32 v8, v4
	v_mov_b32_e32 v7, v3
	s_xor_b64 exec, exec, s[18:19]
	s_cbranch_execz .LBB156_42
; %bb.41:                               ;   in Loop: Header=BB156_2 Depth=1
	ds_read_b64 v[7:8], v11 offset:8
	s_waitcnt lgkmcnt(1)
	v_mov_b32_e32 v6, v2
	v_mov_b32_e32 v5, v1
.LBB156_42:                             ;   in Loop: Header=BB156_2 Depth=1
	s_or_b64 exec, exec, s[18:19]
	v_add_u32_e32 v12, 1, v10
	v_add_u32_e32 v11, 1, v9
	v_cndmask_b32_e64 v14, v12, v10, s[16:17]
	s_waitcnt lgkmcnt(0)
	v_cmp_lt_i64_e64 s[20:21], v[7:8], v[5:6]
	v_cndmask_b32_e64 v13, v9, v11, s[16:17]
	v_cmp_ge_i32_e64 s[22:23], v14, v23
	v_cmp_lt_i32_e64 s[18:19], v13, v24
	s_or_b64 s[20:21], s[22:23], s[20:21]
	s_and_b64 s[18:19], s[18:19], s[20:21]
	s_xor_b64 s[20:21], s[18:19], -1
                                        ; implicit-def: $vgpr9_vgpr10
	s_and_saveexec_b64 s[22:23], s[20:21]
	s_xor_b64 s[20:21], exec, s[22:23]
; %bb.43:                               ;   in Loop: Header=BB156_2 Depth=1
	v_lshlrev_b32_e32 v9, 3, v14
	ds_read_b64 v[9:10], v9 offset:8
; %bb.44:                               ;   in Loop: Header=BB156_2 Depth=1
	s_or_saveexec_b64 s[20:21], s[20:21]
	v_mov_b32_e32 v12, v8
	v_mov_b32_e32 v11, v7
	s_xor_b64 exec, exec, s[20:21]
	s_cbranch_execz .LBB156_46
; %bb.45:                               ;   in Loop: Header=BB156_2 Depth=1
	s_waitcnt lgkmcnt(0)
	v_lshlrev_b32_e32 v9, 3, v13
	ds_read_b64 v[11:12], v9 offset:8
	v_mov_b32_e32 v10, v6
	v_mov_b32_e32 v9, v5
.LBB156_46:                             ;   in Loop: Header=BB156_2 Depth=1
	s_or_b64 exec, exec, s[20:21]
	v_add_u32_e32 v16, 1, v14
	v_add_u32_e32 v15, 1, v13
	v_cndmask_b32_e64 v18, v16, v14, s[18:19]
	s_waitcnt lgkmcnt(0)
	v_cmp_lt_i64_e64 s[22:23], v[11:12], v[9:10]
	v_cndmask_b32_e64 v17, v13, v15, s[18:19]
	v_cmp_ge_i32_e64 s[24:25], v18, v23
	v_cmp_lt_i32_e64 s[20:21], v17, v24
	s_or_b64 s[22:23], s[24:25], s[22:23]
	s_and_b64 s[20:21], s[20:21], s[22:23]
	s_xor_b64 s[22:23], s[20:21], -1
                                        ; implicit-def: $vgpr13_vgpr14
	s_and_saveexec_b64 s[24:25], s[22:23]
	s_xor_b64 s[22:23], exec, s[24:25]
; %bb.47:                               ;   in Loop: Header=BB156_2 Depth=1
	v_lshlrev_b32_e32 v13, 3, v18
	ds_read_b64 v[13:14], v13 offset:8
; %bb.48:                               ;   in Loop: Header=BB156_2 Depth=1
	s_or_saveexec_b64 s[22:23], s[22:23]
	v_mov_b32_e32 v16, v12
	v_mov_b32_e32 v15, v11
	s_xor_b64 exec, exec, s[22:23]
	s_cbranch_execz .LBB156_50
; %bb.49:                               ;   in Loop: Header=BB156_2 Depth=1
	s_waitcnt lgkmcnt(0)
	v_lshlrev_b32_e32 v13, 3, v17
	ds_read_b64 v[15:16], v13 offset:8
	v_mov_b32_e32 v14, v10
	v_mov_b32_e32 v13, v9
.LBB156_50:                             ;   in Loop: Header=BB156_2 Depth=1
	s_or_b64 exec, exec, s[22:23]
	v_cndmask_b32_e64 v10, v10, v12, s[20:21]
	v_add_u32_e32 v12, 1, v18
	v_cndmask_b32_e64 v9, v9, v11, s[20:21]
	v_add_u32_e32 v11, 1, v17
	v_cndmask_b32_e64 v12, v12, v18, s[20:21]
	v_cndmask_b32_e64 v6, v6, v8, s[18:19]
	;; [unrolled: 1-line block ×3, first 2 shown]
	s_waitcnt lgkmcnt(0)
	v_cmp_lt_i64_e64 s[18:19], v[15:16], v[13:14]
	v_cndmask_b32_e64 v11, v17, v11, s[20:21]
	v_cmp_ge_i32_e64 s[20:21], v12, v23
	v_cndmask_b32_e64 v2, v2, v4, s[16:17]
	v_cndmask_b32_e64 v1, v1, v3, s[16:17]
	v_cmp_lt_i32_e64 s[16:17], v11, v24
	s_or_b64 s[18:19], s[20:21], s[18:19]
	s_and_b64 s[16:17], s[16:17], s[18:19]
	v_cndmask_b32_e64 v4, v14, v16, s[16:17]
	v_cndmask_b32_e64 v3, v13, v15, s[16:17]
	s_barrier
	ds_write2_b64 v79, v[1:2], v[5:6] offset1:1
	ds_write2_b64 v79, v[9:10], v[3:4] offset0:2 offset1:3
	v_mov_b32_e32 v5, v49
	s_waitcnt lgkmcnt(0)
	s_barrier
	s_and_saveexec_b64 s[18:19], s[4:5]
	s_cbranch_execz .LBB156_54
; %bb.51:                               ;   in Loop: Header=BB156_2 Depth=1
	s_mov_b64 s[20:21], 0
	v_mov_b32_e32 v5, v49
	v_mov_b32_e32 v1, v50
.LBB156_52:                             ;   Parent Loop BB156_2 Depth=1
                                        ; =>  This Inner Loop Header: Depth=2
	v_sub_u32_e32 v2, v1, v5
	v_lshrrev_b32_e32 v2, 1, v2
	v_add_u32_e32 v4, v2, v5
	v_not_b32_e32 v3, v4
	v_lshl_add_u32 v2, v4, 3, v83
	v_lshl_add_u32 v6, v3, 3, v70
	ds_read_b64 v[2:3], v2
	ds_read_b64 v[6:7], v6
	v_add_u32_e32 v8, 1, v4
	s_waitcnt lgkmcnt(0)
	v_cmp_lt_i64_e64 s[16:17], v[6:7], v[2:3]
	v_cndmask_b32_e64 v1, v1, v4, s[16:17]
	v_cndmask_b32_e64 v5, v8, v5, s[16:17]
	v_cmp_ge_i32_e64 s[16:17], v5, v1
	s_or_b64 s[20:21], s[16:17], s[20:21]
	s_andn2_b64 exec, exec, s[20:21]
	s_cbranch_execnz .LBB156_52
; %bb.53:                               ;   in Loop: Header=BB156_2 Depth=1
	s_or_b64 exec, exec, s[20:21]
.LBB156_54:                             ;   in Loop: Header=BB156_2 Depth=1
	s_or_b64 exec, exec, s[18:19]
	v_sub_u32_e32 v9, v69, v5
	v_lshl_add_u32 v7, v5, 3, v83
	v_lshlrev_b32_e32 v11, 3, v9
	ds_read_b64 v[1:2], v7
	ds_read_b64 v[3:4], v11
	v_add_u32_e32 v10, v5, v25
	v_cmp_le_i32_e64 s[20:21], v26, v10
	v_cmp_gt_i32_e64 s[16:17], v27, v9
                                        ; implicit-def: $vgpr5_vgpr6
	s_waitcnt lgkmcnt(0)
	v_cmp_lt_i64_e64 s[18:19], v[3:4], v[1:2]
	s_or_b64 s[18:19], s[20:21], s[18:19]
	s_and_b64 s[16:17], s[16:17], s[18:19]
	s_xor_b64 s[18:19], s[16:17], -1
	s_and_saveexec_b64 s[20:21], s[18:19]
	s_xor_b64 s[18:19], exec, s[20:21]
; %bb.55:                               ;   in Loop: Header=BB156_2 Depth=1
	ds_read_b64 v[5:6], v7 offset:8
                                        ; implicit-def: $vgpr11
; %bb.56:                               ;   in Loop: Header=BB156_2 Depth=1
	s_or_saveexec_b64 s[18:19], s[18:19]
	v_mov_b32_e32 v8, v4
	v_mov_b32_e32 v7, v3
	s_xor_b64 exec, exec, s[18:19]
	s_cbranch_execz .LBB156_58
; %bb.57:                               ;   in Loop: Header=BB156_2 Depth=1
	ds_read_b64 v[7:8], v11 offset:8
	s_waitcnt lgkmcnt(1)
	v_mov_b32_e32 v6, v2
	v_mov_b32_e32 v5, v1
.LBB156_58:                             ;   in Loop: Header=BB156_2 Depth=1
	s_or_b64 exec, exec, s[18:19]
	v_add_u32_e32 v12, 1, v10
	v_add_u32_e32 v11, 1, v9
	v_cndmask_b32_e64 v14, v12, v10, s[16:17]
	s_waitcnt lgkmcnt(0)
	v_cmp_lt_i64_e64 s[20:21], v[7:8], v[5:6]
	v_cndmask_b32_e64 v13, v9, v11, s[16:17]
	v_cmp_ge_i32_e64 s[22:23], v14, v26
	v_cmp_lt_i32_e64 s[18:19], v13, v27
	s_or_b64 s[20:21], s[22:23], s[20:21]
	s_and_b64 s[18:19], s[18:19], s[20:21]
	s_xor_b64 s[20:21], s[18:19], -1
                                        ; implicit-def: $vgpr9_vgpr10
	s_and_saveexec_b64 s[22:23], s[20:21]
	s_xor_b64 s[20:21], exec, s[22:23]
; %bb.59:                               ;   in Loop: Header=BB156_2 Depth=1
	v_lshlrev_b32_e32 v9, 3, v14
	ds_read_b64 v[9:10], v9 offset:8
; %bb.60:                               ;   in Loop: Header=BB156_2 Depth=1
	s_or_saveexec_b64 s[20:21], s[20:21]
	v_mov_b32_e32 v12, v8
	v_mov_b32_e32 v11, v7
	s_xor_b64 exec, exec, s[20:21]
	s_cbranch_execz .LBB156_62
; %bb.61:                               ;   in Loop: Header=BB156_2 Depth=1
	s_waitcnt lgkmcnt(0)
	v_lshlrev_b32_e32 v9, 3, v13
	ds_read_b64 v[11:12], v9 offset:8
	v_mov_b32_e32 v10, v6
	v_mov_b32_e32 v9, v5
.LBB156_62:                             ;   in Loop: Header=BB156_2 Depth=1
	s_or_b64 exec, exec, s[20:21]
	v_add_u32_e32 v16, 1, v14
	v_add_u32_e32 v15, 1, v13
	v_cndmask_b32_e64 v18, v16, v14, s[18:19]
	s_waitcnt lgkmcnt(0)
	v_cmp_lt_i64_e64 s[22:23], v[11:12], v[9:10]
	v_cndmask_b32_e64 v17, v13, v15, s[18:19]
	v_cmp_ge_i32_e64 s[24:25], v18, v26
	v_cmp_lt_i32_e64 s[20:21], v17, v27
	s_or_b64 s[22:23], s[24:25], s[22:23]
	s_and_b64 s[20:21], s[20:21], s[22:23]
	s_xor_b64 s[22:23], s[20:21], -1
                                        ; implicit-def: $vgpr13_vgpr14
	s_and_saveexec_b64 s[24:25], s[22:23]
	s_xor_b64 s[22:23], exec, s[24:25]
; %bb.63:                               ;   in Loop: Header=BB156_2 Depth=1
	v_lshlrev_b32_e32 v13, 3, v18
	ds_read_b64 v[13:14], v13 offset:8
; %bb.64:                               ;   in Loop: Header=BB156_2 Depth=1
	s_or_saveexec_b64 s[22:23], s[22:23]
	v_mov_b32_e32 v16, v12
	v_mov_b32_e32 v15, v11
	s_xor_b64 exec, exec, s[22:23]
	s_cbranch_execz .LBB156_66
; %bb.65:                               ;   in Loop: Header=BB156_2 Depth=1
	s_waitcnt lgkmcnt(0)
	v_lshlrev_b32_e32 v13, 3, v17
	ds_read_b64 v[15:16], v13 offset:8
	v_mov_b32_e32 v14, v10
	v_mov_b32_e32 v13, v9
.LBB156_66:                             ;   in Loop: Header=BB156_2 Depth=1
	s_or_b64 exec, exec, s[22:23]
	v_cndmask_b32_e64 v10, v10, v12, s[20:21]
	v_add_u32_e32 v12, 1, v18
	v_cndmask_b32_e64 v9, v9, v11, s[20:21]
	v_add_u32_e32 v11, 1, v17
	v_cndmask_b32_e64 v12, v12, v18, s[20:21]
	v_cndmask_b32_e64 v6, v6, v8, s[18:19]
	;; [unrolled: 1-line block ×3, first 2 shown]
	s_waitcnt lgkmcnt(0)
	v_cmp_lt_i64_e64 s[18:19], v[15:16], v[13:14]
	v_cndmask_b32_e64 v11, v17, v11, s[20:21]
	v_cmp_ge_i32_e64 s[20:21], v12, v26
	v_cndmask_b32_e64 v2, v2, v4, s[16:17]
	v_cndmask_b32_e64 v1, v1, v3, s[16:17]
	v_cmp_lt_i32_e64 s[16:17], v11, v27
	s_or_b64 s[18:19], s[20:21], s[18:19]
	s_and_b64 s[16:17], s[16:17], s[18:19]
	v_cndmask_b32_e64 v4, v14, v16, s[16:17]
	v_cndmask_b32_e64 v3, v13, v15, s[16:17]
	s_barrier
	ds_write2_b64 v79, v[1:2], v[5:6] offset1:1
	ds_write2_b64 v79, v[9:10], v[3:4] offset0:2 offset1:3
	v_mov_b32_e32 v5, v51
	s_waitcnt lgkmcnt(0)
	s_barrier
	s_and_saveexec_b64 s[18:19], s[6:7]
	s_cbranch_execz .LBB156_70
; %bb.67:                               ;   in Loop: Header=BB156_2 Depth=1
	s_mov_b64 s[20:21], 0
	v_mov_b32_e32 v5, v51
	v_mov_b32_e32 v1, v52
.LBB156_68:                             ;   Parent Loop BB156_2 Depth=1
                                        ; =>  This Inner Loop Header: Depth=2
	v_sub_u32_e32 v2, v1, v5
	v_lshrrev_b32_e32 v2, 1, v2
	v_add_u32_e32 v4, v2, v5
	v_not_b32_e32 v3, v4
	v_lshl_add_u32 v2, v4, 3, v84
	v_lshl_add_u32 v6, v3, 3, v72
	ds_read_b64 v[2:3], v2
	ds_read_b64 v[6:7], v6
	v_add_u32_e32 v8, 1, v4
	s_waitcnt lgkmcnt(0)
	v_cmp_lt_i64_e64 s[16:17], v[6:7], v[2:3]
	v_cndmask_b32_e64 v1, v1, v4, s[16:17]
	v_cndmask_b32_e64 v5, v8, v5, s[16:17]
	v_cmp_ge_i32_e64 s[16:17], v5, v1
	s_or_b64 s[20:21], s[16:17], s[20:21]
	s_andn2_b64 exec, exec, s[20:21]
	s_cbranch_execnz .LBB156_68
; %bb.69:                               ;   in Loop: Header=BB156_2 Depth=1
	s_or_b64 exec, exec, s[20:21]
.LBB156_70:                             ;   in Loop: Header=BB156_2 Depth=1
	s_or_b64 exec, exec, s[18:19]
	v_sub_u32_e32 v9, v71, v5
	v_lshl_add_u32 v7, v5, 3, v84
	v_lshlrev_b32_e32 v11, 3, v9
	ds_read_b64 v[1:2], v7
	ds_read_b64 v[3:4], v11
	v_add_u32_e32 v10, v5, v28
	v_cmp_le_i32_e64 s[20:21], v29, v10
	v_cmp_gt_i32_e64 s[16:17], v30, v9
                                        ; implicit-def: $vgpr5_vgpr6
	s_waitcnt lgkmcnt(0)
	v_cmp_lt_i64_e64 s[18:19], v[3:4], v[1:2]
	s_or_b64 s[18:19], s[20:21], s[18:19]
	s_and_b64 s[16:17], s[16:17], s[18:19]
	s_xor_b64 s[18:19], s[16:17], -1
	s_and_saveexec_b64 s[20:21], s[18:19]
	s_xor_b64 s[18:19], exec, s[20:21]
; %bb.71:                               ;   in Loop: Header=BB156_2 Depth=1
	ds_read_b64 v[5:6], v7 offset:8
                                        ; implicit-def: $vgpr11
; %bb.72:                               ;   in Loop: Header=BB156_2 Depth=1
	s_or_saveexec_b64 s[18:19], s[18:19]
	v_mov_b32_e32 v8, v4
	v_mov_b32_e32 v7, v3
	s_xor_b64 exec, exec, s[18:19]
	s_cbranch_execz .LBB156_74
; %bb.73:                               ;   in Loop: Header=BB156_2 Depth=1
	ds_read_b64 v[7:8], v11 offset:8
	s_waitcnt lgkmcnt(1)
	v_mov_b32_e32 v6, v2
	v_mov_b32_e32 v5, v1
.LBB156_74:                             ;   in Loop: Header=BB156_2 Depth=1
	s_or_b64 exec, exec, s[18:19]
	v_add_u32_e32 v12, 1, v10
	v_add_u32_e32 v11, 1, v9
	v_cndmask_b32_e64 v14, v12, v10, s[16:17]
	s_waitcnt lgkmcnt(0)
	v_cmp_lt_i64_e64 s[20:21], v[7:8], v[5:6]
	v_cndmask_b32_e64 v13, v9, v11, s[16:17]
	v_cmp_ge_i32_e64 s[22:23], v14, v29
	v_cmp_lt_i32_e64 s[18:19], v13, v30
	s_or_b64 s[20:21], s[22:23], s[20:21]
	s_and_b64 s[18:19], s[18:19], s[20:21]
	s_xor_b64 s[20:21], s[18:19], -1
                                        ; implicit-def: $vgpr9_vgpr10
	s_and_saveexec_b64 s[22:23], s[20:21]
	s_xor_b64 s[20:21], exec, s[22:23]
; %bb.75:                               ;   in Loop: Header=BB156_2 Depth=1
	v_lshlrev_b32_e32 v9, 3, v14
	ds_read_b64 v[9:10], v9 offset:8
; %bb.76:                               ;   in Loop: Header=BB156_2 Depth=1
	s_or_saveexec_b64 s[20:21], s[20:21]
	v_mov_b32_e32 v12, v8
	v_mov_b32_e32 v11, v7
	s_xor_b64 exec, exec, s[20:21]
	s_cbranch_execz .LBB156_78
; %bb.77:                               ;   in Loop: Header=BB156_2 Depth=1
	s_waitcnt lgkmcnt(0)
	v_lshlrev_b32_e32 v9, 3, v13
	ds_read_b64 v[11:12], v9 offset:8
	v_mov_b32_e32 v10, v6
	v_mov_b32_e32 v9, v5
.LBB156_78:                             ;   in Loop: Header=BB156_2 Depth=1
	s_or_b64 exec, exec, s[20:21]
	v_add_u32_e32 v16, 1, v14
	v_add_u32_e32 v15, 1, v13
	v_cndmask_b32_e64 v18, v16, v14, s[18:19]
	s_waitcnt lgkmcnt(0)
	v_cmp_lt_i64_e64 s[22:23], v[11:12], v[9:10]
	v_cndmask_b32_e64 v17, v13, v15, s[18:19]
	v_cmp_ge_i32_e64 s[24:25], v18, v29
	v_cmp_lt_i32_e64 s[20:21], v17, v30
	s_or_b64 s[22:23], s[24:25], s[22:23]
	s_and_b64 s[20:21], s[20:21], s[22:23]
	s_xor_b64 s[22:23], s[20:21], -1
                                        ; implicit-def: $vgpr13_vgpr14
	s_and_saveexec_b64 s[24:25], s[22:23]
	s_xor_b64 s[22:23], exec, s[24:25]
; %bb.79:                               ;   in Loop: Header=BB156_2 Depth=1
	v_lshlrev_b32_e32 v13, 3, v18
	ds_read_b64 v[13:14], v13 offset:8
; %bb.80:                               ;   in Loop: Header=BB156_2 Depth=1
	s_or_saveexec_b64 s[22:23], s[22:23]
	v_mov_b32_e32 v16, v12
	v_mov_b32_e32 v15, v11
	s_xor_b64 exec, exec, s[22:23]
	s_cbranch_execz .LBB156_82
; %bb.81:                               ;   in Loop: Header=BB156_2 Depth=1
	s_waitcnt lgkmcnt(0)
	v_lshlrev_b32_e32 v13, 3, v17
	ds_read_b64 v[15:16], v13 offset:8
	v_mov_b32_e32 v14, v10
	v_mov_b32_e32 v13, v9
.LBB156_82:                             ;   in Loop: Header=BB156_2 Depth=1
	s_or_b64 exec, exec, s[22:23]
	v_cndmask_b32_e64 v10, v10, v12, s[20:21]
	v_add_u32_e32 v12, 1, v18
	v_cndmask_b32_e64 v9, v9, v11, s[20:21]
	v_add_u32_e32 v11, 1, v17
	v_cndmask_b32_e64 v12, v12, v18, s[20:21]
	v_cndmask_b32_e64 v6, v6, v8, s[18:19]
	;; [unrolled: 1-line block ×3, first 2 shown]
	s_waitcnt lgkmcnt(0)
	v_cmp_lt_i64_e64 s[18:19], v[15:16], v[13:14]
	v_cndmask_b32_e64 v11, v17, v11, s[20:21]
	v_cmp_ge_i32_e64 s[20:21], v12, v29
	v_cndmask_b32_e64 v2, v2, v4, s[16:17]
	v_cndmask_b32_e64 v1, v1, v3, s[16:17]
	v_cmp_lt_i32_e64 s[16:17], v11, v30
	s_or_b64 s[18:19], s[20:21], s[18:19]
	s_and_b64 s[16:17], s[16:17], s[18:19]
	v_cndmask_b32_e64 v4, v14, v16, s[16:17]
	v_cndmask_b32_e64 v3, v13, v15, s[16:17]
	s_barrier
	ds_write2_b64 v79, v[1:2], v[5:6] offset1:1
	ds_write2_b64 v79, v[9:10], v[3:4] offset0:2 offset1:3
	v_mov_b32_e32 v5, v53
	s_waitcnt lgkmcnt(0)
	s_barrier
	s_and_saveexec_b64 s[18:19], s[8:9]
	s_cbranch_execz .LBB156_86
; %bb.83:                               ;   in Loop: Header=BB156_2 Depth=1
	s_mov_b64 s[20:21], 0
	v_mov_b32_e32 v5, v53
	v_mov_b32_e32 v1, v54
.LBB156_84:                             ;   Parent Loop BB156_2 Depth=1
                                        ; =>  This Inner Loop Header: Depth=2
	v_sub_u32_e32 v2, v1, v5
	v_lshrrev_b32_e32 v2, 1, v2
	v_add_u32_e32 v4, v2, v5
	v_not_b32_e32 v3, v4
	v_lshl_add_u32 v2, v4, 3, v85
	v_lshl_add_u32 v6, v3, 3, v74
	ds_read_b64 v[2:3], v2
	ds_read_b64 v[6:7], v6
	v_add_u32_e32 v8, 1, v4
	s_waitcnt lgkmcnt(0)
	v_cmp_lt_i64_e64 s[16:17], v[6:7], v[2:3]
	v_cndmask_b32_e64 v1, v1, v4, s[16:17]
	v_cndmask_b32_e64 v5, v8, v5, s[16:17]
	v_cmp_ge_i32_e64 s[16:17], v5, v1
	s_or_b64 s[20:21], s[16:17], s[20:21]
	s_andn2_b64 exec, exec, s[20:21]
	s_cbranch_execnz .LBB156_84
; %bb.85:                               ;   in Loop: Header=BB156_2 Depth=1
	s_or_b64 exec, exec, s[20:21]
.LBB156_86:                             ;   in Loop: Header=BB156_2 Depth=1
	s_or_b64 exec, exec, s[18:19]
	v_sub_u32_e32 v9, v73, v5
	v_lshl_add_u32 v7, v5, 3, v85
	v_lshlrev_b32_e32 v11, 3, v9
	ds_read_b64 v[1:2], v7
	ds_read_b64 v[3:4], v11
	v_add_u32_e32 v10, v5, v31
	v_cmp_le_i32_e64 s[20:21], v32, v10
	v_cmp_gt_i32_e64 s[16:17], v33, v9
                                        ; implicit-def: $vgpr5_vgpr6
	s_waitcnt lgkmcnt(0)
	v_cmp_lt_i64_e64 s[18:19], v[3:4], v[1:2]
	s_or_b64 s[18:19], s[20:21], s[18:19]
	s_and_b64 s[16:17], s[16:17], s[18:19]
	s_xor_b64 s[18:19], s[16:17], -1
	s_and_saveexec_b64 s[20:21], s[18:19]
	s_xor_b64 s[18:19], exec, s[20:21]
; %bb.87:                               ;   in Loop: Header=BB156_2 Depth=1
	ds_read_b64 v[5:6], v7 offset:8
                                        ; implicit-def: $vgpr11
; %bb.88:                               ;   in Loop: Header=BB156_2 Depth=1
	s_or_saveexec_b64 s[18:19], s[18:19]
	v_mov_b32_e32 v8, v4
	v_mov_b32_e32 v7, v3
	s_xor_b64 exec, exec, s[18:19]
	s_cbranch_execz .LBB156_90
; %bb.89:                               ;   in Loop: Header=BB156_2 Depth=1
	ds_read_b64 v[7:8], v11 offset:8
	s_waitcnt lgkmcnt(1)
	v_mov_b32_e32 v6, v2
	v_mov_b32_e32 v5, v1
.LBB156_90:                             ;   in Loop: Header=BB156_2 Depth=1
	s_or_b64 exec, exec, s[18:19]
	v_add_u32_e32 v12, 1, v10
	v_add_u32_e32 v11, 1, v9
	v_cndmask_b32_e64 v14, v12, v10, s[16:17]
	s_waitcnt lgkmcnt(0)
	v_cmp_lt_i64_e64 s[20:21], v[7:8], v[5:6]
	v_cndmask_b32_e64 v13, v9, v11, s[16:17]
	v_cmp_ge_i32_e64 s[22:23], v14, v32
	v_cmp_lt_i32_e64 s[18:19], v13, v33
	s_or_b64 s[20:21], s[22:23], s[20:21]
	s_and_b64 s[18:19], s[18:19], s[20:21]
	s_xor_b64 s[20:21], s[18:19], -1
                                        ; implicit-def: $vgpr9_vgpr10
	s_and_saveexec_b64 s[22:23], s[20:21]
	s_xor_b64 s[20:21], exec, s[22:23]
; %bb.91:                               ;   in Loop: Header=BB156_2 Depth=1
	v_lshlrev_b32_e32 v9, 3, v14
	ds_read_b64 v[9:10], v9 offset:8
; %bb.92:                               ;   in Loop: Header=BB156_2 Depth=1
	s_or_saveexec_b64 s[20:21], s[20:21]
	v_mov_b32_e32 v12, v8
	v_mov_b32_e32 v11, v7
	s_xor_b64 exec, exec, s[20:21]
	s_cbranch_execz .LBB156_94
; %bb.93:                               ;   in Loop: Header=BB156_2 Depth=1
	s_waitcnt lgkmcnt(0)
	v_lshlrev_b32_e32 v9, 3, v13
	ds_read_b64 v[11:12], v9 offset:8
	v_mov_b32_e32 v10, v6
	v_mov_b32_e32 v9, v5
.LBB156_94:                             ;   in Loop: Header=BB156_2 Depth=1
	s_or_b64 exec, exec, s[20:21]
	v_add_u32_e32 v16, 1, v14
	v_add_u32_e32 v15, 1, v13
	v_cndmask_b32_e64 v18, v16, v14, s[18:19]
	s_waitcnt lgkmcnt(0)
	v_cmp_lt_i64_e64 s[22:23], v[11:12], v[9:10]
	v_cndmask_b32_e64 v17, v13, v15, s[18:19]
	v_cmp_ge_i32_e64 s[24:25], v18, v32
	v_cmp_lt_i32_e64 s[20:21], v17, v33
	s_or_b64 s[22:23], s[24:25], s[22:23]
	s_and_b64 s[20:21], s[20:21], s[22:23]
	s_xor_b64 s[22:23], s[20:21], -1
                                        ; implicit-def: $vgpr13_vgpr14
	s_and_saveexec_b64 s[24:25], s[22:23]
	s_xor_b64 s[22:23], exec, s[24:25]
; %bb.95:                               ;   in Loop: Header=BB156_2 Depth=1
	v_lshlrev_b32_e32 v13, 3, v18
	ds_read_b64 v[13:14], v13 offset:8
; %bb.96:                               ;   in Loop: Header=BB156_2 Depth=1
	s_or_saveexec_b64 s[22:23], s[22:23]
	v_mov_b32_e32 v16, v12
	v_mov_b32_e32 v15, v11
	s_xor_b64 exec, exec, s[22:23]
	s_cbranch_execz .LBB156_98
; %bb.97:                               ;   in Loop: Header=BB156_2 Depth=1
	s_waitcnt lgkmcnt(0)
	v_lshlrev_b32_e32 v13, 3, v17
	ds_read_b64 v[15:16], v13 offset:8
	v_mov_b32_e32 v14, v10
	v_mov_b32_e32 v13, v9
.LBB156_98:                             ;   in Loop: Header=BB156_2 Depth=1
	s_or_b64 exec, exec, s[22:23]
	v_cndmask_b32_e64 v10, v10, v12, s[20:21]
	v_add_u32_e32 v12, 1, v18
	v_cndmask_b32_e64 v9, v9, v11, s[20:21]
	v_add_u32_e32 v11, 1, v17
	v_cndmask_b32_e64 v12, v12, v18, s[20:21]
	v_cndmask_b32_e64 v6, v6, v8, s[18:19]
	;; [unrolled: 1-line block ×3, first 2 shown]
	s_waitcnt lgkmcnt(0)
	v_cmp_lt_i64_e64 s[18:19], v[15:16], v[13:14]
	v_cndmask_b32_e64 v11, v17, v11, s[20:21]
	v_cmp_ge_i32_e64 s[20:21], v12, v32
	v_cndmask_b32_e64 v2, v2, v4, s[16:17]
	v_cndmask_b32_e64 v1, v1, v3, s[16:17]
	v_cmp_lt_i32_e64 s[16:17], v11, v33
	s_or_b64 s[18:19], s[20:21], s[18:19]
	s_and_b64 s[16:17], s[16:17], s[18:19]
	v_cndmask_b32_e64 v4, v14, v16, s[16:17]
	v_cndmask_b32_e64 v3, v13, v15, s[16:17]
	s_barrier
	ds_write2_b64 v79, v[1:2], v[5:6] offset1:1
	ds_write2_b64 v79, v[9:10], v[3:4] offset0:2 offset1:3
	v_mov_b32_e32 v5, v55
	s_waitcnt lgkmcnt(0)
	s_barrier
	s_and_saveexec_b64 s[18:19], s[10:11]
	s_cbranch_execz .LBB156_102
; %bb.99:                               ;   in Loop: Header=BB156_2 Depth=1
	s_mov_b64 s[20:21], 0
	v_mov_b32_e32 v5, v55
	v_mov_b32_e32 v1, v56
.LBB156_100:                            ;   Parent Loop BB156_2 Depth=1
                                        ; =>  This Inner Loop Header: Depth=2
	v_sub_u32_e32 v2, v1, v5
	v_lshrrev_b32_e32 v2, 1, v2
	v_add_u32_e32 v4, v2, v5
	v_not_b32_e32 v3, v4
	v_lshl_add_u32 v2, v4, 3, v86
	v_lshl_add_u32 v6, v3, 3, v76
	ds_read_b64 v[2:3], v2
	ds_read_b64 v[6:7], v6
	v_add_u32_e32 v8, 1, v4
	s_waitcnt lgkmcnt(0)
	v_cmp_lt_i64_e64 s[16:17], v[6:7], v[2:3]
	v_cndmask_b32_e64 v1, v1, v4, s[16:17]
	v_cndmask_b32_e64 v5, v8, v5, s[16:17]
	v_cmp_ge_i32_e64 s[16:17], v5, v1
	s_or_b64 s[20:21], s[16:17], s[20:21]
	s_andn2_b64 exec, exec, s[20:21]
	s_cbranch_execnz .LBB156_100
; %bb.101:                              ;   in Loop: Header=BB156_2 Depth=1
	s_or_b64 exec, exec, s[20:21]
.LBB156_102:                            ;   in Loop: Header=BB156_2 Depth=1
	s_or_b64 exec, exec, s[18:19]
	v_sub_u32_e32 v9, v75, v5
	v_lshl_add_u32 v7, v5, 3, v86
	v_lshlrev_b32_e32 v11, 3, v9
	ds_read_b64 v[1:2], v7
	ds_read_b64 v[3:4], v11
	v_add_u32_e32 v10, v5, v34
	v_cmp_le_i32_e64 s[20:21], v35, v10
	v_cmp_gt_i32_e64 s[16:17], v36, v9
                                        ; implicit-def: $vgpr5_vgpr6
	s_waitcnt lgkmcnt(0)
	v_cmp_lt_i64_e64 s[18:19], v[3:4], v[1:2]
	s_or_b64 s[18:19], s[20:21], s[18:19]
	s_and_b64 s[16:17], s[16:17], s[18:19]
	s_xor_b64 s[18:19], s[16:17], -1
	s_and_saveexec_b64 s[20:21], s[18:19]
	s_xor_b64 s[18:19], exec, s[20:21]
; %bb.103:                              ;   in Loop: Header=BB156_2 Depth=1
	ds_read_b64 v[5:6], v7 offset:8
                                        ; implicit-def: $vgpr11
; %bb.104:                              ;   in Loop: Header=BB156_2 Depth=1
	s_or_saveexec_b64 s[18:19], s[18:19]
	v_mov_b32_e32 v8, v4
	v_mov_b32_e32 v7, v3
	s_xor_b64 exec, exec, s[18:19]
	s_cbranch_execz .LBB156_106
; %bb.105:                              ;   in Loop: Header=BB156_2 Depth=1
	ds_read_b64 v[7:8], v11 offset:8
	s_waitcnt lgkmcnt(1)
	v_mov_b32_e32 v6, v2
	v_mov_b32_e32 v5, v1
.LBB156_106:                            ;   in Loop: Header=BB156_2 Depth=1
	s_or_b64 exec, exec, s[18:19]
	v_add_u32_e32 v12, 1, v10
	v_add_u32_e32 v11, 1, v9
	v_cndmask_b32_e64 v14, v12, v10, s[16:17]
	s_waitcnt lgkmcnt(0)
	v_cmp_lt_i64_e64 s[20:21], v[7:8], v[5:6]
	v_cndmask_b32_e64 v13, v9, v11, s[16:17]
	v_cmp_ge_i32_e64 s[22:23], v14, v35
	v_cmp_lt_i32_e64 s[18:19], v13, v36
	s_or_b64 s[20:21], s[22:23], s[20:21]
	s_and_b64 s[18:19], s[18:19], s[20:21]
	s_xor_b64 s[20:21], s[18:19], -1
                                        ; implicit-def: $vgpr9_vgpr10
	s_and_saveexec_b64 s[22:23], s[20:21]
	s_xor_b64 s[20:21], exec, s[22:23]
; %bb.107:                              ;   in Loop: Header=BB156_2 Depth=1
	v_lshlrev_b32_e32 v9, 3, v14
	ds_read_b64 v[9:10], v9 offset:8
; %bb.108:                              ;   in Loop: Header=BB156_2 Depth=1
	s_or_saveexec_b64 s[20:21], s[20:21]
	v_mov_b32_e32 v12, v8
	v_mov_b32_e32 v11, v7
	s_xor_b64 exec, exec, s[20:21]
	s_cbranch_execz .LBB156_110
; %bb.109:                              ;   in Loop: Header=BB156_2 Depth=1
	s_waitcnt lgkmcnt(0)
	v_lshlrev_b32_e32 v9, 3, v13
	ds_read_b64 v[11:12], v9 offset:8
	v_mov_b32_e32 v10, v6
	v_mov_b32_e32 v9, v5
.LBB156_110:                            ;   in Loop: Header=BB156_2 Depth=1
	s_or_b64 exec, exec, s[20:21]
	v_add_u32_e32 v16, 1, v14
	v_add_u32_e32 v15, 1, v13
	v_cndmask_b32_e64 v18, v16, v14, s[18:19]
	s_waitcnt lgkmcnt(0)
	v_cmp_lt_i64_e64 s[22:23], v[11:12], v[9:10]
	v_cndmask_b32_e64 v17, v13, v15, s[18:19]
	v_cmp_ge_i32_e64 s[24:25], v18, v35
	v_cmp_lt_i32_e64 s[20:21], v17, v36
	s_or_b64 s[22:23], s[24:25], s[22:23]
	s_and_b64 s[20:21], s[20:21], s[22:23]
	s_xor_b64 s[22:23], s[20:21], -1
                                        ; implicit-def: $vgpr13_vgpr14
	s_and_saveexec_b64 s[24:25], s[22:23]
	s_xor_b64 s[22:23], exec, s[24:25]
; %bb.111:                              ;   in Loop: Header=BB156_2 Depth=1
	v_lshlrev_b32_e32 v13, 3, v18
	ds_read_b64 v[13:14], v13 offset:8
; %bb.112:                              ;   in Loop: Header=BB156_2 Depth=1
	s_or_saveexec_b64 s[22:23], s[22:23]
	v_mov_b32_e32 v16, v12
	v_mov_b32_e32 v15, v11
	s_xor_b64 exec, exec, s[22:23]
	s_cbranch_execz .LBB156_114
; %bb.113:                              ;   in Loop: Header=BB156_2 Depth=1
	s_waitcnt lgkmcnt(0)
	v_lshlrev_b32_e32 v13, 3, v17
	ds_read_b64 v[15:16], v13 offset:8
	v_mov_b32_e32 v14, v10
	v_mov_b32_e32 v13, v9
.LBB156_114:                            ;   in Loop: Header=BB156_2 Depth=1
	s_or_b64 exec, exec, s[22:23]
	v_cndmask_b32_e64 v10, v10, v12, s[20:21]
	v_add_u32_e32 v12, 1, v18
	v_cndmask_b32_e64 v9, v9, v11, s[20:21]
	v_add_u32_e32 v11, 1, v17
	v_cndmask_b32_e64 v12, v12, v18, s[20:21]
	v_cndmask_b32_e64 v6, v6, v8, s[18:19]
	;; [unrolled: 1-line block ×3, first 2 shown]
	s_waitcnt lgkmcnt(0)
	v_cmp_lt_i64_e64 s[18:19], v[15:16], v[13:14]
	v_cndmask_b32_e64 v11, v17, v11, s[20:21]
	v_cmp_ge_i32_e64 s[20:21], v12, v35
	v_cndmask_b32_e64 v2, v2, v4, s[16:17]
	v_cndmask_b32_e64 v1, v1, v3, s[16:17]
	v_cmp_lt_i32_e64 s[16:17], v11, v36
	s_or_b64 s[18:19], s[20:21], s[18:19]
	s_and_b64 s[16:17], s[16:17], s[18:19]
	v_cndmask_b32_e64 v4, v14, v16, s[16:17]
	v_cndmask_b32_e64 v3, v13, v15, s[16:17]
	s_barrier
	ds_write2_b64 v79, v[1:2], v[5:6] offset1:1
	ds_write2_b64 v79, v[9:10], v[3:4] offset0:2 offset1:3
	v_mov_b32_e32 v5, v57
	s_waitcnt lgkmcnt(0)
	s_barrier
	s_and_saveexec_b64 s[18:19], s[12:13]
	s_cbranch_execz .LBB156_118
; %bb.115:                              ;   in Loop: Header=BB156_2 Depth=1
	s_mov_b64 s[20:21], 0
	v_mov_b32_e32 v5, v57
	v_mov_b32_e32 v1, v58
.LBB156_116:                            ;   Parent Loop BB156_2 Depth=1
                                        ; =>  This Inner Loop Header: Depth=2
	v_sub_u32_e32 v2, v1, v5
	v_lshrrev_b32_e32 v2, 1, v2
	v_add_u32_e32 v4, v2, v5
	v_not_b32_e32 v3, v4
	v_lshl_add_u32 v2, v4, 3, v87
	v_lshl_add_u32 v6, v3, 3, v78
	ds_read_b64 v[2:3], v2
	ds_read_b64 v[6:7], v6
	v_add_u32_e32 v8, 1, v4
	s_waitcnt lgkmcnt(0)
	v_cmp_lt_i64_e64 s[16:17], v[6:7], v[2:3]
	v_cndmask_b32_e64 v1, v1, v4, s[16:17]
	v_cndmask_b32_e64 v5, v8, v5, s[16:17]
	v_cmp_ge_i32_e64 s[16:17], v5, v1
	s_or_b64 s[20:21], s[16:17], s[20:21]
	s_andn2_b64 exec, exec, s[20:21]
	s_cbranch_execnz .LBB156_116
; %bb.117:                              ;   in Loop: Header=BB156_2 Depth=1
	s_or_b64 exec, exec, s[20:21]
.LBB156_118:                            ;   in Loop: Header=BB156_2 Depth=1
	s_or_b64 exec, exec, s[18:19]
	v_sub_u32_e32 v9, v77, v5
	v_lshl_add_u32 v7, v5, 3, v87
	v_lshlrev_b32_e32 v11, 3, v9
	ds_read_b64 v[1:2], v7
	ds_read_b64 v[3:4], v11
	v_add_u32_e32 v10, v5, v37
	v_cmp_le_i32_e64 s[20:21], v38, v10
	v_cmp_gt_i32_e64 s[16:17], v39, v9
                                        ; implicit-def: $vgpr5_vgpr6
	s_waitcnt lgkmcnt(0)
	v_cmp_lt_i64_e64 s[18:19], v[3:4], v[1:2]
	s_or_b64 s[18:19], s[20:21], s[18:19]
	s_and_b64 s[16:17], s[16:17], s[18:19]
	s_xor_b64 s[18:19], s[16:17], -1
	s_and_saveexec_b64 s[20:21], s[18:19]
	s_xor_b64 s[18:19], exec, s[20:21]
; %bb.119:                              ;   in Loop: Header=BB156_2 Depth=1
	ds_read_b64 v[5:6], v7 offset:8
                                        ; implicit-def: $vgpr11
; %bb.120:                              ;   in Loop: Header=BB156_2 Depth=1
	s_or_saveexec_b64 s[18:19], s[18:19]
	v_mov_b32_e32 v8, v4
	v_mov_b32_e32 v7, v3
	s_xor_b64 exec, exec, s[18:19]
	s_cbranch_execz .LBB156_122
; %bb.121:                              ;   in Loop: Header=BB156_2 Depth=1
	ds_read_b64 v[7:8], v11 offset:8
	s_waitcnt lgkmcnt(1)
	v_mov_b32_e32 v6, v2
	v_mov_b32_e32 v5, v1
.LBB156_122:                            ;   in Loop: Header=BB156_2 Depth=1
	s_or_b64 exec, exec, s[18:19]
	v_add_u32_e32 v12, 1, v10
	v_add_u32_e32 v11, 1, v9
	v_cndmask_b32_e64 v14, v12, v10, s[16:17]
	s_waitcnt lgkmcnt(0)
	v_cmp_lt_i64_e64 s[20:21], v[7:8], v[5:6]
	v_cndmask_b32_e64 v13, v9, v11, s[16:17]
	v_cmp_ge_i32_e64 s[22:23], v14, v38
	v_cmp_lt_i32_e64 s[18:19], v13, v39
	s_or_b64 s[20:21], s[22:23], s[20:21]
	s_and_b64 s[18:19], s[18:19], s[20:21]
	s_xor_b64 s[20:21], s[18:19], -1
                                        ; implicit-def: $vgpr9_vgpr10
	s_and_saveexec_b64 s[22:23], s[20:21]
	s_xor_b64 s[20:21], exec, s[22:23]
; %bb.123:                              ;   in Loop: Header=BB156_2 Depth=1
	v_lshlrev_b32_e32 v9, 3, v14
	ds_read_b64 v[9:10], v9 offset:8
; %bb.124:                              ;   in Loop: Header=BB156_2 Depth=1
	s_or_saveexec_b64 s[20:21], s[20:21]
	v_mov_b32_e32 v12, v8
	v_mov_b32_e32 v11, v7
	s_xor_b64 exec, exec, s[20:21]
	s_cbranch_execz .LBB156_126
; %bb.125:                              ;   in Loop: Header=BB156_2 Depth=1
	s_waitcnt lgkmcnt(0)
	v_lshlrev_b32_e32 v9, 3, v13
	ds_read_b64 v[11:12], v9 offset:8
	v_mov_b32_e32 v10, v6
	v_mov_b32_e32 v9, v5
.LBB156_126:                            ;   in Loop: Header=BB156_2 Depth=1
	s_or_b64 exec, exec, s[20:21]
	v_add_u32_e32 v16, 1, v14
	v_add_u32_e32 v15, 1, v13
	v_cndmask_b32_e64 v18, v16, v14, s[18:19]
	s_waitcnt lgkmcnt(0)
	v_cmp_lt_i64_e64 s[22:23], v[11:12], v[9:10]
	v_cndmask_b32_e64 v17, v13, v15, s[18:19]
	v_cmp_ge_i32_e64 s[24:25], v18, v38
	v_cmp_lt_i32_e64 s[20:21], v17, v39
	s_or_b64 s[22:23], s[24:25], s[22:23]
	s_and_b64 s[20:21], s[20:21], s[22:23]
	s_xor_b64 s[22:23], s[20:21], -1
                                        ; implicit-def: $vgpr13_vgpr14
	s_and_saveexec_b64 s[24:25], s[22:23]
	s_xor_b64 s[22:23], exec, s[24:25]
; %bb.127:                              ;   in Loop: Header=BB156_2 Depth=1
	v_lshlrev_b32_e32 v13, 3, v18
	ds_read_b64 v[13:14], v13 offset:8
; %bb.128:                              ;   in Loop: Header=BB156_2 Depth=1
	s_or_saveexec_b64 s[22:23], s[22:23]
	v_mov_b32_e32 v16, v12
	v_mov_b32_e32 v15, v11
	s_xor_b64 exec, exec, s[22:23]
	s_cbranch_execz .LBB156_130
; %bb.129:                              ;   in Loop: Header=BB156_2 Depth=1
	s_waitcnt lgkmcnt(0)
	v_lshlrev_b32_e32 v13, 3, v17
	ds_read_b64 v[15:16], v13 offset:8
	v_mov_b32_e32 v14, v10
	v_mov_b32_e32 v13, v9
.LBB156_130:                            ;   in Loop: Header=BB156_2 Depth=1
	s_or_b64 exec, exec, s[22:23]
	v_cndmask_b32_e64 v10, v10, v12, s[20:21]
	v_add_u32_e32 v12, 1, v18
	v_cndmask_b32_e64 v9, v9, v11, s[20:21]
	v_add_u32_e32 v11, 1, v17
	v_cndmask_b32_e64 v12, v12, v18, s[20:21]
	v_cndmask_b32_e64 v6, v6, v8, s[18:19]
	;; [unrolled: 1-line block ×3, first 2 shown]
	s_waitcnt lgkmcnt(0)
	v_cmp_lt_i64_e64 s[18:19], v[15:16], v[13:14]
	v_cndmask_b32_e64 v11, v17, v11, s[20:21]
	v_cmp_ge_i32_e64 s[20:21], v12, v38
	v_cndmask_b32_e64 v2, v2, v4, s[16:17]
	v_cndmask_b32_e64 v1, v1, v3, s[16:17]
	v_cmp_lt_i32_e64 s[16:17], v11, v39
	s_or_b64 s[18:19], s[20:21], s[18:19]
	s_and_b64 s[16:17], s[16:17], s[18:19]
	v_mov_b32_e32 v7, v60
	v_cndmask_b32_e64 v4, v14, v16, s[16:17]
	v_cndmask_b32_e64 v3, v13, v15, s[16:17]
	s_barrier
	ds_write2_b64 v79, v[1:2], v[5:6] offset1:1
	ds_write2_b64 v79, v[9:10], v[3:4] offset0:2 offset1:3
	s_waitcnt lgkmcnt(0)
	s_barrier
	s_and_saveexec_b64 s[18:19], s[14:15]
	s_cbranch_execz .LBB156_134
; %bb.131:                              ;   in Loop: Header=BB156_2 Depth=1
	s_mov_b64 s[20:21], 0
	v_mov_b32_e32 v7, v60
	v_mov_b32_e32 v1, v61
.LBB156_132:                            ;   Parent Loop BB156_2 Depth=1
                                        ; =>  This Inner Loop Header: Depth=2
	v_sub_u32_e32 v2, v1, v7
	v_lshrrev_b32_e32 v2, 1, v2
	v_add_u32_e32 v6, v2, v7
	v_not_b32_e32 v3, v6
	v_lshlrev_b32_e32 v2, 3, v6
	v_lshl_add_u32 v4, v3, 3, v88
	ds_read_b64 v[2:3], v2
	ds_read_b64 v[4:5], v4
	v_add_u32_e32 v8, 1, v6
	s_waitcnt lgkmcnt(0)
	v_cmp_lt_i64_e64 s[16:17], v[4:5], v[2:3]
	v_cndmask_b32_e64 v1, v1, v6, s[16:17]
	v_cndmask_b32_e64 v7, v8, v7, s[16:17]
	v_cmp_ge_i32_e64 s[16:17], v7, v1
	s_or_b64 s[20:21], s[16:17], s[20:21]
	s_andn2_b64 exec, exec, s[20:21]
	s_cbranch_execnz .LBB156_132
; %bb.133:                              ;   in Loop: Header=BB156_2 Depth=1
	s_or_b64 exec, exec, s[20:21]
.LBB156_134:                            ;   in Loop: Header=BB156_2 Depth=1
	s_or_b64 exec, exec, s[18:19]
	v_sub_u32_e32 v8, v62, v7
	v_lshlrev_b32_e32 v9, 3, v7
	v_lshlrev_b32_e32 v11, 3, v8
	ds_read_b64 v[1:2], v9
	ds_read_b64 v[3:4], v11
	v_cmp_le_i32_e64 s[20:21], v59, v7
	v_cmp_gt_i32_e64 s[16:17], s28, v8
                                        ; implicit-def: $vgpr5_vgpr6
	s_waitcnt lgkmcnt(0)
	v_cmp_lt_i64_e64 s[18:19], v[3:4], v[1:2]
	s_or_b64 s[18:19], s[20:21], s[18:19]
	s_and_b64 s[16:17], s[16:17], s[18:19]
	s_xor_b64 s[18:19], s[16:17], -1
	s_and_saveexec_b64 s[20:21], s[18:19]
	s_xor_b64 s[18:19], exec, s[20:21]
; %bb.135:                              ;   in Loop: Header=BB156_2 Depth=1
	ds_read_b64 v[5:6], v9 offset:8
                                        ; implicit-def: $vgpr11
; %bb.136:                              ;   in Loop: Header=BB156_2 Depth=1
	s_or_saveexec_b64 s[18:19], s[18:19]
	v_mov_b32_e32 v10, v4
	v_mov_b32_e32 v9, v3
	s_xor_b64 exec, exec, s[18:19]
	s_cbranch_execz .LBB156_138
; %bb.137:                              ;   in Loop: Header=BB156_2 Depth=1
	ds_read_b64 v[9:10], v11 offset:8
	s_waitcnt lgkmcnt(1)
	v_mov_b32_e32 v6, v2
	v_mov_b32_e32 v5, v1
.LBB156_138:                            ;   in Loop: Header=BB156_2 Depth=1
	s_or_b64 exec, exec, s[18:19]
	v_add_u32_e32 v12, 1, v7
	v_add_u32_e32 v11, 1, v8
	v_cndmask_b32_e64 v7, v12, v7, s[16:17]
	s_waitcnt lgkmcnt(0)
	v_cmp_lt_i64_e64 s[20:21], v[9:10], v[5:6]
	v_cndmask_b32_e64 v8, v8, v11, s[16:17]
	v_cmp_ge_i32_e64 s[22:23], v7, v59
	v_cmp_gt_i32_e64 s[18:19], s28, v8
	s_or_b64 s[20:21], s[22:23], s[20:21]
	s_and_b64 s[18:19], s[18:19], s[20:21]
	s_xor_b64 s[20:21], s[18:19], -1
                                        ; implicit-def: $vgpr11_vgpr12
	s_and_saveexec_b64 s[22:23], s[20:21]
	s_xor_b64 s[20:21], exec, s[22:23]
; %bb.139:                              ;   in Loop: Header=BB156_2 Depth=1
	v_lshlrev_b32_e32 v11, 3, v7
	ds_read_b64 v[11:12], v11 offset:8
; %bb.140:                              ;   in Loop: Header=BB156_2 Depth=1
	s_or_saveexec_b64 s[20:21], s[20:21]
	v_mov_b32_e32 v14, v10
	v_mov_b32_e32 v13, v9
	s_xor_b64 exec, exec, s[20:21]
	s_cbranch_execz .LBB156_142
; %bb.141:                              ;   in Loop: Header=BB156_2 Depth=1
	s_waitcnt lgkmcnt(0)
	v_lshlrev_b32_e32 v11, 3, v8
	ds_read_b64 v[13:14], v11 offset:8
	v_mov_b32_e32 v12, v6
	v_mov_b32_e32 v11, v5
.LBB156_142:                            ;   in Loop: Header=BB156_2 Depth=1
	s_or_b64 exec, exec, s[20:21]
	v_add_u32_e32 v16, 1, v7
	v_add_u32_e32 v15, 1, v8
	v_cndmask_b32_e64 v7, v16, v7, s[18:19]
	s_waitcnt lgkmcnt(0)
	v_cmp_lt_i64_e64 s[22:23], v[13:14], v[11:12]
	v_cndmask_b32_e64 v89, v8, v15, s[18:19]
	v_cmp_ge_i32_e64 s[24:25], v7, v59
	v_cmp_gt_i32_e64 s[20:21], s28, v89
	s_or_b64 s[22:23], s[24:25], s[22:23]
	s_and_b64 s[20:21], s[20:21], s[22:23]
	s_xor_b64 s[22:23], s[20:21], -1
                                        ; implicit-def: $vgpr15_vgpr16
                                        ; implicit-def: $vgpr90
	s_and_saveexec_b64 s[24:25], s[22:23]
	s_xor_b64 s[22:23], exec, s[24:25]
; %bb.143:                              ;   in Loop: Header=BB156_2 Depth=1
	v_lshlrev_b32_e32 v8, 3, v7
	ds_read_b64 v[15:16], v8 offset:8
	v_add_u32_e32 v90, 1, v7
                                        ; implicit-def: $vgpr7
; %bb.144:                              ;   in Loop: Header=BB156_2 Depth=1
	s_or_saveexec_b64 s[22:23], s[22:23]
	v_mov_b32_e32 v18, v14
	v_mov_b32_e32 v17, v13
	s_xor_b64 exec, exec, s[22:23]
	s_cbranch_execz .LBB156_1
; %bb.145:                              ;   in Loop: Header=BB156_2 Depth=1
	v_lshlrev_b32_e32 v8, 3, v89
	ds_read_b64 v[17:18], v8 offset:8
	s_waitcnt lgkmcnt(1)
	v_mov_b32_e32 v16, v12
	v_add_u32_e32 v89, 1, v89
	v_mov_b32_e32 v90, v7
	v_mov_b32_e32 v15, v11
	s_branch .LBB156_1
.LBB156_146:
	s_add_u32 s0, s26, s30
	s_addc_u32 s1, s27, s31
	v_lshlrev_b32_e32 v0, 3, v0
	v_mov_b32_e32 v9, s1
	v_add_co_u32_e32 v10, vcc, s0, v0
	v_addc_co_u32_e32 v9, vcc, 0, v9, vcc
	global_store_dwordx2 v0, v[7:8], s[0:1]
	v_add_co_u32_e32 v7, vcc, 0x1000, v10
	v_addc_co_u32_e32 v8, vcc, 0, v9, vcc
	global_store_dwordx2 v[7:8], v[5:6], off
	v_add_co_u32_e32 v5, vcc, 0x2000, v10
	v_addc_co_u32_e32 v6, vcc, 0, v9, vcc
	v_add_co_u32_e32 v0, vcc, 0x3000, v10
	global_store_dwordx2 v[5:6], v[1:2], off
	v_addc_co_u32_e32 v1, vcc, 0, v9, vcc
	global_store_dwordx2 v[0:1], v[3:4], off
	s_endpgm
	.section	.rodata,"a",@progbits
	.p2align	6, 0x0
	.amdhsa_kernel _Z16sort_keys_kernelIxLj512ELj4EN10test_utils4lessELj10EEvPKT_PS2_T2_
		.amdhsa_group_segment_fixed_size 16392
		.amdhsa_private_segment_fixed_size 0
		.amdhsa_kernarg_size 20
		.amdhsa_user_sgpr_count 6
		.amdhsa_user_sgpr_private_segment_buffer 1
		.amdhsa_user_sgpr_dispatch_ptr 0
		.amdhsa_user_sgpr_queue_ptr 0
		.amdhsa_user_sgpr_kernarg_segment_ptr 1
		.amdhsa_user_sgpr_dispatch_id 0
		.amdhsa_user_sgpr_flat_scratch_init 0
		.amdhsa_user_sgpr_private_segment_size 0
		.amdhsa_uses_dynamic_stack 0
		.amdhsa_system_sgpr_private_segment_wavefront_offset 0
		.amdhsa_system_sgpr_workgroup_id_x 1
		.amdhsa_system_sgpr_workgroup_id_y 0
		.amdhsa_system_sgpr_workgroup_id_z 0
		.amdhsa_system_sgpr_workgroup_info 0
		.amdhsa_system_vgpr_workitem_id 0
		.amdhsa_next_free_vgpr 91
		.amdhsa_next_free_sgpr 93
		.amdhsa_reserve_vcc 1
		.amdhsa_reserve_flat_scratch 0
		.amdhsa_float_round_mode_32 0
		.amdhsa_float_round_mode_16_64 0
		.amdhsa_float_denorm_mode_32 3
		.amdhsa_float_denorm_mode_16_64 3
		.amdhsa_dx10_clamp 1
		.amdhsa_ieee_mode 1
		.amdhsa_fp16_overflow 0
		.amdhsa_exception_fp_ieee_invalid_op 0
		.amdhsa_exception_fp_denorm_src 0
		.amdhsa_exception_fp_ieee_div_zero 0
		.amdhsa_exception_fp_ieee_overflow 0
		.amdhsa_exception_fp_ieee_underflow 0
		.amdhsa_exception_fp_ieee_inexact 0
		.amdhsa_exception_int_div_zero 0
	.end_amdhsa_kernel
	.section	.text._Z16sort_keys_kernelIxLj512ELj4EN10test_utils4lessELj10EEvPKT_PS2_T2_,"axG",@progbits,_Z16sort_keys_kernelIxLj512ELj4EN10test_utils4lessELj10EEvPKT_PS2_T2_,comdat
.Lfunc_end156:
	.size	_Z16sort_keys_kernelIxLj512ELj4EN10test_utils4lessELj10EEvPKT_PS2_T2_, .Lfunc_end156-_Z16sort_keys_kernelIxLj512ELj4EN10test_utils4lessELj10EEvPKT_PS2_T2_
                                        ; -- End function
	.set _Z16sort_keys_kernelIxLj512ELj4EN10test_utils4lessELj10EEvPKT_PS2_T2_.num_vgpr, 91
	.set _Z16sort_keys_kernelIxLj512ELj4EN10test_utils4lessELj10EEvPKT_PS2_T2_.num_agpr, 0
	.set _Z16sort_keys_kernelIxLj512ELj4EN10test_utils4lessELj10EEvPKT_PS2_T2_.numbered_sgpr, 32
	.set _Z16sort_keys_kernelIxLj512ELj4EN10test_utils4lessELj10EEvPKT_PS2_T2_.num_named_barrier, 0
	.set _Z16sort_keys_kernelIxLj512ELj4EN10test_utils4lessELj10EEvPKT_PS2_T2_.private_seg_size, 0
	.set _Z16sort_keys_kernelIxLj512ELj4EN10test_utils4lessELj10EEvPKT_PS2_T2_.uses_vcc, 1
	.set _Z16sort_keys_kernelIxLj512ELj4EN10test_utils4lessELj10EEvPKT_PS2_T2_.uses_flat_scratch, 0
	.set _Z16sort_keys_kernelIxLj512ELj4EN10test_utils4lessELj10EEvPKT_PS2_T2_.has_dyn_sized_stack, 0
	.set _Z16sort_keys_kernelIxLj512ELj4EN10test_utils4lessELj10EEvPKT_PS2_T2_.has_recursion, 0
	.set _Z16sort_keys_kernelIxLj512ELj4EN10test_utils4lessELj10EEvPKT_PS2_T2_.has_indirect_call, 0
	.section	.AMDGPU.csdata,"",@progbits
; Kernel info:
; codeLenInByte = 7448
; TotalNumSgprs: 36
; NumVgprs: 91
; ScratchSize: 0
; MemoryBound: 0
; FloatMode: 240
; IeeeMode: 1
; LDSByteSize: 16392 bytes/workgroup (compile time only)
; SGPRBlocks: 12
; VGPRBlocks: 22
; NumSGPRsForWavesPerEU: 97
; NumVGPRsForWavesPerEU: 91
; Occupancy: 2
; WaveLimiterHint : 1
; COMPUTE_PGM_RSRC2:SCRATCH_EN: 0
; COMPUTE_PGM_RSRC2:USER_SGPR: 6
; COMPUTE_PGM_RSRC2:TRAP_HANDLER: 0
; COMPUTE_PGM_RSRC2:TGID_X_EN: 1
; COMPUTE_PGM_RSRC2:TGID_Y_EN: 0
; COMPUTE_PGM_RSRC2:TGID_Z_EN: 0
; COMPUTE_PGM_RSRC2:TIDIG_COMP_CNT: 0
	.section	.text._Z17sort_pairs_kernelIxLj512ELj4EN10test_utils4lessELj10EEvPKT_PS2_T2_,"axG",@progbits,_Z17sort_pairs_kernelIxLj512ELj4EN10test_utils4lessELj10EEvPKT_PS2_T2_,comdat
	.protected	_Z17sort_pairs_kernelIxLj512ELj4EN10test_utils4lessELj10EEvPKT_PS2_T2_ ; -- Begin function _Z17sort_pairs_kernelIxLj512ELj4EN10test_utils4lessELj10EEvPKT_PS2_T2_
	.globl	_Z17sort_pairs_kernelIxLj512ELj4EN10test_utils4lessELj10EEvPKT_PS2_T2_
	.p2align	8
	.type	_Z17sort_pairs_kernelIxLj512ELj4EN10test_utils4lessELj10EEvPKT_PS2_T2_,@function
_Z17sort_pairs_kernelIxLj512ELj4EN10test_utils4lessELj10EEvPKT_PS2_T2_: ; @_Z17sort_pairs_kernelIxLj512ELj4EN10test_utils4lessELj10EEvPKT_PS2_T2_
; %bb.0:
	s_load_dwordx4 s[40:43], s[4:5], 0x0
	s_lshl_b32 s46, s6, 11
	s_mov_b32 s47, 0
	s_lshl_b64 s[44:45], s[46:47], 3
	v_lshlrev_b32_e32 v1, 3, v0
	s_waitcnt lgkmcnt(0)
	s_add_u32 s0, s40, s44
	s_addc_u32 s1, s41, s45
	v_mov_b32_e32 v2, s1
	v_add_co_u32_e32 v3, vcc, s0, v1
	v_addc_co_u32_e32 v4, vcc, 0, v2, vcc
	s_movk_i32 s2, 0x2000
	global_load_dwordx2 v[11:12], v1, s[0:1]
	v_add_co_u32_e32 v1, vcc, s2, v3
	v_addc_co_u32_e32 v2, vcc, 0, v4, vcc
	global_load_dwordx2 v[13:14], v[1:2], off offset:-4096
	global_load_dwordx2 v[9:10], v[1:2], off
	s_movk_i32 s0, 0x3000
	v_add_co_u32_e32 v1, vcc, s0, v3
	v_addc_co_u32_e32 v2, vcc, 0, v4, vcc
	global_load_dwordx2 v[15:16], v[1:2], off
	v_lshlrev_b32_e32 v17, 2, v0
	v_and_b32_e32 v25, 0x7f8, v17
	v_and_b32_e32 v18, 4, v17
	v_mov_b32_e32 v65, 0x400
	v_and_b32_e32 v26, 0x7f0, v17
	v_and_b32_e32 v19, 12, v17
	;; [unrolled: 1-line block ×14, first 2 shown]
	v_or_b32_e32 v33, 4, v25
	v_sub_u32_e64 v66, v17, v65 clamp
	v_min_i32_e32 v67, 0x400, v17
	v_add_u32_e32 v68, 0x400, v17
	v_lshlrev_b32_e32 v17, 3, v18
	v_or_b32_e32 v35, 8, v26
	v_lshl_add_u32 v70, v33, 3, v17
	v_lshlrev_b32_e32 v17, 3, v19
	v_or_b32_e32 v37, 16, v27
	v_lshl_add_u32 v72, v35, 3, v17
	v_lshlrev_b32_e32 v17, 3, v20
	v_add_u32_e32 v34, 8, v25
	v_add_u32_e32 v36, 16, v26
	;; [unrolled: 1-line block ×3, first 2 shown]
	v_or_b32_e32 v39, 32, v28
	v_add_u32_e32 v40, 64, v28
	v_or_b32_e32 v41, 64, v29
	v_add_u32_e32 v42, 0x80, v29
	;; [unrolled: 2-line block ×5, first 2 shown]
	v_lshl_add_u32 v74, v37, 3, v17
	v_lshlrev_b32_e32 v17, 3, v21
	v_sub_u32_e32 v49, v34, v33
	v_sub_u32_e32 v51, v36, v35
	;; [unrolled: 1-line block ×8, first 2 shown]
	v_lshl_add_u32 v76, v39, 3, v17
	v_lshlrev_b32_e32 v17, 3, v22
	v_sub_u32_e32 v50, v18, v49
	v_sub_u32_e32 v52, v19, v51
	;; [unrolled: 1-line block ×8, first 2 shown]
	v_cmp_ge_i32_e64 s[0:1], v19, v51
	v_cmp_ge_i32_e64 s[2:3], v20, v53
	;; [unrolled: 1-line block ×5, first 2 shown]
	s_waitcnt vmcnt(3)
	v_add_co_u32_e32 v7, vcc, 1, v11
	v_addc_co_u32_e32 v8, vcc, 0, v12, vcc
	v_cmp_ge_i32_e64 s[10:11], v24, v61
	s_waitcnt vmcnt(2)
	v_add_co_u32_e32 v5, vcc, 1, v13
	v_addc_co_u32_e32 v6, vcc, 0, v14, vcc
	s_waitcnt vmcnt(1)
	v_add_co_u32_e32 v3, vcc, 1, v9
	v_addc_co_u32_e32 v4, vcc, 0, v10, vcc
	;; [unrolled: 3-line block ×3, first 2 shown]
	v_cmp_ge_i32_e32 vcc, v18, v49
	v_cmp_ge_i32_e64 s[12:13], v84, v63
	v_lshl_add_u32 v78, v41, 3, v17
	v_lshlrev_b32_e32 v17, 3, v23
	v_cndmask_b32_e32 v49, 0, v50, vcc
	v_sub_u32_e32 v50, v33, v25
	v_cndmask_b32_e64 v51, 0, v52, s[0:1]
	v_sub_u32_e32 v52, v35, v26
	v_cndmask_b32_e64 v53, 0, v54, s[2:3]
	v_sub_u32_e32 v54, v37, v27
	v_cndmask_b32_e64 v55, 0, v56, s[4:5]
	v_sub_u32_e32 v56, v39, v28
	v_cndmask_b32_e64 v57, 0, v58, s[6:7]
	v_sub_u32_e32 v58, v41, v29
	v_cndmask_b32_e64 v59, 0, v60, s[8:9]
	v_sub_u32_e32 v60, v43, v30
	v_cndmask_b32_e64 v61, 0, v62, s[10:11]
	v_sub_u32_e32 v62, v45, v31
	v_cndmask_b32_e64 v63, 0, v64, s[12:13]
	v_sub_u32_e32 v64, v47, v32
	v_lshl_add_u32 v80, v43, 3, v17
	v_lshlrev_b32_e32 v17, 3, v24
	v_min_i32_e32 v50, v18, v50
	v_min_i32_e32 v52, v19, v52
	;; [unrolled: 1-line block ×8, first 2 shown]
	v_lshl_add_u32 v82, v45, 3, v17
	v_lshlrev_b32_e32 v17, 3, v84
	v_lshlrev_b32_e32 v85, 5, v0
	v_cmp_lt_i32_e32 vcc, v49, v50
	v_cmp_lt_i32_e64 s[0:1], v51, v52
	v_cmp_lt_i32_e64 s[2:3], v53, v54
	;; [unrolled: 1-line block ×8, first 2 shown]
	v_add_u32_e32 v69, v33, v18
	v_add_u32_e32 v71, v35, v19
	;; [unrolled: 1-line block ×8, first 2 shown]
	v_lshl_add_u32 v84, v47, 3, v17
	s_movk_i32 s33, 0x800
	v_lshlrev_b32_e32 v86, 3, v25
	v_lshlrev_b32_e32 v87, 3, v26
	;; [unrolled: 1-line block ×8, first 2 shown]
	v_add_u32_e32 v94, 0x2000, v85
	s_branch .LBB157_2
.LBB157_1:                              ;   in Loop: Header=BB157_2 Depth=1
	s_or_b64 exec, exec, s[22:23]
	v_cndmask_b32_e64 v11, v9, v11, s[16:17]
	v_cndmask_b32_e64 v14, v14, v20, s[18:19]
	v_cndmask_b32_e64 v13, v13, v19, s[18:19]
	v_cndmask_b32_e64 v9, v98, v97, s[18:19]
	s_waitcnt lgkmcnt(0)
	v_cmp_lt_i64_e64 s[18:19], v[23:24], v[21:22]
	v_cmp_ge_i32_e64 s[22:23], v101, v65
	v_cndmask_b32_e64 v12, v10, v12, s[16:17]
	v_cndmask_b32_e64 v10, v16, v18, s[20:21]
	;; [unrolled: 1-line block ×3, first 2 shown]
	v_cmp_gt_i32_e64 s[16:17], s33, v99
	s_or_b64 s[18:19], s[22:23], s[18:19]
	s_and_b64 s[16:17], s[16:17], s[18:19]
	v_cndmask_b32_e64 v19, v101, v99, s[16:17]
	s_barrier
	ds_write2_b64 v85, v[5:6], v[7:8] offset1:1
	ds_write2_b64 v85, v[1:2], v[3:4] offset0:2 offset1:3
	v_lshlrev_b32_e32 v1, 3, v18
	v_lshlrev_b32_e32 v2, 3, v9
	;; [unrolled: 1-line block ×3, first 2 shown]
	s_waitcnt lgkmcnt(0)
	s_barrier
	v_lshlrev_b32_e32 v9, 3, v19
	ds_read_b64 v[7:8], v1
	ds_read_b64 v[5:6], v2
	;; [unrolled: 1-line block ×4, first 2 shown]
	s_add_i32 s47, s47, 1
	v_cndmask_b32_e64 v16, v22, v24, s[16:17]
	v_cndmask_b32_e64 v9, v15, v17, s[20:21]
	s_cmp_eq_u32 s47, 10
	v_cndmask_b32_e64 v15, v21, v23, s[16:17]
	s_cbranch_scc1 .LBB157_146
.LBB157_2:                              ; =>This Loop Header: Depth=1
                                        ;     Child Loop BB157_4 Depth 2
                                        ;     Child Loop BB157_20 Depth 2
	;; [unrolled: 1-line block ×9, first 2 shown]
	v_cmp_lt_i64_e64 s[16:17], v[13:14], v[11:12]
	v_cmp_lt_i64_e64 s[18:19], v[15:16], v[9:10]
	v_cndmask_b32_e64 v18, v12, v14, s[16:17]
	v_cndmask_b32_e64 v17, v11, v13, s[16:17]
	;; [unrolled: 1-line block ×8, first 2 shown]
	v_cmp_lt_i64_e64 s[20:21], v[9:10], v[11:12]
	v_cndmask_b32_e64 v16, v10, v12, s[20:21]
	v_cndmask_b32_e64 v15, v9, v11, s[20:21]
	;; [unrolled: 1-line block ×4, first 2 shown]
	v_cmp_lt_i64_e64 s[22:23], v[9:10], v[17:18]
	v_cmp_lt_i64_e64 s[24:25], v[13:14], v[15:16]
	v_cndmask_b32_e64 v12, v10, v18, s[22:23]
	v_cndmask_b32_e64 v11, v9, v17, s[22:23]
	;; [unrolled: 1-line block ×8, first 2 shown]
	v_cmp_lt_i64_e64 s[26:27], v[13:14], v[11:12]
	s_waitcnt lgkmcnt(0)
	s_barrier
	v_cndmask_b32_e64 v16, v14, v12, s[26:27]
	v_cndmask_b32_e64 v15, v13, v11, s[26:27]
	;; [unrolled: 1-line block ×4, first 2 shown]
	v_mov_b32_e32 v13, v49
	ds_write2_b64 v85, v[9:10], v[11:12] offset1:1
	ds_write2_b64 v85, v[15:16], v[17:18] offset0:2 offset1:3
	s_waitcnt lgkmcnt(0)
	s_barrier
	s_and_saveexec_b64 s[30:31], vcc
	s_cbranch_execz .LBB157_6
; %bb.3:                                ;   in Loop: Header=BB157_2 Depth=1
	s_mov_b64 s[34:35], 0
	v_mov_b32_e32 v13, v49
	v_mov_b32_e32 v9, v50
.LBB157_4:                              ;   Parent Loop BB157_2 Depth=1
                                        ; =>  This Inner Loop Header: Depth=2
	v_sub_u32_e32 v10, v9, v13
	v_lshrrev_b32_e32 v10, 1, v10
	v_add_u32_e32 v12, v10, v13
	v_not_b32_e32 v11, v12
	v_lshl_add_u32 v10, v12, 3, v86
	v_lshl_add_u32 v14, v11, 3, v70
	ds_read_b64 v[10:11], v10
	ds_read_b64 v[14:15], v14
	v_add_u32_e32 v16, 1, v12
	s_waitcnt lgkmcnt(0)
	v_cmp_lt_i64_e64 s[28:29], v[14:15], v[10:11]
	v_cndmask_b32_e64 v9, v9, v12, s[28:29]
	v_cndmask_b32_e64 v13, v16, v13, s[28:29]
	v_cmp_ge_i32_e64 s[28:29], v13, v9
	s_or_b64 s[34:35], s[28:29], s[34:35]
	s_andn2_b64 exec, exec, s[34:35]
	s_cbranch_execnz .LBB157_4
; %bb.5:                                ;   in Loop: Header=BB157_2 Depth=1
	s_or_b64 exec, exec, s[34:35]
.LBB157_6:                              ;   in Loop: Header=BB157_2 Depth=1
	s_or_b64 exec, exec, s[30:31]
	v_sub_u32_e32 v95, v69, v13
	v_lshl_add_u32 v15, v13, 3, v86
	v_lshlrev_b32_e32 v17, 3, v95
	ds_read_b64 v[9:10], v15
	ds_read_b64 v[11:12], v17
	v_add_u32_e32 v96, v13, v25
	v_cmp_le_i32_e64 s[34:35], v33, v96
	v_cmp_gt_i32_e64 s[28:29], v34, v95
                                        ; implicit-def: $vgpr13_vgpr14
	s_waitcnt lgkmcnt(0)
	v_cmp_lt_i64_e64 s[30:31], v[11:12], v[9:10]
	s_or_b64 s[30:31], s[34:35], s[30:31]
	s_and_b64 s[28:29], s[28:29], s[30:31]
	s_xor_b64 s[30:31], s[28:29], -1
	s_and_saveexec_b64 s[34:35], s[30:31]
	s_xor_b64 s[30:31], exec, s[34:35]
; %bb.7:                                ;   in Loop: Header=BB157_2 Depth=1
	ds_read_b64 v[13:14], v15 offset:8
                                        ; implicit-def: $vgpr17
; %bb.8:                                ;   in Loop: Header=BB157_2 Depth=1
	s_or_saveexec_b64 s[30:31], s[30:31]
	v_mov_b32_e32 v16, v12
	v_mov_b32_e32 v15, v11
	s_xor_b64 exec, exec, s[30:31]
	s_cbranch_execz .LBB157_10
; %bb.9:                                ;   in Loop: Header=BB157_2 Depth=1
	ds_read_b64 v[15:16], v17 offset:8
	s_waitcnt lgkmcnt(1)
	v_mov_b32_e32 v14, v10
	v_mov_b32_e32 v13, v9
.LBB157_10:                             ;   in Loop: Header=BB157_2 Depth=1
	s_or_b64 exec, exec, s[30:31]
	v_add_u32_e32 v18, 1, v96
	v_add_u32_e32 v17, 1, v95
	v_cndmask_b32_e64 v98, v18, v96, s[28:29]
	s_waitcnt lgkmcnt(0)
	v_cmp_lt_i64_e64 s[34:35], v[15:16], v[13:14]
	v_cndmask_b32_e64 v97, v95, v17, s[28:29]
	v_cmp_ge_i32_e64 s[36:37], v98, v33
	v_cmp_lt_i32_e64 s[30:31], v97, v34
	s_or_b64 s[34:35], s[36:37], s[34:35]
	s_and_b64 s[30:31], s[30:31], s[34:35]
	s_xor_b64 s[34:35], s[30:31], -1
                                        ; implicit-def: $vgpr19_vgpr20
	s_and_saveexec_b64 s[36:37], s[34:35]
	s_xor_b64 s[34:35], exec, s[36:37]
; %bb.11:                               ;   in Loop: Header=BB157_2 Depth=1
	v_lshlrev_b32_e32 v17, 3, v98
	ds_read_b64 v[19:20], v17 offset:8
; %bb.12:                               ;   in Loop: Header=BB157_2 Depth=1
	s_or_saveexec_b64 s[34:35], s[34:35]
	v_mov_b32_e32 v24, v16
	v_mov_b32_e32 v23, v15
	s_xor_b64 exec, exec, s[34:35]
	s_cbranch_execz .LBB157_14
; %bb.13:                               ;   in Loop: Header=BB157_2 Depth=1
	v_lshlrev_b32_e32 v17, 3, v97
	ds_read_b64 v[23:24], v17 offset:8
	s_waitcnt lgkmcnt(1)
	v_mov_b32_e32 v20, v14
	v_mov_b32_e32 v19, v13
.LBB157_14:                             ;   in Loop: Header=BB157_2 Depth=1
	s_or_b64 exec, exec, s[34:35]
	v_add_u32_e32 v18, 1, v98
	v_add_u32_e32 v17, 1, v97
	v_cndmask_b32_e64 v100, v18, v98, s[30:31]
	s_waitcnt lgkmcnt(0)
	v_cmp_lt_i64_e64 s[36:37], v[23:24], v[19:20]
	v_cndmask_b32_e64 v99, v97, v17, s[30:31]
	v_cmp_ge_i32_e64 s[38:39], v100, v33
	v_cmp_lt_i32_e64 s[34:35], v99, v34
	s_or_b64 s[36:37], s[38:39], s[36:37]
	s_and_b64 s[34:35], s[34:35], s[36:37]
	s_xor_b64 s[36:37], s[34:35], -1
                                        ; implicit-def: $vgpr17_vgpr18
	s_and_saveexec_b64 s[38:39], s[36:37]
	s_xor_b64 s[36:37], exec, s[38:39]
; %bb.15:                               ;   in Loop: Header=BB157_2 Depth=1
	v_lshlrev_b32_e32 v17, 3, v100
	ds_read_b64 v[17:18], v17 offset:8
; %bb.16:                               ;   in Loop: Header=BB157_2 Depth=1
	s_or_saveexec_b64 s[36:37], s[36:37]
	v_mov_b32_e32 v21, v23
	v_mov_b32_e32 v22, v24
	s_xor_b64 exec, exec, s[36:37]
	s_cbranch_execz .LBB157_18
; %bb.17:                               ;   in Loop: Header=BB157_2 Depth=1
	s_waitcnt lgkmcnt(0)
	v_lshlrev_b32_e32 v17, 3, v99
	ds_read_b64 v[21:22], v17 offset:8
	v_mov_b32_e32 v17, v19
	v_mov_b32_e32 v18, v20
.LBB157_18:                             ;   in Loop: Header=BB157_2 Depth=1
	s_or_b64 exec, exec, s[36:37]
	v_cndmask_b32_e64 v20, v20, v24, s[34:35]
	v_add_u32_e32 v24, 1, v100
	v_cndmask_b32_e64 v19, v19, v23, s[34:35]
	v_add_u32_e32 v23, 1, v99
	v_cndmask_b32_e64 v24, v24, v100, s[34:35]
	v_cndmask_b32_e64 v10, v10, v12, s[28:29]
	;; [unrolled: 1-line block ×11, first 2 shown]
	s_waitcnt lgkmcnt(0)
	v_cmp_lt_i64_e64 s[18:19], v[21:22], v[17:18]
	v_cndmask_b32_e64 v23, v99, v23, s[34:35]
	v_cndmask_b32_e64 v14, v14, v16, s[30:31]
	v_cndmask_b32_e64 v16, v96, v95, s[28:29]
	v_cndmask_b32_e64 v95, v1, v5, s[20:21]
	v_cndmask_b32_e64 v96, v2, v6, s[20:21]
	v_cndmask_b32_e64 v3, v5, v1, s[20:21]
	v_cndmask_b32_e64 v4, v6, v2, s[20:21]
	v_cmp_ge_i32_e64 s[20:21], v24, v33
	v_cmp_lt_i32_e64 s[16:17], v23, v34
	s_or_b64 s[18:19], s[20:21], s[18:19]
	v_cndmask_b32_e64 v2, v12, v4, s[22:23]
	v_cndmask_b32_e64 v1, v11, v3, s[22:23]
	;; [unrolled: 1-line block ×8, first 2 shown]
	s_and_b64 s[16:17], s[16:17], s[18:19]
	v_cndmask_b32_e64 v99, v100, v99, s[34:35]
	v_cndmask_b32_e64 v13, v13, v15, s[30:31]
	;; [unrolled: 1-line block ×9, first 2 shown]
	s_barrier
	ds_write2_b64 v85, v[1:2], v[7:8] offset1:1
	ds_write2_b64 v85, v[5:6], v[3:4] offset0:2 offset1:3
	v_lshlrev_b32_e32 v1, 3, v16
	v_lshlrev_b32_e32 v2, 3, v15
	;; [unrolled: 1-line block ×4, first 2 shown]
	s_waitcnt lgkmcnt(0)
	s_barrier
	ds_read_b64 v[5:6], v1
	ds_read_b64 v[7:8], v2
	;; [unrolled: 1-line block ×4, first 2 shown]
	v_cndmask_b32_e64 v12, v18, v22, s[16:17]
	s_waitcnt lgkmcnt(0)
	s_barrier
	ds_write2_b64 v85, v[9:10], v[13:14] offset1:1
	ds_write2_b64 v85, v[19:20], v[11:12] offset0:2 offset1:3
	v_mov_b32_e32 v13, v51
	s_waitcnt lgkmcnt(0)
	s_barrier
	s_and_saveexec_b64 s[18:19], s[0:1]
	s_cbranch_execz .LBB157_22
; %bb.19:                               ;   in Loop: Header=BB157_2 Depth=1
	s_mov_b64 s[20:21], 0
	v_mov_b32_e32 v13, v51
	v_mov_b32_e32 v9, v52
.LBB157_20:                             ;   Parent Loop BB157_2 Depth=1
                                        ; =>  This Inner Loop Header: Depth=2
	v_sub_u32_e32 v10, v9, v13
	v_lshrrev_b32_e32 v10, 1, v10
	v_add_u32_e32 v12, v10, v13
	v_not_b32_e32 v11, v12
	v_lshl_add_u32 v10, v12, 3, v87
	v_lshl_add_u32 v14, v11, 3, v72
	ds_read_b64 v[10:11], v10
	ds_read_b64 v[14:15], v14
	v_add_u32_e32 v16, 1, v12
	s_waitcnt lgkmcnt(0)
	v_cmp_lt_i64_e64 s[16:17], v[14:15], v[10:11]
	v_cndmask_b32_e64 v9, v9, v12, s[16:17]
	v_cndmask_b32_e64 v13, v16, v13, s[16:17]
	v_cmp_ge_i32_e64 s[16:17], v13, v9
	s_or_b64 s[20:21], s[16:17], s[20:21]
	s_andn2_b64 exec, exec, s[20:21]
	s_cbranch_execnz .LBB157_20
; %bb.21:                               ;   in Loop: Header=BB157_2 Depth=1
	s_or_b64 exec, exec, s[20:21]
.LBB157_22:                             ;   in Loop: Header=BB157_2 Depth=1
	s_or_b64 exec, exec, s[18:19]
	v_sub_u32_e32 v95, v71, v13
	v_lshl_add_u32 v15, v13, 3, v87
	v_lshlrev_b32_e32 v17, 3, v95
	ds_read_b64 v[9:10], v15
	ds_read_b64 v[11:12], v17
	v_add_u32_e32 v96, v13, v26
	v_cmp_le_i32_e64 s[20:21], v35, v96
	v_cmp_gt_i32_e64 s[16:17], v36, v95
                                        ; implicit-def: $vgpr13_vgpr14
	s_waitcnt lgkmcnt(0)
	v_cmp_lt_i64_e64 s[18:19], v[11:12], v[9:10]
	s_or_b64 s[18:19], s[20:21], s[18:19]
	s_and_b64 s[16:17], s[16:17], s[18:19]
	s_xor_b64 s[18:19], s[16:17], -1
	s_and_saveexec_b64 s[20:21], s[18:19]
	s_xor_b64 s[18:19], exec, s[20:21]
; %bb.23:                               ;   in Loop: Header=BB157_2 Depth=1
	ds_read_b64 v[13:14], v15 offset:8
                                        ; implicit-def: $vgpr17
; %bb.24:                               ;   in Loop: Header=BB157_2 Depth=1
	s_or_saveexec_b64 s[18:19], s[18:19]
	v_mov_b32_e32 v16, v12
	v_mov_b32_e32 v15, v11
	s_xor_b64 exec, exec, s[18:19]
	s_cbranch_execz .LBB157_26
; %bb.25:                               ;   in Loop: Header=BB157_2 Depth=1
	ds_read_b64 v[15:16], v17 offset:8
	s_waitcnt lgkmcnt(1)
	v_mov_b32_e32 v14, v10
	v_mov_b32_e32 v13, v9
.LBB157_26:                             ;   in Loop: Header=BB157_2 Depth=1
	s_or_b64 exec, exec, s[18:19]
	v_add_u32_e32 v18, 1, v96
	v_add_u32_e32 v17, 1, v95
	v_cndmask_b32_e64 v98, v18, v96, s[16:17]
	s_waitcnt lgkmcnt(0)
	v_cmp_lt_i64_e64 s[20:21], v[15:16], v[13:14]
	v_cndmask_b32_e64 v97, v95, v17, s[16:17]
	v_cmp_ge_i32_e64 s[22:23], v98, v35
	v_cmp_lt_i32_e64 s[18:19], v97, v36
	s_or_b64 s[20:21], s[22:23], s[20:21]
	s_and_b64 s[18:19], s[18:19], s[20:21]
	s_xor_b64 s[20:21], s[18:19], -1
                                        ; implicit-def: $vgpr17_vgpr18
	s_and_saveexec_b64 s[22:23], s[20:21]
	s_xor_b64 s[20:21], exec, s[22:23]
; %bb.27:                               ;   in Loop: Header=BB157_2 Depth=1
	v_lshlrev_b32_e32 v17, 3, v98
	ds_read_b64 v[17:18], v17 offset:8
; %bb.28:                               ;   in Loop: Header=BB157_2 Depth=1
	s_or_saveexec_b64 s[20:21], s[20:21]
	v_mov_b32_e32 v20, v16
	v_mov_b32_e32 v19, v15
	s_xor_b64 exec, exec, s[20:21]
	s_cbranch_execz .LBB157_30
; %bb.29:                               ;   in Loop: Header=BB157_2 Depth=1
	s_waitcnt lgkmcnt(0)
	v_lshlrev_b32_e32 v17, 3, v97
	ds_read_b64 v[19:20], v17 offset:8
	v_mov_b32_e32 v18, v14
	v_mov_b32_e32 v17, v13
.LBB157_30:                             ;   in Loop: Header=BB157_2 Depth=1
	s_or_b64 exec, exec, s[20:21]
	v_add_u32_e32 v22, 1, v98
	v_add_u32_e32 v21, 1, v97
	v_cndmask_b32_e64 v100, v22, v98, s[18:19]
	s_waitcnt lgkmcnt(0)
	v_cmp_lt_i64_e64 s[22:23], v[19:20], v[17:18]
	v_cndmask_b32_e64 v99, v97, v21, s[18:19]
	v_cmp_ge_i32_e64 s[24:25], v100, v35
	v_cmp_lt_i32_e64 s[20:21], v99, v36
	s_or_b64 s[22:23], s[24:25], s[22:23]
	s_and_b64 s[20:21], s[20:21], s[22:23]
	s_xor_b64 s[22:23], s[20:21], -1
                                        ; implicit-def: $vgpr21_vgpr22
	s_and_saveexec_b64 s[24:25], s[22:23]
	s_xor_b64 s[22:23], exec, s[24:25]
; %bb.31:                               ;   in Loop: Header=BB157_2 Depth=1
	v_lshlrev_b32_e32 v21, 3, v100
	ds_read_b64 v[21:22], v21 offset:8
; %bb.32:                               ;   in Loop: Header=BB157_2 Depth=1
	s_or_saveexec_b64 s[22:23], s[22:23]
	v_mov_b32_e32 v24, v20
	v_mov_b32_e32 v23, v19
	s_xor_b64 exec, exec, s[22:23]
	s_cbranch_execz .LBB157_34
; %bb.33:                               ;   in Loop: Header=BB157_2 Depth=1
	s_waitcnt lgkmcnt(0)
	v_lshlrev_b32_e32 v21, 3, v99
	ds_read_b64 v[23:24], v21 offset:8
	v_mov_b32_e32 v22, v18
	v_mov_b32_e32 v21, v17
.LBB157_34:                             ;   in Loop: Header=BB157_2 Depth=1
	s_or_b64 exec, exec, s[22:23]
	v_cndmask_b32_e64 v18, v18, v20, s[20:21]
	v_add_u32_e32 v20, 1, v100
	v_cndmask_b32_e64 v17, v17, v19, s[20:21]
	v_add_u32_e32 v19, 1, v99
	v_cndmask_b32_e64 v20, v20, v100, s[20:21]
	v_cndmask_b32_e64 v14, v14, v16, s[18:19]
	;; [unrolled: 1-line block ×4, first 2 shown]
	s_waitcnt lgkmcnt(0)
	v_cmp_lt_i64_e64 s[18:19], v[23:24], v[21:22]
	v_cndmask_b32_e64 v19, v99, v19, s[20:21]
	v_cndmask_b32_e64 v99, v100, v99, s[20:21]
	v_cmp_ge_i32_e64 s[20:21], v20, v35
	v_cndmask_b32_e64 v10, v10, v12, s[16:17]
	v_cndmask_b32_e64 v9, v9, v11, s[16:17]
	;; [unrolled: 1-line block ×3, first 2 shown]
	v_cmp_lt_i32_e64 s[16:17], v19, v36
	s_or_b64 s[18:19], s[20:21], s[18:19]
	s_and_b64 s[16:17], s[16:17], s[18:19]
	v_cndmask_b32_e64 v19, v20, v19, s[16:17]
	s_barrier
	ds_write2_b64 v85, v[5:6], v[7:8] offset1:1
	ds_write2_b64 v85, v[1:2], v[3:4] offset0:2 offset1:3
	v_lshlrev_b32_e32 v1, 3, v16
	v_lshlrev_b32_e32 v2, 3, v15
	;; [unrolled: 1-line block ×4, first 2 shown]
	s_waitcnt lgkmcnt(0)
	s_barrier
	ds_read_b64 v[5:6], v1
	ds_read_b64 v[7:8], v2
	;; [unrolled: 1-line block ×4, first 2 shown]
	v_cndmask_b32_e64 v12, v22, v24, s[16:17]
	v_cndmask_b32_e64 v11, v21, v23, s[16:17]
	s_waitcnt lgkmcnt(0)
	s_barrier
	ds_write2_b64 v85, v[9:10], v[13:14] offset1:1
	ds_write2_b64 v85, v[17:18], v[11:12] offset0:2 offset1:3
	v_mov_b32_e32 v13, v53
	s_waitcnt lgkmcnt(0)
	s_barrier
	s_and_saveexec_b64 s[18:19], s[2:3]
	s_cbranch_execz .LBB157_38
; %bb.35:                               ;   in Loop: Header=BB157_2 Depth=1
	s_mov_b64 s[20:21], 0
	v_mov_b32_e32 v13, v53
	v_mov_b32_e32 v9, v54
.LBB157_36:                             ;   Parent Loop BB157_2 Depth=1
                                        ; =>  This Inner Loop Header: Depth=2
	v_sub_u32_e32 v10, v9, v13
	v_lshrrev_b32_e32 v10, 1, v10
	v_add_u32_e32 v12, v10, v13
	v_not_b32_e32 v11, v12
	v_lshl_add_u32 v10, v12, 3, v88
	v_lshl_add_u32 v14, v11, 3, v74
	ds_read_b64 v[10:11], v10
	ds_read_b64 v[14:15], v14
	v_add_u32_e32 v16, 1, v12
	s_waitcnt lgkmcnt(0)
	v_cmp_lt_i64_e64 s[16:17], v[14:15], v[10:11]
	v_cndmask_b32_e64 v9, v9, v12, s[16:17]
	v_cndmask_b32_e64 v13, v16, v13, s[16:17]
	v_cmp_ge_i32_e64 s[16:17], v13, v9
	s_or_b64 s[20:21], s[16:17], s[20:21]
	s_andn2_b64 exec, exec, s[20:21]
	s_cbranch_execnz .LBB157_36
; %bb.37:                               ;   in Loop: Header=BB157_2 Depth=1
	s_or_b64 exec, exec, s[20:21]
.LBB157_38:                             ;   in Loop: Header=BB157_2 Depth=1
	s_or_b64 exec, exec, s[18:19]
	v_sub_u32_e32 v95, v73, v13
	v_lshl_add_u32 v15, v13, 3, v88
	v_lshlrev_b32_e32 v17, 3, v95
	ds_read_b64 v[9:10], v15
	ds_read_b64 v[11:12], v17
	v_add_u32_e32 v96, v13, v27
	v_cmp_le_i32_e64 s[20:21], v37, v96
	v_cmp_gt_i32_e64 s[16:17], v38, v95
                                        ; implicit-def: $vgpr13_vgpr14
	s_waitcnt lgkmcnt(0)
	v_cmp_lt_i64_e64 s[18:19], v[11:12], v[9:10]
	s_or_b64 s[18:19], s[20:21], s[18:19]
	s_and_b64 s[16:17], s[16:17], s[18:19]
	s_xor_b64 s[18:19], s[16:17], -1
	s_and_saveexec_b64 s[20:21], s[18:19]
	s_xor_b64 s[18:19], exec, s[20:21]
; %bb.39:                               ;   in Loop: Header=BB157_2 Depth=1
	ds_read_b64 v[13:14], v15 offset:8
                                        ; implicit-def: $vgpr17
; %bb.40:                               ;   in Loop: Header=BB157_2 Depth=1
	s_or_saveexec_b64 s[18:19], s[18:19]
	v_mov_b32_e32 v16, v12
	v_mov_b32_e32 v15, v11
	s_xor_b64 exec, exec, s[18:19]
	s_cbranch_execz .LBB157_42
; %bb.41:                               ;   in Loop: Header=BB157_2 Depth=1
	ds_read_b64 v[15:16], v17 offset:8
	s_waitcnt lgkmcnt(1)
	v_mov_b32_e32 v14, v10
	v_mov_b32_e32 v13, v9
.LBB157_42:                             ;   in Loop: Header=BB157_2 Depth=1
	s_or_b64 exec, exec, s[18:19]
	v_add_u32_e32 v18, 1, v96
	v_add_u32_e32 v17, 1, v95
	v_cndmask_b32_e64 v98, v18, v96, s[16:17]
	s_waitcnt lgkmcnt(0)
	v_cmp_lt_i64_e64 s[20:21], v[15:16], v[13:14]
	v_cndmask_b32_e64 v97, v95, v17, s[16:17]
	v_cmp_ge_i32_e64 s[22:23], v98, v37
	v_cmp_lt_i32_e64 s[18:19], v97, v38
	s_or_b64 s[20:21], s[22:23], s[20:21]
	s_and_b64 s[18:19], s[18:19], s[20:21]
	s_xor_b64 s[20:21], s[18:19], -1
                                        ; implicit-def: $vgpr17_vgpr18
	s_and_saveexec_b64 s[22:23], s[20:21]
	s_xor_b64 s[20:21], exec, s[22:23]
; %bb.43:                               ;   in Loop: Header=BB157_2 Depth=1
	v_lshlrev_b32_e32 v17, 3, v98
	ds_read_b64 v[17:18], v17 offset:8
; %bb.44:                               ;   in Loop: Header=BB157_2 Depth=1
	s_or_saveexec_b64 s[20:21], s[20:21]
	v_mov_b32_e32 v20, v16
	v_mov_b32_e32 v19, v15
	s_xor_b64 exec, exec, s[20:21]
	s_cbranch_execz .LBB157_46
; %bb.45:                               ;   in Loop: Header=BB157_2 Depth=1
	s_waitcnt lgkmcnt(0)
	v_lshlrev_b32_e32 v17, 3, v97
	ds_read_b64 v[19:20], v17 offset:8
	v_mov_b32_e32 v18, v14
	v_mov_b32_e32 v17, v13
.LBB157_46:                             ;   in Loop: Header=BB157_2 Depth=1
	s_or_b64 exec, exec, s[20:21]
	v_add_u32_e32 v22, 1, v98
	v_add_u32_e32 v21, 1, v97
	v_cndmask_b32_e64 v100, v22, v98, s[18:19]
	s_waitcnt lgkmcnt(0)
	v_cmp_lt_i64_e64 s[22:23], v[19:20], v[17:18]
	v_cndmask_b32_e64 v99, v97, v21, s[18:19]
	v_cmp_ge_i32_e64 s[24:25], v100, v37
	v_cmp_lt_i32_e64 s[20:21], v99, v38
	s_or_b64 s[22:23], s[24:25], s[22:23]
	s_and_b64 s[20:21], s[20:21], s[22:23]
	s_xor_b64 s[22:23], s[20:21], -1
                                        ; implicit-def: $vgpr21_vgpr22
	s_and_saveexec_b64 s[24:25], s[22:23]
	s_xor_b64 s[22:23], exec, s[24:25]
; %bb.47:                               ;   in Loop: Header=BB157_2 Depth=1
	v_lshlrev_b32_e32 v21, 3, v100
	ds_read_b64 v[21:22], v21 offset:8
; %bb.48:                               ;   in Loop: Header=BB157_2 Depth=1
	s_or_saveexec_b64 s[22:23], s[22:23]
	v_mov_b32_e32 v24, v20
	v_mov_b32_e32 v23, v19
	s_xor_b64 exec, exec, s[22:23]
	s_cbranch_execz .LBB157_50
; %bb.49:                               ;   in Loop: Header=BB157_2 Depth=1
	s_waitcnt lgkmcnt(0)
	v_lshlrev_b32_e32 v21, 3, v99
	ds_read_b64 v[23:24], v21 offset:8
	v_mov_b32_e32 v22, v18
	v_mov_b32_e32 v21, v17
.LBB157_50:                             ;   in Loop: Header=BB157_2 Depth=1
	s_or_b64 exec, exec, s[22:23]
	v_cndmask_b32_e64 v18, v18, v20, s[20:21]
	v_add_u32_e32 v20, 1, v100
	v_cndmask_b32_e64 v17, v17, v19, s[20:21]
	v_add_u32_e32 v19, 1, v99
	v_cndmask_b32_e64 v20, v20, v100, s[20:21]
	v_cndmask_b32_e64 v14, v14, v16, s[18:19]
	;; [unrolled: 1-line block ×4, first 2 shown]
	s_waitcnt lgkmcnt(0)
	v_cmp_lt_i64_e64 s[18:19], v[23:24], v[21:22]
	v_cndmask_b32_e64 v19, v99, v19, s[20:21]
	v_cndmask_b32_e64 v99, v100, v99, s[20:21]
	v_cmp_ge_i32_e64 s[20:21], v20, v37
	v_cndmask_b32_e64 v10, v10, v12, s[16:17]
	v_cndmask_b32_e64 v9, v9, v11, s[16:17]
	;; [unrolled: 1-line block ×3, first 2 shown]
	v_cmp_lt_i32_e64 s[16:17], v19, v38
	s_or_b64 s[18:19], s[20:21], s[18:19]
	s_and_b64 s[16:17], s[16:17], s[18:19]
	v_cndmask_b32_e64 v19, v20, v19, s[16:17]
	s_barrier
	ds_write2_b64 v85, v[5:6], v[7:8] offset1:1
	ds_write2_b64 v85, v[1:2], v[3:4] offset0:2 offset1:3
	v_lshlrev_b32_e32 v1, 3, v16
	v_lshlrev_b32_e32 v2, 3, v15
	;; [unrolled: 1-line block ×4, first 2 shown]
	s_waitcnt lgkmcnt(0)
	s_barrier
	ds_read_b64 v[5:6], v1
	ds_read_b64 v[7:8], v2
	;; [unrolled: 1-line block ×4, first 2 shown]
	v_cndmask_b32_e64 v12, v22, v24, s[16:17]
	v_cndmask_b32_e64 v11, v21, v23, s[16:17]
	s_waitcnt lgkmcnt(0)
	s_barrier
	ds_write2_b64 v85, v[9:10], v[13:14] offset1:1
	ds_write2_b64 v85, v[17:18], v[11:12] offset0:2 offset1:3
	v_mov_b32_e32 v13, v55
	s_waitcnt lgkmcnt(0)
	s_barrier
	s_and_saveexec_b64 s[18:19], s[4:5]
	s_cbranch_execz .LBB157_54
; %bb.51:                               ;   in Loop: Header=BB157_2 Depth=1
	s_mov_b64 s[20:21], 0
	v_mov_b32_e32 v13, v55
	v_mov_b32_e32 v9, v56
.LBB157_52:                             ;   Parent Loop BB157_2 Depth=1
                                        ; =>  This Inner Loop Header: Depth=2
	v_sub_u32_e32 v10, v9, v13
	v_lshrrev_b32_e32 v10, 1, v10
	v_add_u32_e32 v12, v10, v13
	v_not_b32_e32 v11, v12
	v_lshl_add_u32 v10, v12, 3, v89
	v_lshl_add_u32 v14, v11, 3, v76
	ds_read_b64 v[10:11], v10
	ds_read_b64 v[14:15], v14
	v_add_u32_e32 v16, 1, v12
	s_waitcnt lgkmcnt(0)
	v_cmp_lt_i64_e64 s[16:17], v[14:15], v[10:11]
	v_cndmask_b32_e64 v9, v9, v12, s[16:17]
	v_cndmask_b32_e64 v13, v16, v13, s[16:17]
	v_cmp_ge_i32_e64 s[16:17], v13, v9
	s_or_b64 s[20:21], s[16:17], s[20:21]
	s_andn2_b64 exec, exec, s[20:21]
	s_cbranch_execnz .LBB157_52
; %bb.53:                               ;   in Loop: Header=BB157_2 Depth=1
	s_or_b64 exec, exec, s[20:21]
.LBB157_54:                             ;   in Loop: Header=BB157_2 Depth=1
	s_or_b64 exec, exec, s[18:19]
	v_sub_u32_e32 v95, v75, v13
	v_lshl_add_u32 v15, v13, 3, v89
	v_lshlrev_b32_e32 v17, 3, v95
	ds_read_b64 v[9:10], v15
	ds_read_b64 v[11:12], v17
	v_add_u32_e32 v96, v13, v28
	v_cmp_le_i32_e64 s[20:21], v39, v96
	v_cmp_gt_i32_e64 s[16:17], v40, v95
                                        ; implicit-def: $vgpr13_vgpr14
	s_waitcnt lgkmcnt(0)
	v_cmp_lt_i64_e64 s[18:19], v[11:12], v[9:10]
	s_or_b64 s[18:19], s[20:21], s[18:19]
	s_and_b64 s[16:17], s[16:17], s[18:19]
	s_xor_b64 s[18:19], s[16:17], -1
	s_and_saveexec_b64 s[20:21], s[18:19]
	s_xor_b64 s[18:19], exec, s[20:21]
; %bb.55:                               ;   in Loop: Header=BB157_2 Depth=1
	ds_read_b64 v[13:14], v15 offset:8
                                        ; implicit-def: $vgpr17
; %bb.56:                               ;   in Loop: Header=BB157_2 Depth=1
	s_or_saveexec_b64 s[18:19], s[18:19]
	v_mov_b32_e32 v16, v12
	v_mov_b32_e32 v15, v11
	s_xor_b64 exec, exec, s[18:19]
	s_cbranch_execz .LBB157_58
; %bb.57:                               ;   in Loop: Header=BB157_2 Depth=1
	ds_read_b64 v[15:16], v17 offset:8
	s_waitcnt lgkmcnt(1)
	v_mov_b32_e32 v14, v10
	v_mov_b32_e32 v13, v9
.LBB157_58:                             ;   in Loop: Header=BB157_2 Depth=1
	s_or_b64 exec, exec, s[18:19]
	v_add_u32_e32 v18, 1, v96
	v_add_u32_e32 v17, 1, v95
	v_cndmask_b32_e64 v98, v18, v96, s[16:17]
	s_waitcnt lgkmcnt(0)
	v_cmp_lt_i64_e64 s[20:21], v[15:16], v[13:14]
	v_cndmask_b32_e64 v97, v95, v17, s[16:17]
	v_cmp_ge_i32_e64 s[22:23], v98, v39
	v_cmp_lt_i32_e64 s[18:19], v97, v40
	s_or_b64 s[20:21], s[22:23], s[20:21]
	s_and_b64 s[18:19], s[18:19], s[20:21]
	s_xor_b64 s[20:21], s[18:19], -1
                                        ; implicit-def: $vgpr17_vgpr18
	s_and_saveexec_b64 s[22:23], s[20:21]
	s_xor_b64 s[20:21], exec, s[22:23]
; %bb.59:                               ;   in Loop: Header=BB157_2 Depth=1
	v_lshlrev_b32_e32 v17, 3, v98
	ds_read_b64 v[17:18], v17 offset:8
; %bb.60:                               ;   in Loop: Header=BB157_2 Depth=1
	s_or_saveexec_b64 s[20:21], s[20:21]
	v_mov_b32_e32 v20, v16
	v_mov_b32_e32 v19, v15
	s_xor_b64 exec, exec, s[20:21]
	s_cbranch_execz .LBB157_62
; %bb.61:                               ;   in Loop: Header=BB157_2 Depth=1
	s_waitcnt lgkmcnt(0)
	v_lshlrev_b32_e32 v17, 3, v97
	ds_read_b64 v[19:20], v17 offset:8
	v_mov_b32_e32 v18, v14
	v_mov_b32_e32 v17, v13
.LBB157_62:                             ;   in Loop: Header=BB157_2 Depth=1
	s_or_b64 exec, exec, s[20:21]
	v_add_u32_e32 v22, 1, v98
	v_add_u32_e32 v21, 1, v97
	v_cndmask_b32_e64 v100, v22, v98, s[18:19]
	s_waitcnt lgkmcnt(0)
	v_cmp_lt_i64_e64 s[22:23], v[19:20], v[17:18]
	v_cndmask_b32_e64 v99, v97, v21, s[18:19]
	v_cmp_ge_i32_e64 s[24:25], v100, v39
	v_cmp_lt_i32_e64 s[20:21], v99, v40
	s_or_b64 s[22:23], s[24:25], s[22:23]
	s_and_b64 s[20:21], s[20:21], s[22:23]
	s_xor_b64 s[22:23], s[20:21], -1
                                        ; implicit-def: $vgpr21_vgpr22
	s_and_saveexec_b64 s[24:25], s[22:23]
	s_xor_b64 s[22:23], exec, s[24:25]
; %bb.63:                               ;   in Loop: Header=BB157_2 Depth=1
	v_lshlrev_b32_e32 v21, 3, v100
	ds_read_b64 v[21:22], v21 offset:8
; %bb.64:                               ;   in Loop: Header=BB157_2 Depth=1
	s_or_saveexec_b64 s[22:23], s[22:23]
	v_mov_b32_e32 v24, v20
	v_mov_b32_e32 v23, v19
	s_xor_b64 exec, exec, s[22:23]
	s_cbranch_execz .LBB157_66
; %bb.65:                               ;   in Loop: Header=BB157_2 Depth=1
	s_waitcnt lgkmcnt(0)
	v_lshlrev_b32_e32 v21, 3, v99
	ds_read_b64 v[23:24], v21 offset:8
	v_mov_b32_e32 v22, v18
	v_mov_b32_e32 v21, v17
.LBB157_66:                             ;   in Loop: Header=BB157_2 Depth=1
	s_or_b64 exec, exec, s[22:23]
	v_cndmask_b32_e64 v18, v18, v20, s[20:21]
	v_add_u32_e32 v20, 1, v100
	v_cndmask_b32_e64 v17, v17, v19, s[20:21]
	v_add_u32_e32 v19, 1, v99
	v_cndmask_b32_e64 v20, v20, v100, s[20:21]
	v_cndmask_b32_e64 v14, v14, v16, s[18:19]
	;; [unrolled: 1-line block ×4, first 2 shown]
	s_waitcnt lgkmcnt(0)
	v_cmp_lt_i64_e64 s[18:19], v[23:24], v[21:22]
	v_cndmask_b32_e64 v19, v99, v19, s[20:21]
	v_cndmask_b32_e64 v99, v100, v99, s[20:21]
	v_cmp_ge_i32_e64 s[20:21], v20, v39
	v_cndmask_b32_e64 v10, v10, v12, s[16:17]
	v_cndmask_b32_e64 v9, v9, v11, s[16:17]
	;; [unrolled: 1-line block ×3, first 2 shown]
	v_cmp_lt_i32_e64 s[16:17], v19, v40
	s_or_b64 s[18:19], s[20:21], s[18:19]
	s_and_b64 s[16:17], s[16:17], s[18:19]
	v_cndmask_b32_e64 v19, v20, v19, s[16:17]
	s_barrier
	ds_write2_b64 v85, v[5:6], v[7:8] offset1:1
	ds_write2_b64 v85, v[1:2], v[3:4] offset0:2 offset1:3
	v_lshlrev_b32_e32 v1, 3, v16
	v_lshlrev_b32_e32 v2, 3, v15
	;; [unrolled: 1-line block ×4, first 2 shown]
	s_waitcnt lgkmcnt(0)
	s_barrier
	ds_read_b64 v[5:6], v1
	ds_read_b64 v[7:8], v2
	ds_read_b64 v[1:2], v3
	ds_read_b64 v[3:4], v4
	v_cndmask_b32_e64 v12, v22, v24, s[16:17]
	v_cndmask_b32_e64 v11, v21, v23, s[16:17]
	s_waitcnt lgkmcnt(0)
	s_barrier
	ds_write2_b64 v85, v[9:10], v[13:14] offset1:1
	ds_write2_b64 v85, v[17:18], v[11:12] offset0:2 offset1:3
	v_mov_b32_e32 v13, v57
	s_waitcnt lgkmcnt(0)
	s_barrier
	s_and_saveexec_b64 s[18:19], s[6:7]
	s_cbranch_execz .LBB157_70
; %bb.67:                               ;   in Loop: Header=BB157_2 Depth=1
	s_mov_b64 s[20:21], 0
	v_mov_b32_e32 v13, v57
	v_mov_b32_e32 v9, v58
.LBB157_68:                             ;   Parent Loop BB157_2 Depth=1
                                        ; =>  This Inner Loop Header: Depth=2
	v_sub_u32_e32 v10, v9, v13
	v_lshrrev_b32_e32 v10, 1, v10
	v_add_u32_e32 v12, v10, v13
	v_not_b32_e32 v11, v12
	v_lshl_add_u32 v10, v12, 3, v90
	v_lshl_add_u32 v14, v11, 3, v78
	ds_read_b64 v[10:11], v10
	ds_read_b64 v[14:15], v14
	v_add_u32_e32 v16, 1, v12
	s_waitcnt lgkmcnt(0)
	v_cmp_lt_i64_e64 s[16:17], v[14:15], v[10:11]
	v_cndmask_b32_e64 v9, v9, v12, s[16:17]
	v_cndmask_b32_e64 v13, v16, v13, s[16:17]
	v_cmp_ge_i32_e64 s[16:17], v13, v9
	s_or_b64 s[20:21], s[16:17], s[20:21]
	s_andn2_b64 exec, exec, s[20:21]
	s_cbranch_execnz .LBB157_68
; %bb.69:                               ;   in Loop: Header=BB157_2 Depth=1
	s_or_b64 exec, exec, s[20:21]
.LBB157_70:                             ;   in Loop: Header=BB157_2 Depth=1
	s_or_b64 exec, exec, s[18:19]
	v_sub_u32_e32 v95, v77, v13
	v_lshl_add_u32 v15, v13, 3, v90
	v_lshlrev_b32_e32 v17, 3, v95
	ds_read_b64 v[9:10], v15
	ds_read_b64 v[11:12], v17
	v_add_u32_e32 v96, v13, v29
	v_cmp_le_i32_e64 s[20:21], v41, v96
	v_cmp_gt_i32_e64 s[16:17], v42, v95
                                        ; implicit-def: $vgpr13_vgpr14
	s_waitcnt lgkmcnt(0)
	v_cmp_lt_i64_e64 s[18:19], v[11:12], v[9:10]
	s_or_b64 s[18:19], s[20:21], s[18:19]
	s_and_b64 s[16:17], s[16:17], s[18:19]
	s_xor_b64 s[18:19], s[16:17], -1
	s_and_saveexec_b64 s[20:21], s[18:19]
	s_xor_b64 s[18:19], exec, s[20:21]
; %bb.71:                               ;   in Loop: Header=BB157_2 Depth=1
	ds_read_b64 v[13:14], v15 offset:8
                                        ; implicit-def: $vgpr17
; %bb.72:                               ;   in Loop: Header=BB157_2 Depth=1
	s_or_saveexec_b64 s[18:19], s[18:19]
	v_mov_b32_e32 v16, v12
	v_mov_b32_e32 v15, v11
	s_xor_b64 exec, exec, s[18:19]
	s_cbranch_execz .LBB157_74
; %bb.73:                               ;   in Loop: Header=BB157_2 Depth=1
	ds_read_b64 v[15:16], v17 offset:8
	s_waitcnt lgkmcnt(1)
	v_mov_b32_e32 v14, v10
	v_mov_b32_e32 v13, v9
.LBB157_74:                             ;   in Loop: Header=BB157_2 Depth=1
	s_or_b64 exec, exec, s[18:19]
	v_add_u32_e32 v18, 1, v96
	v_add_u32_e32 v17, 1, v95
	v_cndmask_b32_e64 v98, v18, v96, s[16:17]
	s_waitcnt lgkmcnt(0)
	v_cmp_lt_i64_e64 s[20:21], v[15:16], v[13:14]
	v_cndmask_b32_e64 v97, v95, v17, s[16:17]
	v_cmp_ge_i32_e64 s[22:23], v98, v41
	v_cmp_lt_i32_e64 s[18:19], v97, v42
	s_or_b64 s[20:21], s[22:23], s[20:21]
	s_and_b64 s[18:19], s[18:19], s[20:21]
	s_xor_b64 s[20:21], s[18:19], -1
                                        ; implicit-def: $vgpr17_vgpr18
	s_and_saveexec_b64 s[22:23], s[20:21]
	s_xor_b64 s[20:21], exec, s[22:23]
; %bb.75:                               ;   in Loop: Header=BB157_2 Depth=1
	v_lshlrev_b32_e32 v17, 3, v98
	ds_read_b64 v[17:18], v17 offset:8
; %bb.76:                               ;   in Loop: Header=BB157_2 Depth=1
	s_or_saveexec_b64 s[20:21], s[20:21]
	v_mov_b32_e32 v20, v16
	v_mov_b32_e32 v19, v15
	s_xor_b64 exec, exec, s[20:21]
	s_cbranch_execz .LBB157_78
; %bb.77:                               ;   in Loop: Header=BB157_2 Depth=1
	s_waitcnt lgkmcnt(0)
	v_lshlrev_b32_e32 v17, 3, v97
	ds_read_b64 v[19:20], v17 offset:8
	v_mov_b32_e32 v18, v14
	v_mov_b32_e32 v17, v13
.LBB157_78:                             ;   in Loop: Header=BB157_2 Depth=1
	s_or_b64 exec, exec, s[20:21]
	v_add_u32_e32 v22, 1, v98
	v_add_u32_e32 v21, 1, v97
	v_cndmask_b32_e64 v100, v22, v98, s[18:19]
	s_waitcnt lgkmcnt(0)
	v_cmp_lt_i64_e64 s[22:23], v[19:20], v[17:18]
	v_cndmask_b32_e64 v99, v97, v21, s[18:19]
	v_cmp_ge_i32_e64 s[24:25], v100, v41
	v_cmp_lt_i32_e64 s[20:21], v99, v42
	s_or_b64 s[22:23], s[24:25], s[22:23]
	s_and_b64 s[20:21], s[20:21], s[22:23]
	s_xor_b64 s[22:23], s[20:21], -1
                                        ; implicit-def: $vgpr21_vgpr22
	s_and_saveexec_b64 s[24:25], s[22:23]
	s_xor_b64 s[22:23], exec, s[24:25]
; %bb.79:                               ;   in Loop: Header=BB157_2 Depth=1
	v_lshlrev_b32_e32 v21, 3, v100
	ds_read_b64 v[21:22], v21 offset:8
; %bb.80:                               ;   in Loop: Header=BB157_2 Depth=1
	s_or_saveexec_b64 s[22:23], s[22:23]
	v_mov_b32_e32 v24, v20
	v_mov_b32_e32 v23, v19
	s_xor_b64 exec, exec, s[22:23]
	s_cbranch_execz .LBB157_82
; %bb.81:                               ;   in Loop: Header=BB157_2 Depth=1
	s_waitcnt lgkmcnt(0)
	v_lshlrev_b32_e32 v21, 3, v99
	ds_read_b64 v[23:24], v21 offset:8
	v_mov_b32_e32 v22, v18
	v_mov_b32_e32 v21, v17
.LBB157_82:                             ;   in Loop: Header=BB157_2 Depth=1
	s_or_b64 exec, exec, s[22:23]
	v_cndmask_b32_e64 v18, v18, v20, s[20:21]
	v_add_u32_e32 v20, 1, v100
	v_cndmask_b32_e64 v17, v17, v19, s[20:21]
	v_add_u32_e32 v19, 1, v99
	v_cndmask_b32_e64 v20, v20, v100, s[20:21]
	v_cndmask_b32_e64 v14, v14, v16, s[18:19]
	;; [unrolled: 1-line block ×4, first 2 shown]
	s_waitcnt lgkmcnt(0)
	v_cmp_lt_i64_e64 s[18:19], v[23:24], v[21:22]
	v_cndmask_b32_e64 v19, v99, v19, s[20:21]
	v_cndmask_b32_e64 v99, v100, v99, s[20:21]
	v_cmp_ge_i32_e64 s[20:21], v20, v41
	v_cndmask_b32_e64 v10, v10, v12, s[16:17]
	v_cndmask_b32_e64 v9, v9, v11, s[16:17]
	;; [unrolled: 1-line block ×3, first 2 shown]
	v_cmp_lt_i32_e64 s[16:17], v19, v42
	s_or_b64 s[18:19], s[20:21], s[18:19]
	s_and_b64 s[16:17], s[16:17], s[18:19]
	v_cndmask_b32_e64 v19, v20, v19, s[16:17]
	s_barrier
	ds_write2_b64 v85, v[5:6], v[7:8] offset1:1
	ds_write2_b64 v85, v[1:2], v[3:4] offset0:2 offset1:3
	v_lshlrev_b32_e32 v1, 3, v16
	v_lshlrev_b32_e32 v2, 3, v15
	;; [unrolled: 1-line block ×4, first 2 shown]
	s_waitcnt lgkmcnt(0)
	s_barrier
	ds_read_b64 v[5:6], v1
	ds_read_b64 v[7:8], v2
	;; [unrolled: 1-line block ×4, first 2 shown]
	v_cndmask_b32_e64 v12, v22, v24, s[16:17]
	v_cndmask_b32_e64 v11, v21, v23, s[16:17]
	s_waitcnt lgkmcnt(0)
	s_barrier
	ds_write2_b64 v85, v[9:10], v[13:14] offset1:1
	ds_write2_b64 v85, v[17:18], v[11:12] offset0:2 offset1:3
	v_mov_b32_e32 v13, v59
	s_waitcnt lgkmcnt(0)
	s_barrier
	s_and_saveexec_b64 s[18:19], s[8:9]
	s_cbranch_execz .LBB157_86
; %bb.83:                               ;   in Loop: Header=BB157_2 Depth=1
	s_mov_b64 s[20:21], 0
	v_mov_b32_e32 v13, v59
	v_mov_b32_e32 v9, v60
.LBB157_84:                             ;   Parent Loop BB157_2 Depth=1
                                        ; =>  This Inner Loop Header: Depth=2
	v_sub_u32_e32 v10, v9, v13
	v_lshrrev_b32_e32 v10, 1, v10
	v_add_u32_e32 v12, v10, v13
	v_not_b32_e32 v11, v12
	v_lshl_add_u32 v10, v12, 3, v91
	v_lshl_add_u32 v14, v11, 3, v80
	ds_read_b64 v[10:11], v10
	ds_read_b64 v[14:15], v14
	v_add_u32_e32 v16, 1, v12
	s_waitcnt lgkmcnt(0)
	v_cmp_lt_i64_e64 s[16:17], v[14:15], v[10:11]
	v_cndmask_b32_e64 v9, v9, v12, s[16:17]
	v_cndmask_b32_e64 v13, v16, v13, s[16:17]
	v_cmp_ge_i32_e64 s[16:17], v13, v9
	s_or_b64 s[20:21], s[16:17], s[20:21]
	s_andn2_b64 exec, exec, s[20:21]
	s_cbranch_execnz .LBB157_84
; %bb.85:                               ;   in Loop: Header=BB157_2 Depth=1
	s_or_b64 exec, exec, s[20:21]
.LBB157_86:                             ;   in Loop: Header=BB157_2 Depth=1
	s_or_b64 exec, exec, s[18:19]
	v_sub_u32_e32 v95, v79, v13
	v_lshl_add_u32 v15, v13, 3, v91
	v_lshlrev_b32_e32 v17, 3, v95
	ds_read_b64 v[9:10], v15
	ds_read_b64 v[11:12], v17
	v_add_u32_e32 v96, v13, v30
	v_cmp_le_i32_e64 s[20:21], v43, v96
	v_cmp_gt_i32_e64 s[16:17], v44, v95
                                        ; implicit-def: $vgpr13_vgpr14
	s_waitcnt lgkmcnt(0)
	v_cmp_lt_i64_e64 s[18:19], v[11:12], v[9:10]
	s_or_b64 s[18:19], s[20:21], s[18:19]
	s_and_b64 s[16:17], s[16:17], s[18:19]
	s_xor_b64 s[18:19], s[16:17], -1
	s_and_saveexec_b64 s[20:21], s[18:19]
	s_xor_b64 s[18:19], exec, s[20:21]
; %bb.87:                               ;   in Loop: Header=BB157_2 Depth=1
	ds_read_b64 v[13:14], v15 offset:8
                                        ; implicit-def: $vgpr17
; %bb.88:                               ;   in Loop: Header=BB157_2 Depth=1
	s_or_saveexec_b64 s[18:19], s[18:19]
	v_mov_b32_e32 v16, v12
	v_mov_b32_e32 v15, v11
	s_xor_b64 exec, exec, s[18:19]
	s_cbranch_execz .LBB157_90
; %bb.89:                               ;   in Loop: Header=BB157_2 Depth=1
	ds_read_b64 v[15:16], v17 offset:8
	s_waitcnt lgkmcnt(1)
	v_mov_b32_e32 v14, v10
	v_mov_b32_e32 v13, v9
.LBB157_90:                             ;   in Loop: Header=BB157_2 Depth=1
	s_or_b64 exec, exec, s[18:19]
	v_add_u32_e32 v18, 1, v96
	v_add_u32_e32 v17, 1, v95
	v_cndmask_b32_e64 v98, v18, v96, s[16:17]
	s_waitcnt lgkmcnt(0)
	v_cmp_lt_i64_e64 s[20:21], v[15:16], v[13:14]
	v_cndmask_b32_e64 v97, v95, v17, s[16:17]
	v_cmp_ge_i32_e64 s[22:23], v98, v43
	v_cmp_lt_i32_e64 s[18:19], v97, v44
	s_or_b64 s[20:21], s[22:23], s[20:21]
	s_and_b64 s[18:19], s[18:19], s[20:21]
	s_xor_b64 s[20:21], s[18:19], -1
                                        ; implicit-def: $vgpr17_vgpr18
	s_and_saveexec_b64 s[22:23], s[20:21]
	s_xor_b64 s[20:21], exec, s[22:23]
; %bb.91:                               ;   in Loop: Header=BB157_2 Depth=1
	v_lshlrev_b32_e32 v17, 3, v98
	ds_read_b64 v[17:18], v17 offset:8
; %bb.92:                               ;   in Loop: Header=BB157_2 Depth=1
	s_or_saveexec_b64 s[20:21], s[20:21]
	v_mov_b32_e32 v20, v16
	v_mov_b32_e32 v19, v15
	s_xor_b64 exec, exec, s[20:21]
	s_cbranch_execz .LBB157_94
; %bb.93:                               ;   in Loop: Header=BB157_2 Depth=1
	s_waitcnt lgkmcnt(0)
	v_lshlrev_b32_e32 v17, 3, v97
	ds_read_b64 v[19:20], v17 offset:8
	v_mov_b32_e32 v18, v14
	v_mov_b32_e32 v17, v13
.LBB157_94:                             ;   in Loop: Header=BB157_2 Depth=1
	s_or_b64 exec, exec, s[20:21]
	v_add_u32_e32 v22, 1, v98
	v_add_u32_e32 v21, 1, v97
	v_cndmask_b32_e64 v100, v22, v98, s[18:19]
	s_waitcnt lgkmcnt(0)
	v_cmp_lt_i64_e64 s[22:23], v[19:20], v[17:18]
	v_cndmask_b32_e64 v99, v97, v21, s[18:19]
	v_cmp_ge_i32_e64 s[24:25], v100, v43
	v_cmp_lt_i32_e64 s[20:21], v99, v44
	s_or_b64 s[22:23], s[24:25], s[22:23]
	s_and_b64 s[20:21], s[20:21], s[22:23]
	s_xor_b64 s[22:23], s[20:21], -1
                                        ; implicit-def: $vgpr21_vgpr22
	s_and_saveexec_b64 s[24:25], s[22:23]
	s_xor_b64 s[22:23], exec, s[24:25]
; %bb.95:                               ;   in Loop: Header=BB157_2 Depth=1
	v_lshlrev_b32_e32 v21, 3, v100
	ds_read_b64 v[21:22], v21 offset:8
; %bb.96:                               ;   in Loop: Header=BB157_2 Depth=1
	s_or_saveexec_b64 s[22:23], s[22:23]
	v_mov_b32_e32 v24, v20
	v_mov_b32_e32 v23, v19
	s_xor_b64 exec, exec, s[22:23]
	s_cbranch_execz .LBB157_98
; %bb.97:                               ;   in Loop: Header=BB157_2 Depth=1
	s_waitcnt lgkmcnt(0)
	v_lshlrev_b32_e32 v21, 3, v99
	ds_read_b64 v[23:24], v21 offset:8
	v_mov_b32_e32 v22, v18
	v_mov_b32_e32 v21, v17
.LBB157_98:                             ;   in Loop: Header=BB157_2 Depth=1
	s_or_b64 exec, exec, s[22:23]
	v_cndmask_b32_e64 v18, v18, v20, s[20:21]
	v_add_u32_e32 v20, 1, v100
	v_cndmask_b32_e64 v17, v17, v19, s[20:21]
	v_add_u32_e32 v19, 1, v99
	v_cndmask_b32_e64 v20, v20, v100, s[20:21]
	v_cndmask_b32_e64 v14, v14, v16, s[18:19]
	;; [unrolled: 1-line block ×4, first 2 shown]
	s_waitcnt lgkmcnt(0)
	v_cmp_lt_i64_e64 s[18:19], v[23:24], v[21:22]
	v_cndmask_b32_e64 v19, v99, v19, s[20:21]
	v_cndmask_b32_e64 v99, v100, v99, s[20:21]
	v_cmp_ge_i32_e64 s[20:21], v20, v43
	v_cndmask_b32_e64 v10, v10, v12, s[16:17]
	v_cndmask_b32_e64 v9, v9, v11, s[16:17]
	;; [unrolled: 1-line block ×3, first 2 shown]
	v_cmp_lt_i32_e64 s[16:17], v19, v44
	s_or_b64 s[18:19], s[20:21], s[18:19]
	s_and_b64 s[16:17], s[16:17], s[18:19]
	v_cndmask_b32_e64 v19, v20, v19, s[16:17]
	s_barrier
	ds_write2_b64 v85, v[5:6], v[7:8] offset1:1
	ds_write2_b64 v85, v[1:2], v[3:4] offset0:2 offset1:3
	v_lshlrev_b32_e32 v1, 3, v16
	v_lshlrev_b32_e32 v2, 3, v15
	;; [unrolled: 1-line block ×4, first 2 shown]
	s_waitcnt lgkmcnt(0)
	s_barrier
	ds_read_b64 v[5:6], v1
	ds_read_b64 v[7:8], v2
	;; [unrolled: 1-line block ×4, first 2 shown]
	v_cndmask_b32_e64 v12, v22, v24, s[16:17]
	v_cndmask_b32_e64 v11, v21, v23, s[16:17]
	s_waitcnt lgkmcnt(0)
	s_barrier
	ds_write2_b64 v85, v[9:10], v[13:14] offset1:1
	ds_write2_b64 v85, v[17:18], v[11:12] offset0:2 offset1:3
	v_mov_b32_e32 v13, v61
	s_waitcnt lgkmcnt(0)
	s_barrier
	s_and_saveexec_b64 s[18:19], s[10:11]
	s_cbranch_execz .LBB157_102
; %bb.99:                               ;   in Loop: Header=BB157_2 Depth=1
	s_mov_b64 s[20:21], 0
	v_mov_b32_e32 v13, v61
	v_mov_b32_e32 v9, v62
.LBB157_100:                            ;   Parent Loop BB157_2 Depth=1
                                        ; =>  This Inner Loop Header: Depth=2
	v_sub_u32_e32 v10, v9, v13
	v_lshrrev_b32_e32 v10, 1, v10
	v_add_u32_e32 v12, v10, v13
	v_not_b32_e32 v11, v12
	v_lshl_add_u32 v10, v12, 3, v92
	v_lshl_add_u32 v14, v11, 3, v82
	ds_read_b64 v[10:11], v10
	ds_read_b64 v[14:15], v14
	v_add_u32_e32 v16, 1, v12
	s_waitcnt lgkmcnt(0)
	v_cmp_lt_i64_e64 s[16:17], v[14:15], v[10:11]
	v_cndmask_b32_e64 v9, v9, v12, s[16:17]
	v_cndmask_b32_e64 v13, v16, v13, s[16:17]
	v_cmp_ge_i32_e64 s[16:17], v13, v9
	s_or_b64 s[20:21], s[16:17], s[20:21]
	s_andn2_b64 exec, exec, s[20:21]
	s_cbranch_execnz .LBB157_100
; %bb.101:                              ;   in Loop: Header=BB157_2 Depth=1
	s_or_b64 exec, exec, s[20:21]
.LBB157_102:                            ;   in Loop: Header=BB157_2 Depth=1
	s_or_b64 exec, exec, s[18:19]
	v_sub_u32_e32 v95, v81, v13
	v_lshl_add_u32 v15, v13, 3, v92
	v_lshlrev_b32_e32 v17, 3, v95
	ds_read_b64 v[9:10], v15
	ds_read_b64 v[11:12], v17
	v_add_u32_e32 v96, v13, v31
	v_cmp_le_i32_e64 s[20:21], v45, v96
	v_cmp_gt_i32_e64 s[16:17], v46, v95
                                        ; implicit-def: $vgpr13_vgpr14
	s_waitcnt lgkmcnt(0)
	v_cmp_lt_i64_e64 s[18:19], v[11:12], v[9:10]
	s_or_b64 s[18:19], s[20:21], s[18:19]
	s_and_b64 s[16:17], s[16:17], s[18:19]
	s_xor_b64 s[18:19], s[16:17], -1
	s_and_saveexec_b64 s[20:21], s[18:19]
	s_xor_b64 s[18:19], exec, s[20:21]
; %bb.103:                              ;   in Loop: Header=BB157_2 Depth=1
	ds_read_b64 v[13:14], v15 offset:8
                                        ; implicit-def: $vgpr17
; %bb.104:                              ;   in Loop: Header=BB157_2 Depth=1
	s_or_saveexec_b64 s[18:19], s[18:19]
	v_mov_b32_e32 v16, v12
	v_mov_b32_e32 v15, v11
	s_xor_b64 exec, exec, s[18:19]
	s_cbranch_execz .LBB157_106
; %bb.105:                              ;   in Loop: Header=BB157_2 Depth=1
	ds_read_b64 v[15:16], v17 offset:8
	s_waitcnt lgkmcnt(1)
	v_mov_b32_e32 v14, v10
	v_mov_b32_e32 v13, v9
.LBB157_106:                            ;   in Loop: Header=BB157_2 Depth=1
	s_or_b64 exec, exec, s[18:19]
	v_add_u32_e32 v18, 1, v96
	v_add_u32_e32 v17, 1, v95
	v_cndmask_b32_e64 v98, v18, v96, s[16:17]
	s_waitcnt lgkmcnt(0)
	v_cmp_lt_i64_e64 s[20:21], v[15:16], v[13:14]
	v_cndmask_b32_e64 v97, v95, v17, s[16:17]
	v_cmp_ge_i32_e64 s[22:23], v98, v45
	v_cmp_lt_i32_e64 s[18:19], v97, v46
	s_or_b64 s[20:21], s[22:23], s[20:21]
	s_and_b64 s[18:19], s[18:19], s[20:21]
	s_xor_b64 s[20:21], s[18:19], -1
                                        ; implicit-def: $vgpr17_vgpr18
	s_and_saveexec_b64 s[22:23], s[20:21]
	s_xor_b64 s[20:21], exec, s[22:23]
; %bb.107:                              ;   in Loop: Header=BB157_2 Depth=1
	v_lshlrev_b32_e32 v17, 3, v98
	ds_read_b64 v[17:18], v17 offset:8
; %bb.108:                              ;   in Loop: Header=BB157_2 Depth=1
	s_or_saveexec_b64 s[20:21], s[20:21]
	v_mov_b32_e32 v20, v16
	v_mov_b32_e32 v19, v15
	s_xor_b64 exec, exec, s[20:21]
	s_cbranch_execz .LBB157_110
; %bb.109:                              ;   in Loop: Header=BB157_2 Depth=1
	s_waitcnt lgkmcnt(0)
	v_lshlrev_b32_e32 v17, 3, v97
	ds_read_b64 v[19:20], v17 offset:8
	v_mov_b32_e32 v18, v14
	v_mov_b32_e32 v17, v13
.LBB157_110:                            ;   in Loop: Header=BB157_2 Depth=1
	s_or_b64 exec, exec, s[20:21]
	v_add_u32_e32 v22, 1, v98
	v_add_u32_e32 v21, 1, v97
	v_cndmask_b32_e64 v100, v22, v98, s[18:19]
	s_waitcnt lgkmcnt(0)
	v_cmp_lt_i64_e64 s[22:23], v[19:20], v[17:18]
	v_cndmask_b32_e64 v99, v97, v21, s[18:19]
	v_cmp_ge_i32_e64 s[24:25], v100, v45
	v_cmp_lt_i32_e64 s[20:21], v99, v46
	s_or_b64 s[22:23], s[24:25], s[22:23]
	s_and_b64 s[20:21], s[20:21], s[22:23]
	s_xor_b64 s[22:23], s[20:21], -1
                                        ; implicit-def: $vgpr21_vgpr22
	s_and_saveexec_b64 s[24:25], s[22:23]
	s_xor_b64 s[22:23], exec, s[24:25]
; %bb.111:                              ;   in Loop: Header=BB157_2 Depth=1
	v_lshlrev_b32_e32 v21, 3, v100
	ds_read_b64 v[21:22], v21 offset:8
; %bb.112:                              ;   in Loop: Header=BB157_2 Depth=1
	s_or_saveexec_b64 s[22:23], s[22:23]
	v_mov_b32_e32 v24, v20
	v_mov_b32_e32 v23, v19
	s_xor_b64 exec, exec, s[22:23]
	s_cbranch_execz .LBB157_114
; %bb.113:                              ;   in Loop: Header=BB157_2 Depth=1
	s_waitcnt lgkmcnt(0)
	v_lshlrev_b32_e32 v21, 3, v99
	ds_read_b64 v[23:24], v21 offset:8
	v_mov_b32_e32 v22, v18
	v_mov_b32_e32 v21, v17
.LBB157_114:                            ;   in Loop: Header=BB157_2 Depth=1
	s_or_b64 exec, exec, s[22:23]
	v_cndmask_b32_e64 v18, v18, v20, s[20:21]
	v_add_u32_e32 v20, 1, v100
	v_cndmask_b32_e64 v17, v17, v19, s[20:21]
	v_add_u32_e32 v19, 1, v99
	v_cndmask_b32_e64 v20, v20, v100, s[20:21]
	v_cndmask_b32_e64 v14, v14, v16, s[18:19]
	;; [unrolled: 1-line block ×4, first 2 shown]
	s_waitcnt lgkmcnt(0)
	v_cmp_lt_i64_e64 s[18:19], v[23:24], v[21:22]
	v_cndmask_b32_e64 v19, v99, v19, s[20:21]
	v_cndmask_b32_e64 v99, v100, v99, s[20:21]
	v_cmp_ge_i32_e64 s[20:21], v20, v45
	v_cndmask_b32_e64 v10, v10, v12, s[16:17]
	v_cndmask_b32_e64 v9, v9, v11, s[16:17]
	;; [unrolled: 1-line block ×3, first 2 shown]
	v_cmp_lt_i32_e64 s[16:17], v19, v46
	s_or_b64 s[18:19], s[20:21], s[18:19]
	s_and_b64 s[16:17], s[16:17], s[18:19]
	v_cndmask_b32_e64 v19, v20, v19, s[16:17]
	s_barrier
	ds_write2_b64 v85, v[5:6], v[7:8] offset1:1
	ds_write2_b64 v85, v[1:2], v[3:4] offset0:2 offset1:3
	v_lshlrev_b32_e32 v1, 3, v16
	v_lshlrev_b32_e32 v2, 3, v15
	;; [unrolled: 1-line block ×4, first 2 shown]
	s_waitcnt lgkmcnt(0)
	s_barrier
	ds_read_b64 v[5:6], v1
	ds_read_b64 v[7:8], v2
	;; [unrolled: 1-line block ×4, first 2 shown]
	v_cndmask_b32_e64 v12, v22, v24, s[16:17]
	v_cndmask_b32_e64 v11, v21, v23, s[16:17]
	s_waitcnt lgkmcnt(0)
	s_barrier
	ds_write2_b64 v85, v[9:10], v[13:14] offset1:1
	ds_write2_b64 v85, v[17:18], v[11:12] offset0:2 offset1:3
	v_mov_b32_e32 v13, v63
	s_waitcnt lgkmcnt(0)
	s_barrier
	s_and_saveexec_b64 s[18:19], s[12:13]
	s_cbranch_execz .LBB157_118
; %bb.115:                              ;   in Loop: Header=BB157_2 Depth=1
	s_mov_b64 s[20:21], 0
	v_mov_b32_e32 v13, v63
	v_mov_b32_e32 v9, v64
.LBB157_116:                            ;   Parent Loop BB157_2 Depth=1
                                        ; =>  This Inner Loop Header: Depth=2
	v_sub_u32_e32 v10, v9, v13
	v_lshrrev_b32_e32 v10, 1, v10
	v_add_u32_e32 v12, v10, v13
	v_not_b32_e32 v11, v12
	v_lshl_add_u32 v10, v12, 3, v93
	v_lshl_add_u32 v14, v11, 3, v84
	ds_read_b64 v[10:11], v10
	ds_read_b64 v[14:15], v14
	v_add_u32_e32 v16, 1, v12
	s_waitcnt lgkmcnt(0)
	v_cmp_lt_i64_e64 s[16:17], v[14:15], v[10:11]
	v_cndmask_b32_e64 v9, v9, v12, s[16:17]
	v_cndmask_b32_e64 v13, v16, v13, s[16:17]
	v_cmp_ge_i32_e64 s[16:17], v13, v9
	s_or_b64 s[20:21], s[16:17], s[20:21]
	s_andn2_b64 exec, exec, s[20:21]
	s_cbranch_execnz .LBB157_116
; %bb.117:                              ;   in Loop: Header=BB157_2 Depth=1
	s_or_b64 exec, exec, s[20:21]
.LBB157_118:                            ;   in Loop: Header=BB157_2 Depth=1
	s_or_b64 exec, exec, s[18:19]
	v_sub_u32_e32 v95, v83, v13
	v_lshl_add_u32 v15, v13, 3, v93
	v_lshlrev_b32_e32 v17, 3, v95
	ds_read_b64 v[9:10], v15
	ds_read_b64 v[11:12], v17
	v_add_u32_e32 v96, v13, v32
	v_cmp_le_i32_e64 s[20:21], v47, v96
	v_cmp_gt_i32_e64 s[16:17], v48, v95
                                        ; implicit-def: $vgpr13_vgpr14
	s_waitcnt lgkmcnt(0)
	v_cmp_lt_i64_e64 s[18:19], v[11:12], v[9:10]
	s_or_b64 s[18:19], s[20:21], s[18:19]
	s_and_b64 s[16:17], s[16:17], s[18:19]
	s_xor_b64 s[18:19], s[16:17], -1
	s_and_saveexec_b64 s[20:21], s[18:19]
	s_xor_b64 s[18:19], exec, s[20:21]
; %bb.119:                              ;   in Loop: Header=BB157_2 Depth=1
	ds_read_b64 v[13:14], v15 offset:8
                                        ; implicit-def: $vgpr17
; %bb.120:                              ;   in Loop: Header=BB157_2 Depth=1
	s_or_saveexec_b64 s[18:19], s[18:19]
	v_mov_b32_e32 v16, v12
	v_mov_b32_e32 v15, v11
	s_xor_b64 exec, exec, s[18:19]
	s_cbranch_execz .LBB157_122
; %bb.121:                              ;   in Loop: Header=BB157_2 Depth=1
	ds_read_b64 v[15:16], v17 offset:8
	s_waitcnt lgkmcnt(1)
	v_mov_b32_e32 v14, v10
	v_mov_b32_e32 v13, v9
.LBB157_122:                            ;   in Loop: Header=BB157_2 Depth=1
	s_or_b64 exec, exec, s[18:19]
	v_add_u32_e32 v18, 1, v96
	v_add_u32_e32 v17, 1, v95
	v_cndmask_b32_e64 v98, v18, v96, s[16:17]
	s_waitcnt lgkmcnt(0)
	v_cmp_lt_i64_e64 s[20:21], v[15:16], v[13:14]
	v_cndmask_b32_e64 v97, v95, v17, s[16:17]
	v_cmp_ge_i32_e64 s[22:23], v98, v47
	v_cmp_lt_i32_e64 s[18:19], v97, v48
	s_or_b64 s[20:21], s[22:23], s[20:21]
	s_and_b64 s[18:19], s[18:19], s[20:21]
	s_xor_b64 s[20:21], s[18:19], -1
                                        ; implicit-def: $vgpr17_vgpr18
	s_and_saveexec_b64 s[22:23], s[20:21]
	s_xor_b64 s[20:21], exec, s[22:23]
; %bb.123:                              ;   in Loop: Header=BB157_2 Depth=1
	v_lshlrev_b32_e32 v17, 3, v98
	ds_read_b64 v[17:18], v17 offset:8
; %bb.124:                              ;   in Loop: Header=BB157_2 Depth=1
	s_or_saveexec_b64 s[20:21], s[20:21]
	v_mov_b32_e32 v20, v16
	v_mov_b32_e32 v19, v15
	s_xor_b64 exec, exec, s[20:21]
	s_cbranch_execz .LBB157_126
; %bb.125:                              ;   in Loop: Header=BB157_2 Depth=1
	s_waitcnt lgkmcnt(0)
	v_lshlrev_b32_e32 v17, 3, v97
	ds_read_b64 v[19:20], v17 offset:8
	v_mov_b32_e32 v18, v14
	v_mov_b32_e32 v17, v13
.LBB157_126:                            ;   in Loop: Header=BB157_2 Depth=1
	s_or_b64 exec, exec, s[20:21]
	v_add_u32_e32 v22, 1, v98
	v_add_u32_e32 v21, 1, v97
	v_cndmask_b32_e64 v100, v22, v98, s[18:19]
	s_waitcnt lgkmcnt(0)
	v_cmp_lt_i64_e64 s[22:23], v[19:20], v[17:18]
	v_cndmask_b32_e64 v99, v97, v21, s[18:19]
	v_cmp_ge_i32_e64 s[24:25], v100, v47
	v_cmp_lt_i32_e64 s[20:21], v99, v48
	s_or_b64 s[22:23], s[24:25], s[22:23]
	s_and_b64 s[20:21], s[20:21], s[22:23]
	s_xor_b64 s[22:23], s[20:21], -1
                                        ; implicit-def: $vgpr21_vgpr22
	s_and_saveexec_b64 s[24:25], s[22:23]
	s_xor_b64 s[22:23], exec, s[24:25]
; %bb.127:                              ;   in Loop: Header=BB157_2 Depth=1
	v_lshlrev_b32_e32 v21, 3, v100
	ds_read_b64 v[21:22], v21 offset:8
; %bb.128:                              ;   in Loop: Header=BB157_2 Depth=1
	s_or_saveexec_b64 s[22:23], s[22:23]
	v_mov_b32_e32 v24, v20
	v_mov_b32_e32 v23, v19
	s_xor_b64 exec, exec, s[22:23]
	s_cbranch_execz .LBB157_130
; %bb.129:                              ;   in Loop: Header=BB157_2 Depth=1
	s_waitcnt lgkmcnt(0)
	v_lshlrev_b32_e32 v21, 3, v99
	ds_read_b64 v[23:24], v21 offset:8
	v_mov_b32_e32 v22, v18
	v_mov_b32_e32 v21, v17
.LBB157_130:                            ;   in Loop: Header=BB157_2 Depth=1
	s_or_b64 exec, exec, s[22:23]
	v_cndmask_b32_e64 v18, v18, v20, s[20:21]
	v_add_u32_e32 v20, 1, v100
	v_cndmask_b32_e64 v17, v17, v19, s[20:21]
	v_add_u32_e32 v19, 1, v99
	v_cndmask_b32_e64 v20, v20, v100, s[20:21]
	v_cndmask_b32_e64 v14, v14, v16, s[18:19]
	;; [unrolled: 1-line block ×4, first 2 shown]
	s_waitcnt lgkmcnt(0)
	v_cmp_lt_i64_e64 s[18:19], v[23:24], v[21:22]
	v_cndmask_b32_e64 v19, v99, v19, s[20:21]
	v_cndmask_b32_e64 v99, v100, v99, s[20:21]
	v_cmp_ge_i32_e64 s[20:21], v20, v47
	v_cndmask_b32_e64 v10, v10, v12, s[16:17]
	v_cndmask_b32_e64 v9, v9, v11, s[16:17]
	;; [unrolled: 1-line block ×3, first 2 shown]
	v_cmp_lt_i32_e64 s[16:17], v19, v48
	s_or_b64 s[18:19], s[20:21], s[18:19]
	s_and_b64 s[16:17], s[16:17], s[18:19]
	v_cndmask_b32_e64 v19, v20, v19, s[16:17]
	s_barrier
	ds_write2_b64 v85, v[5:6], v[7:8] offset1:1
	ds_write2_b64 v85, v[1:2], v[3:4] offset0:2 offset1:3
	v_lshlrev_b32_e32 v1, 3, v16
	v_lshlrev_b32_e32 v2, 3, v15
	;; [unrolled: 1-line block ×4, first 2 shown]
	s_waitcnt lgkmcnt(0)
	s_barrier
	ds_read_b64 v[5:6], v1
	ds_read_b64 v[7:8], v2
	ds_read_b64 v[1:2], v3
	ds_read_b64 v[3:4], v4
	v_mov_b32_e32 v95, v66
	v_cndmask_b32_e64 v12, v22, v24, s[16:17]
	v_cndmask_b32_e64 v11, v21, v23, s[16:17]
	s_waitcnt lgkmcnt(0)
	s_barrier
	ds_write2_b64 v85, v[9:10], v[13:14] offset1:1
	ds_write2_b64 v85, v[17:18], v[11:12] offset0:2 offset1:3
	s_waitcnt lgkmcnt(0)
	s_barrier
	s_and_saveexec_b64 s[18:19], s[14:15]
	s_cbranch_execz .LBB157_134
; %bb.131:                              ;   in Loop: Header=BB157_2 Depth=1
	s_mov_b64 s[20:21], 0
	v_mov_b32_e32 v95, v66
	v_mov_b32_e32 v9, v67
.LBB157_132:                            ;   Parent Loop BB157_2 Depth=1
                                        ; =>  This Inner Loop Header: Depth=2
	v_sub_u32_e32 v10, v9, v95
	v_lshrrev_b32_e32 v10, 1, v10
	v_add_u32_e32 v14, v10, v95
	v_not_b32_e32 v11, v14
	v_lshlrev_b32_e32 v10, 3, v14
	v_lshl_add_u32 v12, v11, 3, v94
	ds_read_b64 v[10:11], v10
	ds_read_b64 v[12:13], v12
	v_add_u32_e32 v15, 1, v14
	s_waitcnt lgkmcnt(0)
	v_cmp_lt_i64_e64 s[16:17], v[12:13], v[10:11]
	v_cndmask_b32_e64 v9, v9, v14, s[16:17]
	v_cndmask_b32_e64 v95, v15, v95, s[16:17]
	v_cmp_ge_i32_e64 s[16:17], v95, v9
	s_or_b64 s[20:21], s[16:17], s[20:21]
	s_andn2_b64 exec, exec, s[20:21]
	s_cbranch_execnz .LBB157_132
; %bb.133:                              ;   in Loop: Header=BB157_2 Depth=1
	s_or_b64 exec, exec, s[20:21]
.LBB157_134:                            ;   in Loop: Header=BB157_2 Depth=1
	s_or_b64 exec, exec, s[18:19]
	v_sub_u32_e32 v96, v68, v95
	v_lshlrev_b32_e32 v16, 3, v95
	v_lshlrev_b32_e32 v15, 3, v96
	ds_read_b64 v[9:10], v16
	ds_read_b64 v[11:12], v15
	v_cmp_le_i32_e64 s[20:21], v65, v95
	v_cmp_gt_i32_e64 s[16:17], s33, v96
                                        ; implicit-def: $vgpr13_vgpr14
	s_waitcnt lgkmcnt(0)
	v_cmp_lt_i64_e64 s[18:19], v[11:12], v[9:10]
	s_or_b64 s[18:19], s[20:21], s[18:19]
	s_and_b64 s[16:17], s[16:17], s[18:19]
	s_xor_b64 s[18:19], s[16:17], -1
	s_and_saveexec_b64 s[20:21], s[18:19]
	s_xor_b64 s[18:19], exec, s[20:21]
; %bb.135:                              ;   in Loop: Header=BB157_2 Depth=1
	ds_read_b64 v[13:14], v16 offset:8
                                        ; implicit-def: $vgpr15
; %bb.136:                              ;   in Loop: Header=BB157_2 Depth=1
	s_or_saveexec_b64 s[18:19], s[18:19]
	v_mov_b32_e32 v20, v12
	v_mov_b32_e32 v19, v11
	s_xor_b64 exec, exec, s[18:19]
	s_cbranch_execz .LBB157_138
; %bb.137:                              ;   in Loop: Header=BB157_2 Depth=1
	ds_read_b64 v[19:20], v15 offset:8
	s_waitcnt lgkmcnt(1)
	v_mov_b32_e32 v14, v10
	v_mov_b32_e32 v13, v9
.LBB157_138:                            ;   in Loop: Header=BB157_2 Depth=1
	s_or_b64 exec, exec, s[18:19]
	v_add_u32_e32 v16, 1, v95
	v_add_u32_e32 v15, 1, v96
	v_cndmask_b32_e64 v98, v16, v95, s[16:17]
	s_waitcnt lgkmcnt(0)
	v_cmp_lt_i64_e64 s[20:21], v[19:20], v[13:14]
	v_cndmask_b32_e64 v97, v96, v15, s[16:17]
	v_cmp_ge_i32_e64 s[22:23], v98, v65
	v_cmp_gt_i32_e64 s[18:19], s33, v97
	s_or_b64 s[20:21], s[22:23], s[20:21]
	s_and_b64 s[18:19], s[18:19], s[20:21]
	s_xor_b64 s[20:21], s[18:19], -1
                                        ; implicit-def: $vgpr15_vgpr16
	s_and_saveexec_b64 s[22:23], s[20:21]
	s_xor_b64 s[20:21], exec, s[22:23]
; %bb.139:                              ;   in Loop: Header=BB157_2 Depth=1
	v_lshlrev_b32_e32 v15, 3, v98
	ds_read_b64 v[15:16], v15 offset:8
; %bb.140:                              ;   in Loop: Header=BB157_2 Depth=1
	s_or_saveexec_b64 s[20:21], s[20:21]
	v_mov_b32_e32 v17, v19
	v_mov_b32_e32 v18, v20
	s_xor_b64 exec, exec, s[20:21]
	s_cbranch_execz .LBB157_142
; %bb.141:                              ;   in Loop: Header=BB157_2 Depth=1
	s_waitcnt lgkmcnt(0)
	v_lshlrev_b32_e32 v15, 3, v97
	ds_read_b64 v[17:18], v15 offset:8
	v_mov_b32_e32 v16, v14
	v_mov_b32_e32 v15, v13
.LBB157_142:                            ;   in Loop: Header=BB157_2 Depth=1
	s_or_b64 exec, exec, s[20:21]
	v_add_u32_e32 v22, 1, v98
	v_add_u32_e32 v21, 1, v97
	v_cndmask_b32_e64 v102, v22, v98, s[18:19]
	s_waitcnt lgkmcnt(0)
	v_cmp_lt_i64_e64 s[22:23], v[17:18], v[15:16]
	v_cndmask_b32_e64 v99, v97, v21, s[18:19]
	v_cmp_ge_i32_e64 s[24:25], v102, v65
	v_cmp_gt_i32_e64 s[20:21], s33, v99
	s_or_b64 s[22:23], s[24:25], s[22:23]
	s_and_b64 s[20:21], s[20:21], s[22:23]
	s_xor_b64 s[22:23], s[20:21], -1
                                        ; implicit-def: $vgpr21_vgpr22
                                        ; implicit-def: $vgpr101
	s_and_saveexec_b64 s[24:25], s[22:23]
	s_xor_b64 s[22:23], exec, s[24:25]
; %bb.143:                              ;   in Loop: Header=BB157_2 Depth=1
	v_lshlrev_b32_e32 v21, 3, v102
	ds_read_b64 v[21:22], v21 offset:8
	v_add_u32_e32 v101, 1, v102
; %bb.144:                              ;   in Loop: Header=BB157_2 Depth=1
	s_or_saveexec_b64 s[22:23], s[22:23]
	v_mov_b32_e32 v24, v18
	v_mov_b32_e32 v100, v102
	;; [unrolled: 1-line block ×3, first 2 shown]
	s_xor_b64 exec, exec, s[22:23]
	s_cbranch_execz .LBB157_1
; %bb.145:                              ;   in Loop: Header=BB157_2 Depth=1
	s_waitcnt lgkmcnt(0)
	v_lshlrev_b32_e32 v22, 3, v99
	ds_read_b64 v[23:24], v22 offset:8
	v_add_u32_e32 v21, 1, v99
	v_mov_b32_e32 v100, v99
	v_mov_b32_e32 v99, v21
	;; [unrolled: 1-line block ×5, first 2 shown]
	s_branch .LBB157_1
.LBB157_146:
	s_waitcnt lgkmcnt(3)
	v_add_co_u32_e32 v7, vcc, v11, v7
	v_addc_co_u32_e32 v8, vcc, v12, v8, vcc
	s_waitcnt lgkmcnt(2)
	v_add_co_u32_e32 v5, vcc, v13, v5
	v_addc_co_u32_e32 v6, vcc, v14, v6, vcc
	;; [unrolled: 3-line block ×3, first 2 shown]
	s_waitcnt lgkmcnt(0)
	v_add_co_u32_e32 v1, vcc, v15, v1
	s_add_u32 s0, s42, s44
	v_addc_co_u32_e32 v2, vcc, v16, v2, vcc
	s_addc_u32 s1, s43, s45
	v_lshlrev_b32_e32 v0, 3, v0
	v_mov_b32_e32 v9, s1
	v_add_co_u32_e32 v10, vcc, s0, v0
	v_addc_co_u32_e32 v9, vcc, 0, v9, vcc
	global_store_dwordx2 v0, v[7:8], s[0:1]
	s_movk_i32 s0, 0x1000
	v_add_co_u32_e32 v7, vcc, s0, v10
	v_addc_co_u32_e32 v8, vcc, 0, v9, vcc
	global_store_dwordx2 v[7:8], v[5:6], off
	v_add_co_u32_e32 v5, vcc, 0x2000, v10
	v_addc_co_u32_e32 v6, vcc, 0, v9, vcc
	global_store_dwordx2 v[5:6], v[3:4], off
	;; [unrolled: 3-line block ×3, first 2 shown]
	s_endpgm
	.section	.rodata,"a",@progbits
	.p2align	6, 0x0
	.amdhsa_kernel _Z17sort_pairs_kernelIxLj512ELj4EN10test_utils4lessELj10EEvPKT_PS2_T2_
		.amdhsa_group_segment_fixed_size 16392
		.amdhsa_private_segment_fixed_size 0
		.amdhsa_kernarg_size 20
		.amdhsa_user_sgpr_count 6
		.amdhsa_user_sgpr_private_segment_buffer 1
		.amdhsa_user_sgpr_dispatch_ptr 0
		.amdhsa_user_sgpr_queue_ptr 0
		.amdhsa_user_sgpr_kernarg_segment_ptr 1
		.amdhsa_user_sgpr_dispatch_id 0
		.amdhsa_user_sgpr_flat_scratch_init 0
		.amdhsa_user_sgpr_private_segment_size 0
		.amdhsa_uses_dynamic_stack 0
		.amdhsa_system_sgpr_private_segment_wavefront_offset 0
		.amdhsa_system_sgpr_workgroup_id_x 1
		.amdhsa_system_sgpr_workgroup_id_y 0
		.amdhsa_system_sgpr_workgroup_id_z 0
		.amdhsa_system_sgpr_workgroup_info 0
		.amdhsa_system_vgpr_workitem_id 0
		.amdhsa_next_free_vgpr 103
		.amdhsa_next_free_sgpr 93
		.amdhsa_reserve_vcc 1
		.amdhsa_reserve_flat_scratch 0
		.amdhsa_float_round_mode_32 0
		.amdhsa_float_round_mode_16_64 0
		.amdhsa_float_denorm_mode_32 3
		.amdhsa_float_denorm_mode_16_64 3
		.amdhsa_dx10_clamp 1
		.amdhsa_ieee_mode 1
		.amdhsa_fp16_overflow 0
		.amdhsa_exception_fp_ieee_invalid_op 0
		.amdhsa_exception_fp_denorm_src 0
		.amdhsa_exception_fp_ieee_div_zero 0
		.amdhsa_exception_fp_ieee_overflow 0
		.amdhsa_exception_fp_ieee_underflow 0
		.amdhsa_exception_fp_ieee_inexact 0
		.amdhsa_exception_int_div_zero 0
	.end_amdhsa_kernel
	.section	.text._Z17sort_pairs_kernelIxLj512ELj4EN10test_utils4lessELj10EEvPKT_PS2_T2_,"axG",@progbits,_Z17sort_pairs_kernelIxLj512ELj4EN10test_utils4lessELj10EEvPKT_PS2_T2_,comdat
.Lfunc_end157:
	.size	_Z17sort_pairs_kernelIxLj512ELj4EN10test_utils4lessELj10EEvPKT_PS2_T2_, .Lfunc_end157-_Z17sort_pairs_kernelIxLj512ELj4EN10test_utils4lessELj10EEvPKT_PS2_T2_
                                        ; -- End function
	.set _Z17sort_pairs_kernelIxLj512ELj4EN10test_utils4lessELj10EEvPKT_PS2_T2_.num_vgpr, 103
	.set _Z17sort_pairs_kernelIxLj512ELj4EN10test_utils4lessELj10EEvPKT_PS2_T2_.num_agpr, 0
	.set _Z17sort_pairs_kernelIxLj512ELj4EN10test_utils4lessELj10EEvPKT_PS2_T2_.numbered_sgpr, 48
	.set _Z17sort_pairs_kernelIxLj512ELj4EN10test_utils4lessELj10EEvPKT_PS2_T2_.num_named_barrier, 0
	.set _Z17sort_pairs_kernelIxLj512ELj4EN10test_utils4lessELj10EEvPKT_PS2_T2_.private_seg_size, 0
	.set _Z17sort_pairs_kernelIxLj512ELj4EN10test_utils4lessELj10EEvPKT_PS2_T2_.uses_vcc, 1
	.set _Z17sort_pairs_kernelIxLj512ELj4EN10test_utils4lessELj10EEvPKT_PS2_T2_.uses_flat_scratch, 0
	.set _Z17sort_pairs_kernelIxLj512ELj4EN10test_utils4lessELj10EEvPKT_PS2_T2_.has_dyn_sized_stack, 0
	.set _Z17sort_pairs_kernelIxLj512ELj4EN10test_utils4lessELj10EEvPKT_PS2_T2_.has_recursion, 0
	.set _Z17sort_pairs_kernelIxLj512ELj4EN10test_utils4lessELj10EEvPKT_PS2_T2_.has_indirect_call, 0
	.section	.AMDGPU.csdata,"",@progbits
; Kernel info:
; codeLenInByte = 8624
; TotalNumSgprs: 52
; NumVgprs: 103
; ScratchSize: 0
; MemoryBound: 0
; FloatMode: 240
; IeeeMode: 1
; LDSByteSize: 16392 bytes/workgroup (compile time only)
; SGPRBlocks: 12
; VGPRBlocks: 25
; NumSGPRsForWavesPerEU: 97
; NumVGPRsForWavesPerEU: 103
; Occupancy: 2
; WaveLimiterHint : 1
; COMPUTE_PGM_RSRC2:SCRATCH_EN: 0
; COMPUTE_PGM_RSRC2:USER_SGPR: 6
; COMPUTE_PGM_RSRC2:TRAP_HANDLER: 0
; COMPUTE_PGM_RSRC2:TGID_X_EN: 1
; COMPUTE_PGM_RSRC2:TGID_Y_EN: 0
; COMPUTE_PGM_RSRC2:TGID_Z_EN: 0
; COMPUTE_PGM_RSRC2:TIDIG_COMP_CNT: 0
	.section	.text._Z16sort_keys_kernelIxLj512ELj8EN10test_utils4lessELj10EEvPKT_PS2_T2_,"axG",@progbits,_Z16sort_keys_kernelIxLj512ELj8EN10test_utils4lessELj10EEvPKT_PS2_T2_,comdat
	.protected	_Z16sort_keys_kernelIxLj512ELj8EN10test_utils4lessELj10EEvPKT_PS2_T2_ ; -- Begin function _Z16sort_keys_kernelIxLj512ELj8EN10test_utils4lessELj10EEvPKT_PS2_T2_
	.globl	_Z16sort_keys_kernelIxLj512ELj8EN10test_utils4lessELj10EEvPKT_PS2_T2_
	.p2align	8
	.type	_Z16sort_keys_kernelIxLj512ELj8EN10test_utils4lessELj10EEvPKT_PS2_T2_,@function
_Z16sort_keys_kernelIxLj512ELj8EN10test_utils4lessELj10EEvPKT_PS2_T2_: ; @_Z16sort_keys_kernelIxLj512ELj8EN10test_utils4lessELj10EEvPKT_PS2_T2_
; %bb.0:
	s_load_dwordx4 s[36:39], s[4:5], 0x0
	s_lshl_b32 s40, s6, 12
	s_mov_b32 s41, 0
	s_lshl_b64 s[42:43], s[40:41], 3
	v_lshlrev_b32_e32 v21, 3, v0
	s_waitcnt lgkmcnt(0)
	s_add_u32 s0, s36, s42
	s_addc_u32 s1, s37, s43
	v_mov_b32_e32 v1, s1
	v_add_co_u32_e32 v13, vcc, s0, v21
	v_addc_co_u32_e32 v14, vcc, 0, v1, vcc
	s_movk_i32 s2, 0x2000
	v_add_co_u32_e32 v17, vcc, s2, v13
	v_addc_co_u32_e32 v18, vcc, 0, v14, vcc
	s_movk_i32 s2, 0x4000
	v_add_co_u32_e32 v7, vcc, s2, v13
	v_addc_co_u32_e32 v8, vcc, 0, v14, vcc
	s_movk_i32 s2, 0x6000
	v_add_co_u32_e32 v11, vcc, s2, v13
	v_addc_co_u32_e32 v12, vcc, 0, v14, vcc
	s_movk_i32 s2, 0x7000
	v_add_co_u32_e32 v19, vcc, s2, v13
	global_load_dwordx2 v[9:10], v[7:8], off offset:-4096
	global_load_dwordx2 v[3:4], v[7:8], off
	global_load_dwordx2 v[5:6], v[11:12], off offset:-4096
	global_load_dwordx2 v[1:2], v[11:12], off
	v_addc_co_u32_e32 v20, vcc, 0, v14, vcc
	global_load_dwordx2 v[13:14], v21, s[0:1]
	global_load_dwordx2 v[15:16], v[17:18], off offset:-4096
	global_load_dwordx2 v[11:12], v[17:18], off
	global_load_dwordx2 v[7:8], v[19:20], off
	v_and_b32_e32 v38, 0xff0, v21
	v_or_b32_e32 v39, 8, v38
	v_add_u32_e32 v40, 16, v38
	v_and_b32_e32 v17, 8, v21
	v_sub_u32_e32 v19, v40, v39
	v_and_b32_e32 v45, 0xfe0, v21
	v_sub_u32_e32 v18, v39, v38
	v_sub_u32_e32 v20, v17, v19
	v_cmp_ge_i32_e32 vcc, v17, v19
	v_or_b32_e32 v46, 16, v45
	v_add_u32_e32 v47, 32, v45
	v_cndmask_b32_e32 v42, 0, v20, vcc
	v_min_i32_e32 v43, v17, v18
	v_and_b32_e32 v18, 24, v21
	v_sub_u32_e32 v20, v47, v46
	v_and_b32_e32 v52, 0xfc0, v21
	v_sub_u32_e32 v19, v46, v45
	v_sub_u32_e32 v22, v18, v20
	v_cmp_ge_i32_e64 s[0:1], v18, v20
	v_or_b32_e32 v53, 32, v52
	v_add_u32_e32 v54, 64, v52
	v_cndmask_b32_e64 v49, 0, v22, s[0:1]
	v_min_i32_e32 v50, v18, v19
	v_and_b32_e32 v19, 56, v21
	v_sub_u32_e32 v22, v54, v53
	v_and_b32_e32 v59, 0xf80, v21
	v_sub_u32_e32 v20, v53, v52
	v_sub_u32_e32 v23, v19, v22
	v_cmp_ge_i32_e64 s[2:3], v19, v22
	v_or_b32_e32 v60, 64, v59
	v_add_u32_e32 v61, 0x80, v59
	v_cndmask_b32_e64 v56, 0, v23, s[2:3]
	;; [unrolled: 10-line block ×3, first 2 shown]
	v_min_i32_e32 v64, v20, v22
	v_and_b32_e32 v22, 0xf8, v21
	v_sub_u32_e32 v24, v68, v67
	v_and_b32_e32 v73, 0xe00, v21
	v_add_u32_e32 v44, v39, v17
	v_sub_u32_e32 v23, v67, v66
	v_sub_u32_e32 v25, v22, v24
	v_cmp_ge_i32_e64 s[6:7], v22, v24
	v_or_b32_e32 v74, 0x100, v73
	v_add_u32_e32 v75, 0x200, v73
	v_lshlrev_b32_e32 v17, 3, v17
	v_cndmask_b32_e64 v70, 0, v25, s[6:7]
	v_min_i32_e32 v71, v22, v23
	v_and_b32_e32 v23, 0x1f8, v21
	v_sub_u32_e32 v25, v75, v74
	v_and_b32_e32 v80, 0xc00, v21
	v_lshl_add_u32 v98, v39, 3, v17
	v_lshlrev_b32_e32 v17, 3, v18
	v_sub_u32_e32 v24, v74, v73
	v_sub_u32_e32 v26, v23, v25
	v_cmp_ge_i32_e64 s[8:9], v23, v25
	v_or_b32_e32 v81, 0x200, v80
	v_add_u32_e32 v82, 0x400, v80
	v_lshl_add_u32 v99, v46, 3, v17
	v_lshlrev_b32_e32 v17, 3, v19
	v_cndmask_b32_e64 v77, 0, v26, s[8:9]
	v_min_i32_e32 v78, v23, v24
	v_and_b32_e32 v24, 0x3f8, v21
	v_sub_u32_e32 v26, v82, v81
	v_and_b32_e32 v88, 0x800, v21
	v_lshl_add_u32 v100, v53, 3, v17
	v_lshlrev_b32_e32 v17, 3, v20
	v_sub_u32_e32 v25, v81, v80
	v_sub_u32_e32 v27, v24, v26
	v_cmp_ge_i32_e64 s[10:11], v24, v26
	v_or_b32_e32 v89, 0x400, v88
	v_add_u32_e32 v90, 0x800, v88
	v_lshl_add_u32 v101, v60, 3, v17
	v_lshlrev_b32_e32 v17, 3, v22
	v_cndmask_b32_e64 v84, 0, v27, s[10:11]
	v_min_i32_e32 v85, v24, v25
	v_and_b32_e32 v25, 0x7f8, v21
	v_sub_u32_e32 v27, v90, v89
	v_lshl_add_u32 v102, v67, 3, v17
	v_lshlrev_b32_e32 v17, 3, v23
	v_mov_b32_e32 v87, 0x800
	v_sub_u32_e32 v26, v89, v88
	v_sub_u32_e32 v28, v25, v27
	v_cmp_ge_i32_e64 s[12:13], v25, v27
	v_lshl_add_u32 v103, v74, 3, v17
	v_lshlrev_b32_e32 v17, 3, v24
	v_lshlrev_b32_e32 v37, 6, v0
	v_cndmask_b32_e64 v92, 0, v28, s[12:13]
	v_min_i32_e32 v93, v25, v26
	v_sub_u32_e64 v95, v21, v87 clamp
	v_min_i32_e32 v96, 0x800, v21
	v_lshl_add_u32 v104, v81, 3, v17
	v_lshlrev_b32_e32 v17, 3, v25
	s_movk_i32 s33, 0x1000
	v_lshlrev_b32_e32 v41, 3, v38
	v_cmp_lt_i32_e32 vcc, v42, v43
	v_lshlrev_b32_e32 v48, 3, v45
	v_cmp_lt_i32_e64 s[0:1], v49, v50
	v_add_u32_e32 v51, v46, v18
	v_lshlrev_b32_e32 v55, 3, v52
	v_cmp_lt_i32_e64 s[2:3], v56, v57
	v_add_u32_e32 v58, v53, v19
	;; [unrolled: 3-line block ×7, first 2 shown]
	v_cmp_lt_i32_e64 s[14:15], v95, v96
	v_add_u32_e32 v97, 0x800, v21
	v_lshl_add_u32 v105, v89, 3, v17
	v_add_u32_e32 v106, 0x4000, v37
	s_branch .LBB158_2
.LBB158_1:                              ;   in Loop: Header=BB158_2 Depth=1
	s_or_b64 exec, exec, s[30:31]
	v_cndmask_b32_e64 v16, v6, v8, s[18:19]
	v_cndmask_b32_e64 v15, v5, v7, s[18:19]
	s_waitcnt lgkmcnt(0)
	v_cmp_lt_i64_e64 s[18:19], v[35:36], v[33:34]
	v_cndmask_b32_e64 v12, v10, v12, s[20:21]
	v_cndmask_b32_e64 v11, v9, v11, s[20:21]
	v_cmp_ge_i32_e64 s[20:21], v108, v87
	v_cndmask_b32_e64 v14, v2, v4, s[16:17]
	v_cndmask_b32_e64 v13, v1, v3, s[16:17]
	v_cmp_gt_i32_e64 s[16:17], s33, v107
	s_or_b64 s[18:19], s[20:21], s[18:19]
	s_and_b64 s[16:17], s[16:17], s[18:19]
	s_add_i32 s41, s41, 1
	v_cndmask_b32_e64 v10, v18, v20, s[22:23]
	v_cndmask_b32_e64 v9, v17, v19, s[22:23]
	;; [unrolled: 1-line block ×9, first 2 shown]
	s_cmp_eq_u32 s41, 10
	v_cndmask_b32_e64 v7, v33, v35, s[16:17]
	s_cbranch_scc1 .LBB158_290
.LBB158_2:                              ; =>This Loop Header: Depth=1
                                        ;     Child Loop BB158_4 Depth 2
                                        ;     Child Loop BB158_36 Depth 2
	;; [unrolled: 1-line block ×9, first 2 shown]
	s_waitcnt vmcnt(2)
	v_cmp_lt_i64_e64 s[16:17], v[15:16], v[13:14]
	v_cndmask_b32_e64 v18, v14, v16, s[16:17]
	v_cndmask_b32_e64 v17, v13, v15, s[16:17]
	;; [unrolled: 1-line block ×4, first 2 shown]
	v_cmp_gt_i64_e64 s[16:17], v[15:16], v[13:14]
	s_waitcnt vmcnt(0)
	s_barrier
	v_cndmask_b32_e64 v14, v14, v16, s[16:17]
	v_cndmask_b32_e64 v13, v13, v15, s[16:17]
	v_cmp_lt_i64_e64 s[16:17], v[9:10], v[11:12]
	v_cndmask_b32_e64 v16, v12, v10, s[16:17]
	v_cndmask_b32_e64 v15, v11, v9, s[16:17]
	;; [unrolled: 1-line block ×4, first 2 shown]
	v_cmp_gt_i64_e64 s[16:17], v[9:10], v[11:12]
	v_cmp_gt_i64_e64 s[18:19], v[15:16], v[13:14]
	v_cndmask_b32_e64 v10, v12, v10, s[16:17]
	v_cndmask_b32_e64 v9, v11, v9, s[16:17]
	v_cmp_lt_i64_e64 s[16:17], v[5:6], v[3:4]
	v_cndmask_b32_e64 v12, v4, v6, s[16:17]
	v_cndmask_b32_e64 v11, v3, v5, s[16:17]
	v_cndmask_b32_e64 v23, v5, v3, s[16:17]
	v_cndmask_b32_e64 v24, v6, v4, s[16:17]
	v_cmp_gt_i64_e64 s[16:17], v[5:6], v[3:4]
	v_cndmask_b32_e64 v4, v4, v6, s[16:17]
	v_cndmask_b32_e64 v3, v3, v5, s[16:17]
	v_cmp_lt_i64_e64 s[16:17], v[7:8], v[1:2]
	v_cndmask_b32_e64 v6, v2, v8, s[16:17]
	v_cndmask_b32_e64 v5, v1, v7, s[16:17]
	v_cndmask_b32_e64 v25, v7, v1, s[16:17]
	v_cndmask_b32_e64 v26, v8, v2, s[16:17]
	v_cmp_gt_i64_e64 s[16:17], v[7:8], v[1:2]
	v_cndmask_b32_e64 v2, v2, v8, s[16:17]
	v_cndmask_b32_e64 v1, v1, v7, s[16:17]
	v_cmp_lt_i64_e64 s[16:17], v[15:16], v[13:14]
	v_cndmask_b32_e64 v8, v14, v16, s[18:19]
	v_cndmask_b32_e64 v27, v16, v14, s[16:17]
	v_cndmask_b32_e64 v28, v15, v13, s[16:17]
	v_cndmask_b32_e64 v20, v20, v16, s[16:17]
	v_cndmask_b32_e64 v19, v19, v15, s[16:17]
	v_cndmask_b32_e64 v7, v13, v15, s[18:19]
	v_cndmask_b32_e64 v29, v13, v15, s[16:17]
	v_cndmask_b32_e64 v30, v14, v16, s[16:17]
	v_cmp_lt_i64_e64 s[16:17], v[11:12], v[9:10]
	v_cmp_gt_i64_e64 s[18:19], v[11:12], v[9:10]
	v_cndmask_b32_e64 v31, v12, v10, s[16:17]
	v_cndmask_b32_e64 v32, v11, v9, s[16:17]
	v_cndmask_b32_e64 v22, v22, v12, s[16:17]
	v_cndmask_b32_e64 v21, v21, v11, s[16:17]
	v_cndmask_b32_e64 v14, v10, v12, s[18:19]
	v_cndmask_b32_e64 v13, v9, v11, s[18:19]
	v_cndmask_b32_e64 v10, v10, v12, s[16:17]
	v_cndmask_b32_e64 v9, v9, v11, s[16:17]
	v_cmp_lt_i64_e64 s[16:17], v[5:6], v[3:4]
	v_cmp_gt_i64_e64 s[18:19], v[5:6], v[3:4]
	v_cndmask_b32_e64 v33, v6, v4, s[16:17]
	v_cndmask_b32_e64 v34, v5, v3, s[16:17]
	v_cndmask_b32_e64 v24, v24, v6, s[16:17]
	v_cndmask_b32_e64 v23, v23, v5, s[16:17]
	;; [unrolled: 10-line block ×3, first 2 shown]
	v_cndmask_b32_e64 v16, v30, v18, s[16:17]
	v_cndmask_b32_e64 v15, v29, v17, s[16:17]
	v_cmp_lt_i64_e64 s[16:17], v[9:10], v[7:8]
	v_cndmask_b32_e64 v18, v8, v10, s[18:19]
	v_cndmask_b32_e64 v21, v21, v7, s[16:17]
	;; [unrolled: 1-line block ×8, first 2 shown]
	v_cmp_lt_i64_e64 s[16:17], v[5:6], v[13:14]
	v_cmp_gt_i64_e64 s[18:19], v[5:6], v[13:14]
	v_cndmask_b32_e64 v23, v23, v13, s[16:17]
	v_cndmask_b32_e64 v24, v24, v14, s[16:17]
	;; [unrolled: 1-line block ×8, first 2 shown]
	v_cmp_gt_i64_e64 s[16:17], v[3:4], v[1:2]
	v_cmp_gt_i64_e64 s[18:19], v[7:8], v[15:16]
	v_cndmask_b32_e64 v26, v26, v36, s[16:17]
	v_cndmask_b32_e64 v25, v25, v35, s[16:17]
	v_cndmask_b32_e64 v31, v34, v1, s[16:17]
	v_cndmask_b32_e64 v32, v33, v2, s[16:17]
	v_cndmask_b32_e64 v4, v2, v36, s[16:17]
	v_cndmask_b32_e64 v3, v1, v35, s[16:17]
	v_cndmask_b32_e64 v2, v36, v2, s[16:17]
	v_cndmask_b32_e64 v1, v35, v1, s[16:17]
	v_cmp_lt_i64_e64 s[16:17], v[7:8], v[15:16]
	v_cndmask_b32_e64 v14, v16, v8, s[18:19]
	v_cndmask_b32_e64 v27, v27, v16, s[16:17]
	v_cndmask_b32_e64 v28, v28, v15, s[16:17]
	v_cndmask_b32_e64 v20, v20, v8, s[16:17]
	v_cndmask_b32_e64 v19, v19, v7, s[16:17]
	v_cndmask_b32_e64 v13, v15, v7, s[18:19]
	v_cndmask_b32_e64 v8, v16, v8, s[16:17]
	v_cndmask_b32_e64 v7, v15, v7, s[16:17]
	v_cmp_lt_i64_e64 s[16:17], v[5:6], v[17:18]
	v_cmp_gt_i64_e64 s[18:19], v[5:6], v[17:18]
	v_cndmask_b32_e64 v30, v30, v18, s[16:17]
	v_cndmask_b32_e64 v29, v29, v17, s[16:17]
	v_cndmask_b32_e64 v22, v22, v6, s[16:17]
	v_cndmask_b32_e64 v21, v21, v5, s[16:17]
	v_cndmask_b32_e64 v16, v18, v6, s[18:19]
	v_cndmask_b32_e64 v15, v17, v5, s[18:19]
	v_cndmask_b32_e64 v6, v18, v6, s[16:17]
	v_cndmask_b32_e64 v5, v17, v5, s[16:17]
	v_cmp_lt_i64_e64 s[16:17], v[1:2], v[9:10]
	v_cmp_gt_i64_e64 s[18:19], v[1:2], v[9:10]
	;; [unrolled: 10-line block ×3, first 2 shown]
	v_cndmask_b32_e64 v19, v19, v11, s[16:17]
	v_cndmask_b32_e64 v20, v20, v12, s[16:17]
	;; [unrolled: 1-line block ×4, first 2 shown]
	v_cmp_gt_i64_e64 s[16:17], v[7:8], v[11:12]
	v_cndmask_b32_e64 v8, v12, v8, s[16:17]
	v_cndmask_b32_e64 v7, v11, v7, s[16:17]
	v_cmp_lt_i64_e64 s[16:17], v[5:6], v[13:14]
	v_cndmask_b32_e64 v12, v14, v6, s[18:19]
	v_cndmask_b32_e64 v21, v21, v13, s[16:17]
	v_cndmask_b32_e64 v22, v22, v14, s[16:17]
	v_cndmask_b32_e64 v28, v28, v5, s[16:17]
	v_cndmask_b32_e64 v27, v27, v6, s[16:17]
	v_cndmask_b32_e64 v11, v13, v5, s[18:19]
	v_cndmask_b32_e64 v6, v14, v6, s[16:17]
	v_cndmask_b32_e64 v5, v13, v5, s[16:17]
	v_cmp_lt_i64_e64 s[16:17], v[1:2], v[15:16]
	v_cmp_gt_i64_e64 s[18:19], v[1:2], v[15:16]
	v_cndmask_b32_e64 v23, v23, v15, s[16:17]
	v_cndmask_b32_e64 v24, v24, v16, s[16:17]
	v_cndmask_b32_e64 v29, v29, v1, s[16:17]
	v_cndmask_b32_e64 v30, v30, v2, s[16:17]
	v_cndmask_b32_e64 v14, v16, v2, s[18:19]
	v_cndmask_b32_e64 v13, v15, v1, s[18:19]
	v_cndmask_b32_e64 v2, v16, v2, s[16:17]
	v_cndmask_b32_e64 v1, v15, v1, s[16:17]
	v_cmp_lt_i64_e64 s[16:17], v[3:4], v[17:18]
	v_cmp_gt_i64_e64 s[18:19], v[3:4], v[17:18]
	;; [unrolled: 10-line block ×6, first 2 shown]
	v_cndmask_b32_e64 v6, v10, v34, s[16:17]
	v_cndmask_b32_e64 v5, v9, v33, s[16:17]
	;; [unrolled: 1-line block ×6, first 2 shown]
	v_cmp_lt_i64_e64 s[16:17], v[1:2], v[17:18]
	v_cndmask_b32_e64 v12, v18, v2, s[18:19]
	v_cndmask_b32_e64 v21, v21, v17, s[16:17]
	;; [unrolled: 1-line block ×8, first 2 shown]
	v_cmp_lt_i64_e64 s[16:17], v[3:4], v[7:8]
	v_cmp_gt_i64_e64 s[18:19], v[3:4], v[7:8]
	v_cndmask_b32_e64 v23, v23, v7, s[16:17]
	v_cndmask_b32_e64 v24, v24, v8, s[16:17]
	;; [unrolled: 1-line block ×8, first 2 shown]
	v_cmp_gt_i64_e64 s[16:17], v[13:14], v[15:16]
	v_cndmask_b32_e64 v8, v26, v36, s[16:17]
	v_cndmask_b32_e64 v7, v25, v35, s[16:17]
	;; [unrolled: 1-line block ×6, first 2 shown]
	v_cmp_lt_i64_e64 s[16:17], v[1:2], v[9:10]
	v_cndmask_b32_e64 v10, v27, v10, s[16:17]
	v_cndmask_b32_e64 v9, v28, v9, s[16:17]
	v_cndmask_b32_e64 v2, v20, v2, s[16:17]
	v_cndmask_b32_e64 v1, v19, v1, s[16:17]
	v_cmp_lt_i64_e64 s[16:17], v[3:4], v[11:12]
	v_cndmask_b32_e64 v12, v30, v12, s[16:17]
	v_cndmask_b32_e64 v11, v29, v11, s[16:17]
	v_cndmask_b32_e64 v4, v22, v4, s[16:17]
	v_cndmask_b32_e64 v3, v21, v3, s[16:17]
	;; [unrolled: 5-line block ×3, first 2 shown]
	ds_write2_b64 v37, v[5:6], v[1:2] offset1:1
	ds_write2_b64 v37, v[9:10], v[3:4] offset0:2 offset1:3
	ds_write2_b64 v37, v[11:12], v[13:14] offset0:4 offset1:5
	;; [unrolled: 1-line block ×3, first 2 shown]
	v_mov_b32_e32 v5, v42
	s_waitcnt lgkmcnt(0)
	s_barrier
	s_and_saveexec_b64 s[18:19], vcc
	s_cbranch_execz .LBB158_6
; %bb.3:                                ;   in Loop: Header=BB158_2 Depth=1
	s_mov_b64 s[20:21], 0
	v_mov_b32_e32 v5, v42
	v_mov_b32_e32 v1, v43
.LBB158_4:                              ;   Parent Loop BB158_2 Depth=1
                                        ; =>  This Inner Loop Header: Depth=2
	v_sub_u32_e32 v2, v1, v5
	v_lshrrev_b32_e32 v2, 1, v2
	v_add_u32_e32 v4, v2, v5
	v_not_b32_e32 v3, v4
	v_lshl_add_u32 v2, v4, 3, v41
	v_lshl_add_u32 v6, v3, 3, v98
	ds_read_b64 v[2:3], v2
	ds_read_b64 v[6:7], v6
	v_add_u32_e32 v8, 1, v4
	s_waitcnt lgkmcnt(0)
	v_cmp_lt_i64_e64 s[16:17], v[6:7], v[2:3]
	v_cndmask_b32_e64 v1, v1, v4, s[16:17]
	v_cndmask_b32_e64 v5, v8, v5, s[16:17]
	v_cmp_ge_i32_e64 s[16:17], v5, v1
	s_or_b64 s[20:21], s[16:17], s[20:21]
	s_andn2_b64 exec, exec, s[20:21]
	s_cbranch_execnz .LBB158_4
; %bb.5:                                ;   in Loop: Header=BB158_2 Depth=1
	s_or_b64 exec, exec, s[20:21]
.LBB158_6:                              ;   in Loop: Header=BB158_2 Depth=1
	s_or_b64 exec, exec, s[18:19]
	v_sub_u32_e32 v9, v44, v5
	v_lshl_add_u32 v7, v5, 3, v41
	v_lshlrev_b32_e32 v11, 3, v9
	ds_read_b64 v[1:2], v7
	ds_read_b64 v[3:4], v11
	v_add_u32_e32 v10, v5, v38
	v_cmp_le_i32_e64 s[20:21], v39, v10
	v_cmp_gt_i32_e64 s[16:17], v40, v9
                                        ; implicit-def: $vgpr5_vgpr6
	s_waitcnt lgkmcnt(0)
	v_cmp_lt_i64_e64 s[18:19], v[3:4], v[1:2]
	s_or_b64 s[18:19], s[20:21], s[18:19]
	s_and_b64 s[16:17], s[16:17], s[18:19]
	s_xor_b64 s[18:19], s[16:17], -1
	s_and_saveexec_b64 s[20:21], s[18:19]
	s_xor_b64 s[18:19], exec, s[20:21]
; %bb.7:                                ;   in Loop: Header=BB158_2 Depth=1
	ds_read_b64 v[5:6], v7 offset:8
                                        ; implicit-def: $vgpr11
; %bb.8:                                ;   in Loop: Header=BB158_2 Depth=1
	s_or_saveexec_b64 s[18:19], s[18:19]
	v_mov_b32_e32 v8, v4
	v_mov_b32_e32 v7, v3
	s_xor_b64 exec, exec, s[18:19]
	s_cbranch_execz .LBB158_10
; %bb.9:                                ;   in Loop: Header=BB158_2 Depth=1
	ds_read_b64 v[7:8], v11 offset:8
	s_waitcnt lgkmcnt(1)
	v_mov_b32_e32 v6, v2
	v_mov_b32_e32 v5, v1
.LBB158_10:                             ;   in Loop: Header=BB158_2 Depth=1
	s_or_b64 exec, exec, s[18:19]
	v_add_u32_e32 v12, 1, v10
	v_add_u32_e32 v11, 1, v9
	v_cndmask_b32_e64 v14, v12, v10, s[16:17]
	s_waitcnt lgkmcnt(0)
	v_cmp_lt_i64_e64 s[20:21], v[7:8], v[5:6]
	v_cndmask_b32_e64 v13, v9, v11, s[16:17]
	v_cmp_ge_i32_e64 s[22:23], v14, v39
	v_cmp_lt_i32_e64 s[18:19], v13, v40
	s_or_b64 s[20:21], s[22:23], s[20:21]
	s_and_b64 s[18:19], s[18:19], s[20:21]
	s_xor_b64 s[20:21], s[18:19], -1
                                        ; implicit-def: $vgpr9_vgpr10
	s_and_saveexec_b64 s[22:23], s[20:21]
	s_xor_b64 s[20:21], exec, s[22:23]
; %bb.11:                               ;   in Loop: Header=BB158_2 Depth=1
	v_lshlrev_b32_e32 v9, 3, v14
	ds_read_b64 v[9:10], v9 offset:8
; %bb.12:                               ;   in Loop: Header=BB158_2 Depth=1
	s_or_saveexec_b64 s[20:21], s[20:21]
	v_mov_b32_e32 v12, v8
	v_mov_b32_e32 v11, v7
	s_xor_b64 exec, exec, s[20:21]
	s_cbranch_execz .LBB158_14
; %bb.13:                               ;   in Loop: Header=BB158_2 Depth=1
	s_waitcnt lgkmcnt(0)
	v_lshlrev_b32_e32 v9, 3, v13
	ds_read_b64 v[11:12], v9 offset:8
	v_mov_b32_e32 v10, v6
	v_mov_b32_e32 v9, v5
.LBB158_14:                             ;   in Loop: Header=BB158_2 Depth=1
	s_or_b64 exec, exec, s[20:21]
	v_add_u32_e32 v16, 1, v14
	v_add_u32_e32 v15, 1, v13
	v_cndmask_b32_e64 v18, v16, v14, s[18:19]
	s_waitcnt lgkmcnt(0)
	v_cmp_lt_i64_e64 s[22:23], v[11:12], v[9:10]
	v_cndmask_b32_e64 v17, v13, v15, s[18:19]
	v_cmp_ge_i32_e64 s[24:25], v18, v39
	v_cmp_lt_i32_e64 s[20:21], v17, v40
	s_or_b64 s[22:23], s[24:25], s[22:23]
	s_and_b64 s[20:21], s[20:21], s[22:23]
	s_xor_b64 s[22:23], s[20:21], -1
                                        ; implicit-def: $vgpr13_vgpr14
	s_and_saveexec_b64 s[24:25], s[22:23]
	s_xor_b64 s[22:23], exec, s[24:25]
; %bb.15:                               ;   in Loop: Header=BB158_2 Depth=1
	v_lshlrev_b32_e32 v13, 3, v18
	ds_read_b64 v[13:14], v13 offset:8
; %bb.16:                               ;   in Loop: Header=BB158_2 Depth=1
	s_or_saveexec_b64 s[22:23], s[22:23]
	v_mov_b32_e32 v16, v12
	v_mov_b32_e32 v15, v11
	s_xor_b64 exec, exec, s[22:23]
	s_cbranch_execz .LBB158_18
; %bb.17:                               ;   in Loop: Header=BB158_2 Depth=1
	s_waitcnt lgkmcnt(0)
	v_lshlrev_b32_e32 v13, 3, v17
	ds_read_b64 v[15:16], v13 offset:8
	v_mov_b32_e32 v14, v10
	v_mov_b32_e32 v13, v9
.LBB158_18:                             ;   in Loop: Header=BB158_2 Depth=1
	s_or_b64 exec, exec, s[22:23]
	v_add_u32_e32 v20, 1, v18
	v_add_u32_e32 v19, 1, v17
	v_cndmask_b32_e64 v22, v20, v18, s[20:21]
	s_waitcnt lgkmcnt(0)
	v_cmp_lt_i64_e64 s[24:25], v[15:16], v[13:14]
	v_cndmask_b32_e64 v21, v17, v19, s[20:21]
	v_cmp_ge_i32_e64 s[26:27], v22, v39
	v_cmp_lt_i32_e64 s[22:23], v21, v40
	s_or_b64 s[24:25], s[26:27], s[24:25]
	s_and_b64 s[22:23], s[22:23], s[24:25]
	s_xor_b64 s[24:25], s[22:23], -1
                                        ; implicit-def: $vgpr17_vgpr18
	s_and_saveexec_b64 s[26:27], s[24:25]
	s_xor_b64 s[24:25], exec, s[26:27]
; %bb.19:                               ;   in Loop: Header=BB158_2 Depth=1
	v_lshlrev_b32_e32 v17, 3, v22
	ds_read_b64 v[17:18], v17 offset:8
; %bb.20:                               ;   in Loop: Header=BB158_2 Depth=1
	s_or_saveexec_b64 s[24:25], s[24:25]
	v_mov_b32_e32 v20, v16
	v_mov_b32_e32 v19, v15
	s_xor_b64 exec, exec, s[24:25]
	s_cbranch_execz .LBB158_22
; %bb.21:                               ;   in Loop: Header=BB158_2 Depth=1
	s_waitcnt lgkmcnt(0)
	v_lshlrev_b32_e32 v17, 3, v21
	ds_read_b64 v[19:20], v17 offset:8
	v_mov_b32_e32 v18, v14
	v_mov_b32_e32 v17, v13
.LBB158_22:                             ;   in Loop: Header=BB158_2 Depth=1
	s_or_b64 exec, exec, s[24:25]
	v_add_u32_e32 v24, 1, v22
	v_add_u32_e32 v23, 1, v21
	v_cndmask_b32_e64 v26, v24, v22, s[22:23]
	s_waitcnt lgkmcnt(0)
	v_cmp_lt_i64_e64 s[26:27], v[19:20], v[17:18]
	v_cndmask_b32_e64 v25, v21, v23, s[22:23]
	v_cmp_ge_i32_e64 s[28:29], v26, v39
	v_cmp_lt_i32_e64 s[24:25], v25, v40
	s_or_b64 s[26:27], s[28:29], s[26:27]
	s_and_b64 s[24:25], s[24:25], s[26:27]
	s_xor_b64 s[26:27], s[24:25], -1
                                        ; implicit-def: $vgpr21_vgpr22
	s_and_saveexec_b64 s[28:29], s[26:27]
	s_xor_b64 s[26:27], exec, s[28:29]
; %bb.23:                               ;   in Loop: Header=BB158_2 Depth=1
	v_lshlrev_b32_e32 v21, 3, v26
	ds_read_b64 v[21:22], v21 offset:8
; %bb.24:                               ;   in Loop: Header=BB158_2 Depth=1
	s_or_saveexec_b64 s[26:27], s[26:27]
	v_mov_b32_e32 v24, v20
	v_mov_b32_e32 v23, v19
	s_xor_b64 exec, exec, s[26:27]
	s_cbranch_execz .LBB158_26
; %bb.25:                               ;   in Loop: Header=BB158_2 Depth=1
	s_waitcnt lgkmcnt(0)
	v_lshlrev_b32_e32 v21, 3, v25
	ds_read_b64 v[23:24], v21 offset:8
	v_mov_b32_e32 v22, v18
	v_mov_b32_e32 v21, v17
.LBB158_26:                             ;   in Loop: Header=BB158_2 Depth=1
	s_or_b64 exec, exec, s[26:27]
	v_add_u32_e32 v28, 1, v26
	v_add_u32_e32 v27, 1, v25
	v_cndmask_b32_e64 v30, v28, v26, s[24:25]
	s_waitcnt lgkmcnt(0)
	v_cmp_lt_i64_e64 s[28:29], v[23:24], v[21:22]
	v_cndmask_b32_e64 v29, v25, v27, s[24:25]
	v_cmp_ge_i32_e64 s[30:31], v30, v39
	v_cmp_lt_i32_e64 s[26:27], v29, v40
	s_or_b64 s[28:29], s[30:31], s[28:29]
	s_and_b64 s[26:27], s[26:27], s[28:29]
	s_xor_b64 s[28:29], s[26:27], -1
                                        ; implicit-def: $vgpr25_vgpr26
	s_and_saveexec_b64 s[30:31], s[28:29]
	s_xor_b64 s[28:29], exec, s[30:31]
; %bb.27:                               ;   in Loop: Header=BB158_2 Depth=1
	v_lshlrev_b32_e32 v25, 3, v30
	ds_read_b64 v[25:26], v25 offset:8
; %bb.28:                               ;   in Loop: Header=BB158_2 Depth=1
	s_or_saveexec_b64 s[28:29], s[28:29]
	v_mov_b32_e32 v28, v24
	v_mov_b32_e32 v27, v23
	s_xor_b64 exec, exec, s[28:29]
	s_cbranch_execz .LBB158_30
; %bb.29:                               ;   in Loop: Header=BB158_2 Depth=1
	s_waitcnt lgkmcnt(0)
	v_lshlrev_b32_e32 v25, 3, v29
	ds_read_b64 v[27:28], v25 offset:8
	v_mov_b32_e32 v26, v22
	v_mov_b32_e32 v25, v21
.LBB158_30:                             ;   in Loop: Header=BB158_2 Depth=1
	s_or_b64 exec, exec, s[28:29]
	v_add_u32_e32 v32, 1, v30
	v_add_u32_e32 v31, 1, v29
	v_cndmask_b32_e64 v34, v32, v30, s[26:27]
	s_waitcnt lgkmcnt(0)
	v_cmp_lt_i64_e64 s[30:31], v[27:28], v[25:26]
	v_cndmask_b32_e64 v33, v29, v31, s[26:27]
	v_cmp_ge_i32_e64 s[34:35], v34, v39
	v_cmp_lt_i32_e64 s[28:29], v33, v40
	s_or_b64 s[30:31], s[34:35], s[30:31]
	s_and_b64 s[28:29], s[28:29], s[30:31]
	s_xor_b64 s[30:31], s[28:29], -1
                                        ; implicit-def: $vgpr29_vgpr30
	s_and_saveexec_b64 s[34:35], s[30:31]
	s_xor_b64 s[30:31], exec, s[34:35]
; %bb.31:                               ;   in Loop: Header=BB158_2 Depth=1
	v_lshlrev_b32_e32 v29, 3, v34
	ds_read_b64 v[29:30], v29 offset:8
; %bb.32:                               ;   in Loop: Header=BB158_2 Depth=1
	s_or_saveexec_b64 s[30:31], s[30:31]
	v_mov_b32_e32 v32, v28
	v_mov_b32_e32 v31, v27
	s_xor_b64 exec, exec, s[30:31]
	s_cbranch_execz .LBB158_34
; %bb.33:                               ;   in Loop: Header=BB158_2 Depth=1
	s_waitcnt lgkmcnt(0)
	v_lshlrev_b32_e32 v29, 3, v33
	ds_read_b64 v[31:32], v29 offset:8
	v_mov_b32_e32 v30, v26
	v_mov_b32_e32 v29, v25
.LBB158_34:                             ;   in Loop: Header=BB158_2 Depth=1
	s_or_b64 exec, exec, s[30:31]
	v_cndmask_b32_e64 v26, v26, v28, s[28:29]
	v_add_u32_e32 v28, 1, v34
	v_cndmask_b32_e64 v25, v25, v27, s[28:29]
	v_add_u32_e32 v27, 1, v33
	v_cndmask_b32_e64 v28, v28, v34, s[28:29]
	v_cndmask_b32_e64 v6, v6, v8, s[18:19]
	;; [unrolled: 1-line block ×3, first 2 shown]
	s_waitcnt lgkmcnt(0)
	v_cmp_lt_i64_e64 s[18:19], v[31:32], v[29:30]
	v_cndmask_b32_e64 v27, v33, v27, s[28:29]
	v_cndmask_b32_e64 v10, v10, v12, s[20:21]
	;; [unrolled: 1-line block ×3, first 2 shown]
	v_cmp_ge_i32_e64 s[20:21], v28, v39
	v_cndmask_b32_e64 v2, v2, v4, s[16:17]
	v_cndmask_b32_e64 v1, v1, v3, s[16:17]
	v_cmp_lt_i32_e64 s[16:17], v27, v40
	s_or_b64 s[18:19], s[20:21], s[18:19]
	s_and_b64 s[16:17], s[16:17], s[18:19]
	v_cndmask_b32_e64 v22, v22, v24, s[26:27]
	v_cndmask_b32_e64 v21, v21, v23, s[26:27]
	;; [unrolled: 1-line block ×8, first 2 shown]
	s_barrier
	ds_write2_b64 v37, v[1:2], v[5:6] offset1:1
	ds_write2_b64 v37, v[9:10], v[13:14] offset0:2 offset1:3
	ds_write2_b64 v37, v[17:18], v[21:22] offset0:4 offset1:5
	;; [unrolled: 1-line block ×3, first 2 shown]
	v_mov_b32_e32 v5, v49
	s_waitcnt lgkmcnt(0)
	s_barrier
	s_and_saveexec_b64 s[18:19], s[0:1]
	s_cbranch_execz .LBB158_38
; %bb.35:                               ;   in Loop: Header=BB158_2 Depth=1
	s_mov_b64 s[20:21], 0
	v_mov_b32_e32 v5, v49
	v_mov_b32_e32 v1, v50
.LBB158_36:                             ;   Parent Loop BB158_2 Depth=1
                                        ; =>  This Inner Loop Header: Depth=2
	v_sub_u32_e32 v2, v1, v5
	v_lshrrev_b32_e32 v2, 1, v2
	v_add_u32_e32 v4, v2, v5
	v_not_b32_e32 v3, v4
	v_lshl_add_u32 v2, v4, 3, v48
	v_lshl_add_u32 v6, v3, 3, v99
	ds_read_b64 v[2:3], v2
	ds_read_b64 v[6:7], v6
	v_add_u32_e32 v8, 1, v4
	s_waitcnt lgkmcnt(0)
	v_cmp_lt_i64_e64 s[16:17], v[6:7], v[2:3]
	v_cndmask_b32_e64 v1, v1, v4, s[16:17]
	v_cndmask_b32_e64 v5, v8, v5, s[16:17]
	v_cmp_ge_i32_e64 s[16:17], v5, v1
	s_or_b64 s[20:21], s[16:17], s[20:21]
	s_andn2_b64 exec, exec, s[20:21]
	s_cbranch_execnz .LBB158_36
; %bb.37:                               ;   in Loop: Header=BB158_2 Depth=1
	s_or_b64 exec, exec, s[20:21]
.LBB158_38:                             ;   in Loop: Header=BB158_2 Depth=1
	s_or_b64 exec, exec, s[18:19]
	v_sub_u32_e32 v9, v51, v5
	v_lshl_add_u32 v7, v5, 3, v48
	v_lshlrev_b32_e32 v11, 3, v9
	ds_read_b64 v[1:2], v7
	ds_read_b64 v[3:4], v11
	v_add_u32_e32 v10, v5, v45
	v_cmp_le_i32_e64 s[20:21], v46, v10
	v_cmp_gt_i32_e64 s[16:17], v47, v9
                                        ; implicit-def: $vgpr5_vgpr6
	s_waitcnt lgkmcnt(0)
	v_cmp_lt_i64_e64 s[18:19], v[3:4], v[1:2]
	s_or_b64 s[18:19], s[20:21], s[18:19]
	s_and_b64 s[16:17], s[16:17], s[18:19]
	s_xor_b64 s[18:19], s[16:17], -1
	s_and_saveexec_b64 s[20:21], s[18:19]
	s_xor_b64 s[18:19], exec, s[20:21]
; %bb.39:                               ;   in Loop: Header=BB158_2 Depth=1
	ds_read_b64 v[5:6], v7 offset:8
                                        ; implicit-def: $vgpr11
; %bb.40:                               ;   in Loop: Header=BB158_2 Depth=1
	s_or_saveexec_b64 s[18:19], s[18:19]
	v_mov_b32_e32 v8, v4
	v_mov_b32_e32 v7, v3
	s_xor_b64 exec, exec, s[18:19]
	s_cbranch_execz .LBB158_42
; %bb.41:                               ;   in Loop: Header=BB158_2 Depth=1
	ds_read_b64 v[7:8], v11 offset:8
	s_waitcnt lgkmcnt(1)
	v_mov_b32_e32 v6, v2
	v_mov_b32_e32 v5, v1
.LBB158_42:                             ;   in Loop: Header=BB158_2 Depth=1
	s_or_b64 exec, exec, s[18:19]
	v_add_u32_e32 v12, 1, v10
	v_add_u32_e32 v11, 1, v9
	v_cndmask_b32_e64 v14, v12, v10, s[16:17]
	s_waitcnt lgkmcnt(0)
	v_cmp_lt_i64_e64 s[20:21], v[7:8], v[5:6]
	v_cndmask_b32_e64 v13, v9, v11, s[16:17]
	v_cmp_ge_i32_e64 s[22:23], v14, v46
	v_cmp_lt_i32_e64 s[18:19], v13, v47
	s_or_b64 s[20:21], s[22:23], s[20:21]
	s_and_b64 s[18:19], s[18:19], s[20:21]
	s_xor_b64 s[20:21], s[18:19], -1
                                        ; implicit-def: $vgpr9_vgpr10
	s_and_saveexec_b64 s[22:23], s[20:21]
	s_xor_b64 s[20:21], exec, s[22:23]
; %bb.43:                               ;   in Loop: Header=BB158_2 Depth=1
	v_lshlrev_b32_e32 v9, 3, v14
	ds_read_b64 v[9:10], v9 offset:8
; %bb.44:                               ;   in Loop: Header=BB158_2 Depth=1
	s_or_saveexec_b64 s[20:21], s[20:21]
	v_mov_b32_e32 v12, v8
	v_mov_b32_e32 v11, v7
	s_xor_b64 exec, exec, s[20:21]
	s_cbranch_execz .LBB158_46
; %bb.45:                               ;   in Loop: Header=BB158_2 Depth=1
	s_waitcnt lgkmcnt(0)
	v_lshlrev_b32_e32 v9, 3, v13
	ds_read_b64 v[11:12], v9 offset:8
	v_mov_b32_e32 v10, v6
	v_mov_b32_e32 v9, v5
.LBB158_46:                             ;   in Loop: Header=BB158_2 Depth=1
	s_or_b64 exec, exec, s[20:21]
	v_add_u32_e32 v16, 1, v14
	v_add_u32_e32 v15, 1, v13
	v_cndmask_b32_e64 v18, v16, v14, s[18:19]
	s_waitcnt lgkmcnt(0)
	v_cmp_lt_i64_e64 s[22:23], v[11:12], v[9:10]
	v_cndmask_b32_e64 v17, v13, v15, s[18:19]
	v_cmp_ge_i32_e64 s[24:25], v18, v46
	v_cmp_lt_i32_e64 s[20:21], v17, v47
	s_or_b64 s[22:23], s[24:25], s[22:23]
	s_and_b64 s[20:21], s[20:21], s[22:23]
	s_xor_b64 s[22:23], s[20:21], -1
                                        ; implicit-def: $vgpr13_vgpr14
	s_and_saveexec_b64 s[24:25], s[22:23]
	s_xor_b64 s[22:23], exec, s[24:25]
; %bb.47:                               ;   in Loop: Header=BB158_2 Depth=1
	v_lshlrev_b32_e32 v13, 3, v18
	ds_read_b64 v[13:14], v13 offset:8
; %bb.48:                               ;   in Loop: Header=BB158_2 Depth=1
	s_or_saveexec_b64 s[22:23], s[22:23]
	v_mov_b32_e32 v16, v12
	v_mov_b32_e32 v15, v11
	s_xor_b64 exec, exec, s[22:23]
	s_cbranch_execz .LBB158_50
; %bb.49:                               ;   in Loop: Header=BB158_2 Depth=1
	s_waitcnt lgkmcnt(0)
	v_lshlrev_b32_e32 v13, 3, v17
	ds_read_b64 v[15:16], v13 offset:8
	v_mov_b32_e32 v14, v10
	v_mov_b32_e32 v13, v9
.LBB158_50:                             ;   in Loop: Header=BB158_2 Depth=1
	s_or_b64 exec, exec, s[22:23]
	v_add_u32_e32 v20, 1, v18
	v_add_u32_e32 v19, 1, v17
	v_cndmask_b32_e64 v22, v20, v18, s[20:21]
	s_waitcnt lgkmcnt(0)
	v_cmp_lt_i64_e64 s[24:25], v[15:16], v[13:14]
	v_cndmask_b32_e64 v21, v17, v19, s[20:21]
	v_cmp_ge_i32_e64 s[26:27], v22, v46
	v_cmp_lt_i32_e64 s[22:23], v21, v47
	s_or_b64 s[24:25], s[26:27], s[24:25]
	s_and_b64 s[22:23], s[22:23], s[24:25]
	s_xor_b64 s[24:25], s[22:23], -1
                                        ; implicit-def: $vgpr17_vgpr18
	s_and_saveexec_b64 s[26:27], s[24:25]
	s_xor_b64 s[24:25], exec, s[26:27]
; %bb.51:                               ;   in Loop: Header=BB158_2 Depth=1
	v_lshlrev_b32_e32 v17, 3, v22
	ds_read_b64 v[17:18], v17 offset:8
; %bb.52:                               ;   in Loop: Header=BB158_2 Depth=1
	s_or_saveexec_b64 s[24:25], s[24:25]
	v_mov_b32_e32 v20, v16
	v_mov_b32_e32 v19, v15
	s_xor_b64 exec, exec, s[24:25]
	s_cbranch_execz .LBB158_54
; %bb.53:                               ;   in Loop: Header=BB158_2 Depth=1
	s_waitcnt lgkmcnt(0)
	v_lshlrev_b32_e32 v17, 3, v21
	ds_read_b64 v[19:20], v17 offset:8
	v_mov_b32_e32 v18, v14
	v_mov_b32_e32 v17, v13
.LBB158_54:                             ;   in Loop: Header=BB158_2 Depth=1
	s_or_b64 exec, exec, s[24:25]
	v_add_u32_e32 v24, 1, v22
	v_add_u32_e32 v23, 1, v21
	v_cndmask_b32_e64 v26, v24, v22, s[22:23]
	s_waitcnt lgkmcnt(0)
	v_cmp_lt_i64_e64 s[26:27], v[19:20], v[17:18]
	v_cndmask_b32_e64 v25, v21, v23, s[22:23]
	v_cmp_ge_i32_e64 s[28:29], v26, v46
	v_cmp_lt_i32_e64 s[24:25], v25, v47
	s_or_b64 s[26:27], s[28:29], s[26:27]
	s_and_b64 s[24:25], s[24:25], s[26:27]
	s_xor_b64 s[26:27], s[24:25], -1
                                        ; implicit-def: $vgpr21_vgpr22
	s_and_saveexec_b64 s[28:29], s[26:27]
	s_xor_b64 s[26:27], exec, s[28:29]
; %bb.55:                               ;   in Loop: Header=BB158_2 Depth=1
	v_lshlrev_b32_e32 v21, 3, v26
	ds_read_b64 v[21:22], v21 offset:8
; %bb.56:                               ;   in Loop: Header=BB158_2 Depth=1
	s_or_saveexec_b64 s[26:27], s[26:27]
	v_mov_b32_e32 v24, v20
	v_mov_b32_e32 v23, v19
	s_xor_b64 exec, exec, s[26:27]
	s_cbranch_execz .LBB158_58
; %bb.57:                               ;   in Loop: Header=BB158_2 Depth=1
	s_waitcnt lgkmcnt(0)
	v_lshlrev_b32_e32 v21, 3, v25
	ds_read_b64 v[23:24], v21 offset:8
	v_mov_b32_e32 v22, v18
	v_mov_b32_e32 v21, v17
.LBB158_58:                             ;   in Loop: Header=BB158_2 Depth=1
	s_or_b64 exec, exec, s[26:27]
	v_add_u32_e32 v28, 1, v26
	v_add_u32_e32 v27, 1, v25
	v_cndmask_b32_e64 v30, v28, v26, s[24:25]
	s_waitcnt lgkmcnt(0)
	v_cmp_lt_i64_e64 s[28:29], v[23:24], v[21:22]
	v_cndmask_b32_e64 v29, v25, v27, s[24:25]
	v_cmp_ge_i32_e64 s[30:31], v30, v46
	v_cmp_lt_i32_e64 s[26:27], v29, v47
	s_or_b64 s[28:29], s[30:31], s[28:29]
	s_and_b64 s[26:27], s[26:27], s[28:29]
	s_xor_b64 s[28:29], s[26:27], -1
                                        ; implicit-def: $vgpr25_vgpr26
	s_and_saveexec_b64 s[30:31], s[28:29]
	s_xor_b64 s[28:29], exec, s[30:31]
; %bb.59:                               ;   in Loop: Header=BB158_2 Depth=1
	v_lshlrev_b32_e32 v25, 3, v30
	ds_read_b64 v[25:26], v25 offset:8
; %bb.60:                               ;   in Loop: Header=BB158_2 Depth=1
	s_or_saveexec_b64 s[28:29], s[28:29]
	v_mov_b32_e32 v28, v24
	v_mov_b32_e32 v27, v23
	s_xor_b64 exec, exec, s[28:29]
	s_cbranch_execz .LBB158_62
; %bb.61:                               ;   in Loop: Header=BB158_2 Depth=1
	s_waitcnt lgkmcnt(0)
	v_lshlrev_b32_e32 v25, 3, v29
	ds_read_b64 v[27:28], v25 offset:8
	v_mov_b32_e32 v26, v22
	v_mov_b32_e32 v25, v21
.LBB158_62:                             ;   in Loop: Header=BB158_2 Depth=1
	s_or_b64 exec, exec, s[28:29]
	v_add_u32_e32 v32, 1, v30
	v_add_u32_e32 v31, 1, v29
	v_cndmask_b32_e64 v34, v32, v30, s[26:27]
	s_waitcnt lgkmcnt(0)
	v_cmp_lt_i64_e64 s[30:31], v[27:28], v[25:26]
	v_cndmask_b32_e64 v33, v29, v31, s[26:27]
	v_cmp_ge_i32_e64 s[34:35], v34, v46
	v_cmp_lt_i32_e64 s[28:29], v33, v47
	s_or_b64 s[30:31], s[34:35], s[30:31]
	s_and_b64 s[28:29], s[28:29], s[30:31]
	s_xor_b64 s[30:31], s[28:29], -1
                                        ; implicit-def: $vgpr29_vgpr30
	s_and_saveexec_b64 s[34:35], s[30:31]
	s_xor_b64 s[30:31], exec, s[34:35]
; %bb.63:                               ;   in Loop: Header=BB158_2 Depth=1
	v_lshlrev_b32_e32 v29, 3, v34
	ds_read_b64 v[29:30], v29 offset:8
; %bb.64:                               ;   in Loop: Header=BB158_2 Depth=1
	s_or_saveexec_b64 s[30:31], s[30:31]
	v_mov_b32_e32 v32, v28
	v_mov_b32_e32 v31, v27
	s_xor_b64 exec, exec, s[30:31]
	s_cbranch_execz .LBB158_66
; %bb.65:                               ;   in Loop: Header=BB158_2 Depth=1
	s_waitcnt lgkmcnt(0)
	v_lshlrev_b32_e32 v29, 3, v33
	ds_read_b64 v[31:32], v29 offset:8
	v_mov_b32_e32 v30, v26
	v_mov_b32_e32 v29, v25
.LBB158_66:                             ;   in Loop: Header=BB158_2 Depth=1
	s_or_b64 exec, exec, s[30:31]
	v_cndmask_b32_e64 v26, v26, v28, s[28:29]
	v_add_u32_e32 v28, 1, v34
	v_cndmask_b32_e64 v25, v25, v27, s[28:29]
	v_add_u32_e32 v27, 1, v33
	v_cndmask_b32_e64 v28, v28, v34, s[28:29]
	v_cndmask_b32_e64 v6, v6, v8, s[18:19]
	;; [unrolled: 1-line block ×3, first 2 shown]
	s_waitcnt lgkmcnt(0)
	v_cmp_lt_i64_e64 s[18:19], v[31:32], v[29:30]
	v_cndmask_b32_e64 v27, v33, v27, s[28:29]
	v_cndmask_b32_e64 v10, v10, v12, s[20:21]
	;; [unrolled: 1-line block ×3, first 2 shown]
	v_cmp_ge_i32_e64 s[20:21], v28, v46
	v_cndmask_b32_e64 v2, v2, v4, s[16:17]
	v_cndmask_b32_e64 v1, v1, v3, s[16:17]
	v_cmp_lt_i32_e64 s[16:17], v27, v47
	s_or_b64 s[18:19], s[20:21], s[18:19]
	s_and_b64 s[16:17], s[16:17], s[18:19]
	v_cndmask_b32_e64 v22, v22, v24, s[26:27]
	v_cndmask_b32_e64 v21, v21, v23, s[26:27]
	;; [unrolled: 1-line block ×8, first 2 shown]
	s_barrier
	ds_write2_b64 v37, v[1:2], v[5:6] offset1:1
	ds_write2_b64 v37, v[9:10], v[13:14] offset0:2 offset1:3
	ds_write2_b64 v37, v[17:18], v[21:22] offset0:4 offset1:5
	;; [unrolled: 1-line block ×3, first 2 shown]
	v_mov_b32_e32 v5, v56
	s_waitcnt lgkmcnt(0)
	s_barrier
	s_and_saveexec_b64 s[18:19], s[2:3]
	s_cbranch_execz .LBB158_70
; %bb.67:                               ;   in Loop: Header=BB158_2 Depth=1
	s_mov_b64 s[20:21], 0
	v_mov_b32_e32 v5, v56
	v_mov_b32_e32 v1, v57
.LBB158_68:                             ;   Parent Loop BB158_2 Depth=1
                                        ; =>  This Inner Loop Header: Depth=2
	v_sub_u32_e32 v2, v1, v5
	v_lshrrev_b32_e32 v2, 1, v2
	v_add_u32_e32 v4, v2, v5
	v_not_b32_e32 v3, v4
	v_lshl_add_u32 v2, v4, 3, v55
	v_lshl_add_u32 v6, v3, 3, v100
	ds_read_b64 v[2:3], v2
	ds_read_b64 v[6:7], v6
	v_add_u32_e32 v8, 1, v4
	s_waitcnt lgkmcnt(0)
	v_cmp_lt_i64_e64 s[16:17], v[6:7], v[2:3]
	v_cndmask_b32_e64 v1, v1, v4, s[16:17]
	v_cndmask_b32_e64 v5, v8, v5, s[16:17]
	v_cmp_ge_i32_e64 s[16:17], v5, v1
	s_or_b64 s[20:21], s[16:17], s[20:21]
	s_andn2_b64 exec, exec, s[20:21]
	s_cbranch_execnz .LBB158_68
; %bb.69:                               ;   in Loop: Header=BB158_2 Depth=1
	s_or_b64 exec, exec, s[20:21]
.LBB158_70:                             ;   in Loop: Header=BB158_2 Depth=1
	s_or_b64 exec, exec, s[18:19]
	v_sub_u32_e32 v9, v58, v5
	v_lshl_add_u32 v7, v5, 3, v55
	v_lshlrev_b32_e32 v11, 3, v9
	ds_read_b64 v[1:2], v7
	ds_read_b64 v[3:4], v11
	v_add_u32_e32 v10, v5, v52
	v_cmp_le_i32_e64 s[20:21], v53, v10
	v_cmp_gt_i32_e64 s[16:17], v54, v9
                                        ; implicit-def: $vgpr5_vgpr6
	s_waitcnt lgkmcnt(0)
	v_cmp_lt_i64_e64 s[18:19], v[3:4], v[1:2]
	s_or_b64 s[18:19], s[20:21], s[18:19]
	s_and_b64 s[16:17], s[16:17], s[18:19]
	s_xor_b64 s[18:19], s[16:17], -1
	s_and_saveexec_b64 s[20:21], s[18:19]
	s_xor_b64 s[18:19], exec, s[20:21]
; %bb.71:                               ;   in Loop: Header=BB158_2 Depth=1
	ds_read_b64 v[5:6], v7 offset:8
                                        ; implicit-def: $vgpr11
; %bb.72:                               ;   in Loop: Header=BB158_2 Depth=1
	s_or_saveexec_b64 s[18:19], s[18:19]
	v_mov_b32_e32 v8, v4
	v_mov_b32_e32 v7, v3
	s_xor_b64 exec, exec, s[18:19]
	s_cbranch_execz .LBB158_74
; %bb.73:                               ;   in Loop: Header=BB158_2 Depth=1
	ds_read_b64 v[7:8], v11 offset:8
	s_waitcnt lgkmcnt(1)
	v_mov_b32_e32 v6, v2
	v_mov_b32_e32 v5, v1
.LBB158_74:                             ;   in Loop: Header=BB158_2 Depth=1
	s_or_b64 exec, exec, s[18:19]
	v_add_u32_e32 v12, 1, v10
	v_add_u32_e32 v11, 1, v9
	v_cndmask_b32_e64 v14, v12, v10, s[16:17]
	s_waitcnt lgkmcnt(0)
	v_cmp_lt_i64_e64 s[20:21], v[7:8], v[5:6]
	v_cndmask_b32_e64 v13, v9, v11, s[16:17]
	v_cmp_ge_i32_e64 s[22:23], v14, v53
	v_cmp_lt_i32_e64 s[18:19], v13, v54
	s_or_b64 s[20:21], s[22:23], s[20:21]
	s_and_b64 s[18:19], s[18:19], s[20:21]
	s_xor_b64 s[20:21], s[18:19], -1
                                        ; implicit-def: $vgpr9_vgpr10
	s_and_saveexec_b64 s[22:23], s[20:21]
	s_xor_b64 s[20:21], exec, s[22:23]
; %bb.75:                               ;   in Loop: Header=BB158_2 Depth=1
	v_lshlrev_b32_e32 v9, 3, v14
	ds_read_b64 v[9:10], v9 offset:8
; %bb.76:                               ;   in Loop: Header=BB158_2 Depth=1
	s_or_saveexec_b64 s[20:21], s[20:21]
	v_mov_b32_e32 v12, v8
	v_mov_b32_e32 v11, v7
	s_xor_b64 exec, exec, s[20:21]
	s_cbranch_execz .LBB158_78
; %bb.77:                               ;   in Loop: Header=BB158_2 Depth=1
	s_waitcnt lgkmcnt(0)
	v_lshlrev_b32_e32 v9, 3, v13
	ds_read_b64 v[11:12], v9 offset:8
	v_mov_b32_e32 v10, v6
	v_mov_b32_e32 v9, v5
.LBB158_78:                             ;   in Loop: Header=BB158_2 Depth=1
	s_or_b64 exec, exec, s[20:21]
	v_add_u32_e32 v16, 1, v14
	v_add_u32_e32 v15, 1, v13
	v_cndmask_b32_e64 v18, v16, v14, s[18:19]
	s_waitcnt lgkmcnt(0)
	v_cmp_lt_i64_e64 s[22:23], v[11:12], v[9:10]
	v_cndmask_b32_e64 v17, v13, v15, s[18:19]
	v_cmp_ge_i32_e64 s[24:25], v18, v53
	v_cmp_lt_i32_e64 s[20:21], v17, v54
	s_or_b64 s[22:23], s[24:25], s[22:23]
	s_and_b64 s[20:21], s[20:21], s[22:23]
	s_xor_b64 s[22:23], s[20:21], -1
                                        ; implicit-def: $vgpr13_vgpr14
	s_and_saveexec_b64 s[24:25], s[22:23]
	s_xor_b64 s[22:23], exec, s[24:25]
; %bb.79:                               ;   in Loop: Header=BB158_2 Depth=1
	v_lshlrev_b32_e32 v13, 3, v18
	ds_read_b64 v[13:14], v13 offset:8
; %bb.80:                               ;   in Loop: Header=BB158_2 Depth=1
	s_or_saveexec_b64 s[22:23], s[22:23]
	v_mov_b32_e32 v16, v12
	v_mov_b32_e32 v15, v11
	s_xor_b64 exec, exec, s[22:23]
	s_cbranch_execz .LBB158_82
; %bb.81:                               ;   in Loop: Header=BB158_2 Depth=1
	s_waitcnt lgkmcnt(0)
	v_lshlrev_b32_e32 v13, 3, v17
	ds_read_b64 v[15:16], v13 offset:8
	v_mov_b32_e32 v14, v10
	v_mov_b32_e32 v13, v9
.LBB158_82:                             ;   in Loop: Header=BB158_2 Depth=1
	s_or_b64 exec, exec, s[22:23]
	v_add_u32_e32 v20, 1, v18
	v_add_u32_e32 v19, 1, v17
	v_cndmask_b32_e64 v22, v20, v18, s[20:21]
	s_waitcnt lgkmcnt(0)
	v_cmp_lt_i64_e64 s[24:25], v[15:16], v[13:14]
	v_cndmask_b32_e64 v21, v17, v19, s[20:21]
	v_cmp_ge_i32_e64 s[26:27], v22, v53
	v_cmp_lt_i32_e64 s[22:23], v21, v54
	s_or_b64 s[24:25], s[26:27], s[24:25]
	s_and_b64 s[22:23], s[22:23], s[24:25]
	s_xor_b64 s[24:25], s[22:23], -1
                                        ; implicit-def: $vgpr17_vgpr18
	s_and_saveexec_b64 s[26:27], s[24:25]
	s_xor_b64 s[24:25], exec, s[26:27]
; %bb.83:                               ;   in Loop: Header=BB158_2 Depth=1
	v_lshlrev_b32_e32 v17, 3, v22
	ds_read_b64 v[17:18], v17 offset:8
; %bb.84:                               ;   in Loop: Header=BB158_2 Depth=1
	s_or_saveexec_b64 s[24:25], s[24:25]
	v_mov_b32_e32 v20, v16
	v_mov_b32_e32 v19, v15
	s_xor_b64 exec, exec, s[24:25]
	s_cbranch_execz .LBB158_86
; %bb.85:                               ;   in Loop: Header=BB158_2 Depth=1
	s_waitcnt lgkmcnt(0)
	v_lshlrev_b32_e32 v17, 3, v21
	ds_read_b64 v[19:20], v17 offset:8
	v_mov_b32_e32 v18, v14
	v_mov_b32_e32 v17, v13
.LBB158_86:                             ;   in Loop: Header=BB158_2 Depth=1
	s_or_b64 exec, exec, s[24:25]
	v_add_u32_e32 v24, 1, v22
	v_add_u32_e32 v23, 1, v21
	v_cndmask_b32_e64 v26, v24, v22, s[22:23]
	s_waitcnt lgkmcnt(0)
	v_cmp_lt_i64_e64 s[26:27], v[19:20], v[17:18]
	v_cndmask_b32_e64 v25, v21, v23, s[22:23]
	v_cmp_ge_i32_e64 s[28:29], v26, v53
	v_cmp_lt_i32_e64 s[24:25], v25, v54
	s_or_b64 s[26:27], s[28:29], s[26:27]
	s_and_b64 s[24:25], s[24:25], s[26:27]
	s_xor_b64 s[26:27], s[24:25], -1
                                        ; implicit-def: $vgpr21_vgpr22
	s_and_saveexec_b64 s[28:29], s[26:27]
	s_xor_b64 s[26:27], exec, s[28:29]
; %bb.87:                               ;   in Loop: Header=BB158_2 Depth=1
	v_lshlrev_b32_e32 v21, 3, v26
	ds_read_b64 v[21:22], v21 offset:8
; %bb.88:                               ;   in Loop: Header=BB158_2 Depth=1
	s_or_saveexec_b64 s[26:27], s[26:27]
	v_mov_b32_e32 v24, v20
	v_mov_b32_e32 v23, v19
	s_xor_b64 exec, exec, s[26:27]
	s_cbranch_execz .LBB158_90
; %bb.89:                               ;   in Loop: Header=BB158_2 Depth=1
	s_waitcnt lgkmcnt(0)
	v_lshlrev_b32_e32 v21, 3, v25
	ds_read_b64 v[23:24], v21 offset:8
	v_mov_b32_e32 v22, v18
	v_mov_b32_e32 v21, v17
.LBB158_90:                             ;   in Loop: Header=BB158_2 Depth=1
	s_or_b64 exec, exec, s[26:27]
	v_add_u32_e32 v28, 1, v26
	v_add_u32_e32 v27, 1, v25
	v_cndmask_b32_e64 v30, v28, v26, s[24:25]
	s_waitcnt lgkmcnt(0)
	v_cmp_lt_i64_e64 s[28:29], v[23:24], v[21:22]
	v_cndmask_b32_e64 v29, v25, v27, s[24:25]
	v_cmp_ge_i32_e64 s[30:31], v30, v53
	v_cmp_lt_i32_e64 s[26:27], v29, v54
	s_or_b64 s[28:29], s[30:31], s[28:29]
	s_and_b64 s[26:27], s[26:27], s[28:29]
	s_xor_b64 s[28:29], s[26:27], -1
                                        ; implicit-def: $vgpr25_vgpr26
	s_and_saveexec_b64 s[30:31], s[28:29]
	s_xor_b64 s[28:29], exec, s[30:31]
; %bb.91:                               ;   in Loop: Header=BB158_2 Depth=1
	v_lshlrev_b32_e32 v25, 3, v30
	ds_read_b64 v[25:26], v25 offset:8
; %bb.92:                               ;   in Loop: Header=BB158_2 Depth=1
	s_or_saveexec_b64 s[28:29], s[28:29]
	v_mov_b32_e32 v28, v24
	v_mov_b32_e32 v27, v23
	s_xor_b64 exec, exec, s[28:29]
	s_cbranch_execz .LBB158_94
; %bb.93:                               ;   in Loop: Header=BB158_2 Depth=1
	s_waitcnt lgkmcnt(0)
	v_lshlrev_b32_e32 v25, 3, v29
	ds_read_b64 v[27:28], v25 offset:8
	v_mov_b32_e32 v26, v22
	v_mov_b32_e32 v25, v21
.LBB158_94:                             ;   in Loop: Header=BB158_2 Depth=1
	s_or_b64 exec, exec, s[28:29]
	v_add_u32_e32 v32, 1, v30
	v_add_u32_e32 v31, 1, v29
	v_cndmask_b32_e64 v34, v32, v30, s[26:27]
	s_waitcnt lgkmcnt(0)
	v_cmp_lt_i64_e64 s[30:31], v[27:28], v[25:26]
	v_cndmask_b32_e64 v33, v29, v31, s[26:27]
	v_cmp_ge_i32_e64 s[34:35], v34, v53
	v_cmp_lt_i32_e64 s[28:29], v33, v54
	s_or_b64 s[30:31], s[34:35], s[30:31]
	s_and_b64 s[28:29], s[28:29], s[30:31]
	s_xor_b64 s[30:31], s[28:29], -1
                                        ; implicit-def: $vgpr29_vgpr30
	s_and_saveexec_b64 s[34:35], s[30:31]
	s_xor_b64 s[30:31], exec, s[34:35]
; %bb.95:                               ;   in Loop: Header=BB158_2 Depth=1
	v_lshlrev_b32_e32 v29, 3, v34
	ds_read_b64 v[29:30], v29 offset:8
; %bb.96:                               ;   in Loop: Header=BB158_2 Depth=1
	s_or_saveexec_b64 s[30:31], s[30:31]
	v_mov_b32_e32 v32, v28
	v_mov_b32_e32 v31, v27
	s_xor_b64 exec, exec, s[30:31]
	s_cbranch_execz .LBB158_98
; %bb.97:                               ;   in Loop: Header=BB158_2 Depth=1
	s_waitcnt lgkmcnt(0)
	v_lshlrev_b32_e32 v29, 3, v33
	ds_read_b64 v[31:32], v29 offset:8
	v_mov_b32_e32 v30, v26
	v_mov_b32_e32 v29, v25
.LBB158_98:                             ;   in Loop: Header=BB158_2 Depth=1
	s_or_b64 exec, exec, s[30:31]
	v_cndmask_b32_e64 v26, v26, v28, s[28:29]
	v_add_u32_e32 v28, 1, v34
	v_cndmask_b32_e64 v25, v25, v27, s[28:29]
	v_add_u32_e32 v27, 1, v33
	v_cndmask_b32_e64 v28, v28, v34, s[28:29]
	v_cndmask_b32_e64 v6, v6, v8, s[18:19]
	;; [unrolled: 1-line block ×3, first 2 shown]
	s_waitcnt lgkmcnt(0)
	v_cmp_lt_i64_e64 s[18:19], v[31:32], v[29:30]
	v_cndmask_b32_e64 v27, v33, v27, s[28:29]
	v_cndmask_b32_e64 v10, v10, v12, s[20:21]
	;; [unrolled: 1-line block ×3, first 2 shown]
	v_cmp_ge_i32_e64 s[20:21], v28, v53
	v_cndmask_b32_e64 v2, v2, v4, s[16:17]
	v_cndmask_b32_e64 v1, v1, v3, s[16:17]
	v_cmp_lt_i32_e64 s[16:17], v27, v54
	s_or_b64 s[18:19], s[20:21], s[18:19]
	s_and_b64 s[16:17], s[16:17], s[18:19]
	v_cndmask_b32_e64 v22, v22, v24, s[26:27]
	v_cndmask_b32_e64 v21, v21, v23, s[26:27]
	;; [unrolled: 1-line block ×8, first 2 shown]
	s_barrier
	ds_write2_b64 v37, v[1:2], v[5:6] offset1:1
	ds_write2_b64 v37, v[9:10], v[13:14] offset0:2 offset1:3
	ds_write2_b64 v37, v[17:18], v[21:22] offset0:4 offset1:5
	;; [unrolled: 1-line block ×3, first 2 shown]
	v_mov_b32_e32 v5, v63
	s_waitcnt lgkmcnt(0)
	s_barrier
	s_and_saveexec_b64 s[18:19], s[4:5]
	s_cbranch_execz .LBB158_102
; %bb.99:                               ;   in Loop: Header=BB158_2 Depth=1
	s_mov_b64 s[20:21], 0
	v_mov_b32_e32 v5, v63
	v_mov_b32_e32 v1, v64
.LBB158_100:                            ;   Parent Loop BB158_2 Depth=1
                                        ; =>  This Inner Loop Header: Depth=2
	v_sub_u32_e32 v2, v1, v5
	v_lshrrev_b32_e32 v2, 1, v2
	v_add_u32_e32 v4, v2, v5
	v_not_b32_e32 v3, v4
	v_lshl_add_u32 v2, v4, 3, v62
	v_lshl_add_u32 v6, v3, 3, v101
	ds_read_b64 v[2:3], v2
	ds_read_b64 v[6:7], v6
	v_add_u32_e32 v8, 1, v4
	s_waitcnt lgkmcnt(0)
	v_cmp_lt_i64_e64 s[16:17], v[6:7], v[2:3]
	v_cndmask_b32_e64 v1, v1, v4, s[16:17]
	v_cndmask_b32_e64 v5, v8, v5, s[16:17]
	v_cmp_ge_i32_e64 s[16:17], v5, v1
	s_or_b64 s[20:21], s[16:17], s[20:21]
	s_andn2_b64 exec, exec, s[20:21]
	s_cbranch_execnz .LBB158_100
; %bb.101:                              ;   in Loop: Header=BB158_2 Depth=1
	s_or_b64 exec, exec, s[20:21]
.LBB158_102:                            ;   in Loop: Header=BB158_2 Depth=1
	s_or_b64 exec, exec, s[18:19]
	v_sub_u32_e32 v9, v65, v5
	v_lshl_add_u32 v7, v5, 3, v62
	v_lshlrev_b32_e32 v11, 3, v9
	ds_read_b64 v[1:2], v7
	ds_read_b64 v[3:4], v11
	v_add_u32_e32 v10, v5, v59
	v_cmp_le_i32_e64 s[20:21], v60, v10
	v_cmp_gt_i32_e64 s[16:17], v61, v9
                                        ; implicit-def: $vgpr5_vgpr6
	s_waitcnt lgkmcnt(0)
	v_cmp_lt_i64_e64 s[18:19], v[3:4], v[1:2]
	s_or_b64 s[18:19], s[20:21], s[18:19]
	s_and_b64 s[16:17], s[16:17], s[18:19]
	s_xor_b64 s[18:19], s[16:17], -1
	s_and_saveexec_b64 s[20:21], s[18:19]
	s_xor_b64 s[18:19], exec, s[20:21]
; %bb.103:                              ;   in Loop: Header=BB158_2 Depth=1
	ds_read_b64 v[5:6], v7 offset:8
                                        ; implicit-def: $vgpr11
; %bb.104:                              ;   in Loop: Header=BB158_2 Depth=1
	s_or_saveexec_b64 s[18:19], s[18:19]
	v_mov_b32_e32 v8, v4
	v_mov_b32_e32 v7, v3
	s_xor_b64 exec, exec, s[18:19]
	s_cbranch_execz .LBB158_106
; %bb.105:                              ;   in Loop: Header=BB158_2 Depth=1
	ds_read_b64 v[7:8], v11 offset:8
	s_waitcnt lgkmcnt(1)
	v_mov_b32_e32 v6, v2
	v_mov_b32_e32 v5, v1
.LBB158_106:                            ;   in Loop: Header=BB158_2 Depth=1
	s_or_b64 exec, exec, s[18:19]
	v_add_u32_e32 v12, 1, v10
	v_add_u32_e32 v11, 1, v9
	v_cndmask_b32_e64 v14, v12, v10, s[16:17]
	s_waitcnt lgkmcnt(0)
	v_cmp_lt_i64_e64 s[20:21], v[7:8], v[5:6]
	v_cndmask_b32_e64 v13, v9, v11, s[16:17]
	v_cmp_ge_i32_e64 s[22:23], v14, v60
	v_cmp_lt_i32_e64 s[18:19], v13, v61
	s_or_b64 s[20:21], s[22:23], s[20:21]
	s_and_b64 s[18:19], s[18:19], s[20:21]
	s_xor_b64 s[20:21], s[18:19], -1
                                        ; implicit-def: $vgpr9_vgpr10
	s_and_saveexec_b64 s[22:23], s[20:21]
	s_xor_b64 s[20:21], exec, s[22:23]
; %bb.107:                              ;   in Loop: Header=BB158_2 Depth=1
	v_lshlrev_b32_e32 v9, 3, v14
	ds_read_b64 v[9:10], v9 offset:8
; %bb.108:                              ;   in Loop: Header=BB158_2 Depth=1
	s_or_saveexec_b64 s[20:21], s[20:21]
	v_mov_b32_e32 v12, v8
	v_mov_b32_e32 v11, v7
	s_xor_b64 exec, exec, s[20:21]
	s_cbranch_execz .LBB158_110
; %bb.109:                              ;   in Loop: Header=BB158_2 Depth=1
	s_waitcnt lgkmcnt(0)
	v_lshlrev_b32_e32 v9, 3, v13
	ds_read_b64 v[11:12], v9 offset:8
	v_mov_b32_e32 v10, v6
	v_mov_b32_e32 v9, v5
.LBB158_110:                            ;   in Loop: Header=BB158_2 Depth=1
	s_or_b64 exec, exec, s[20:21]
	v_add_u32_e32 v16, 1, v14
	v_add_u32_e32 v15, 1, v13
	v_cndmask_b32_e64 v18, v16, v14, s[18:19]
	s_waitcnt lgkmcnt(0)
	v_cmp_lt_i64_e64 s[22:23], v[11:12], v[9:10]
	v_cndmask_b32_e64 v17, v13, v15, s[18:19]
	v_cmp_ge_i32_e64 s[24:25], v18, v60
	v_cmp_lt_i32_e64 s[20:21], v17, v61
	s_or_b64 s[22:23], s[24:25], s[22:23]
	s_and_b64 s[20:21], s[20:21], s[22:23]
	s_xor_b64 s[22:23], s[20:21], -1
                                        ; implicit-def: $vgpr13_vgpr14
	s_and_saveexec_b64 s[24:25], s[22:23]
	s_xor_b64 s[22:23], exec, s[24:25]
; %bb.111:                              ;   in Loop: Header=BB158_2 Depth=1
	v_lshlrev_b32_e32 v13, 3, v18
	ds_read_b64 v[13:14], v13 offset:8
; %bb.112:                              ;   in Loop: Header=BB158_2 Depth=1
	s_or_saveexec_b64 s[22:23], s[22:23]
	v_mov_b32_e32 v16, v12
	v_mov_b32_e32 v15, v11
	s_xor_b64 exec, exec, s[22:23]
	s_cbranch_execz .LBB158_114
; %bb.113:                              ;   in Loop: Header=BB158_2 Depth=1
	s_waitcnt lgkmcnt(0)
	v_lshlrev_b32_e32 v13, 3, v17
	ds_read_b64 v[15:16], v13 offset:8
	v_mov_b32_e32 v14, v10
	v_mov_b32_e32 v13, v9
.LBB158_114:                            ;   in Loop: Header=BB158_2 Depth=1
	s_or_b64 exec, exec, s[22:23]
	v_add_u32_e32 v20, 1, v18
	v_add_u32_e32 v19, 1, v17
	v_cndmask_b32_e64 v22, v20, v18, s[20:21]
	s_waitcnt lgkmcnt(0)
	v_cmp_lt_i64_e64 s[24:25], v[15:16], v[13:14]
	v_cndmask_b32_e64 v21, v17, v19, s[20:21]
	v_cmp_ge_i32_e64 s[26:27], v22, v60
	v_cmp_lt_i32_e64 s[22:23], v21, v61
	s_or_b64 s[24:25], s[26:27], s[24:25]
	s_and_b64 s[22:23], s[22:23], s[24:25]
	s_xor_b64 s[24:25], s[22:23], -1
                                        ; implicit-def: $vgpr17_vgpr18
	s_and_saveexec_b64 s[26:27], s[24:25]
	s_xor_b64 s[24:25], exec, s[26:27]
; %bb.115:                              ;   in Loop: Header=BB158_2 Depth=1
	v_lshlrev_b32_e32 v17, 3, v22
	ds_read_b64 v[17:18], v17 offset:8
; %bb.116:                              ;   in Loop: Header=BB158_2 Depth=1
	s_or_saveexec_b64 s[24:25], s[24:25]
	v_mov_b32_e32 v20, v16
	v_mov_b32_e32 v19, v15
	s_xor_b64 exec, exec, s[24:25]
	s_cbranch_execz .LBB158_118
; %bb.117:                              ;   in Loop: Header=BB158_2 Depth=1
	s_waitcnt lgkmcnt(0)
	v_lshlrev_b32_e32 v17, 3, v21
	ds_read_b64 v[19:20], v17 offset:8
	v_mov_b32_e32 v18, v14
	v_mov_b32_e32 v17, v13
.LBB158_118:                            ;   in Loop: Header=BB158_2 Depth=1
	s_or_b64 exec, exec, s[24:25]
	v_add_u32_e32 v24, 1, v22
	v_add_u32_e32 v23, 1, v21
	v_cndmask_b32_e64 v26, v24, v22, s[22:23]
	s_waitcnt lgkmcnt(0)
	v_cmp_lt_i64_e64 s[26:27], v[19:20], v[17:18]
	v_cndmask_b32_e64 v25, v21, v23, s[22:23]
	v_cmp_ge_i32_e64 s[28:29], v26, v60
	v_cmp_lt_i32_e64 s[24:25], v25, v61
	s_or_b64 s[26:27], s[28:29], s[26:27]
	s_and_b64 s[24:25], s[24:25], s[26:27]
	s_xor_b64 s[26:27], s[24:25], -1
                                        ; implicit-def: $vgpr21_vgpr22
	s_and_saveexec_b64 s[28:29], s[26:27]
	s_xor_b64 s[26:27], exec, s[28:29]
; %bb.119:                              ;   in Loop: Header=BB158_2 Depth=1
	v_lshlrev_b32_e32 v21, 3, v26
	ds_read_b64 v[21:22], v21 offset:8
; %bb.120:                              ;   in Loop: Header=BB158_2 Depth=1
	s_or_saveexec_b64 s[26:27], s[26:27]
	v_mov_b32_e32 v24, v20
	v_mov_b32_e32 v23, v19
	s_xor_b64 exec, exec, s[26:27]
	s_cbranch_execz .LBB158_122
; %bb.121:                              ;   in Loop: Header=BB158_2 Depth=1
	s_waitcnt lgkmcnt(0)
	v_lshlrev_b32_e32 v21, 3, v25
	ds_read_b64 v[23:24], v21 offset:8
	v_mov_b32_e32 v22, v18
	v_mov_b32_e32 v21, v17
.LBB158_122:                            ;   in Loop: Header=BB158_2 Depth=1
	s_or_b64 exec, exec, s[26:27]
	v_add_u32_e32 v28, 1, v26
	v_add_u32_e32 v27, 1, v25
	v_cndmask_b32_e64 v30, v28, v26, s[24:25]
	s_waitcnt lgkmcnt(0)
	v_cmp_lt_i64_e64 s[28:29], v[23:24], v[21:22]
	v_cndmask_b32_e64 v29, v25, v27, s[24:25]
	v_cmp_ge_i32_e64 s[30:31], v30, v60
	v_cmp_lt_i32_e64 s[26:27], v29, v61
	s_or_b64 s[28:29], s[30:31], s[28:29]
	s_and_b64 s[26:27], s[26:27], s[28:29]
	s_xor_b64 s[28:29], s[26:27], -1
                                        ; implicit-def: $vgpr25_vgpr26
	s_and_saveexec_b64 s[30:31], s[28:29]
	s_xor_b64 s[28:29], exec, s[30:31]
; %bb.123:                              ;   in Loop: Header=BB158_2 Depth=1
	v_lshlrev_b32_e32 v25, 3, v30
	ds_read_b64 v[25:26], v25 offset:8
; %bb.124:                              ;   in Loop: Header=BB158_2 Depth=1
	s_or_saveexec_b64 s[28:29], s[28:29]
	v_mov_b32_e32 v28, v24
	v_mov_b32_e32 v27, v23
	s_xor_b64 exec, exec, s[28:29]
	s_cbranch_execz .LBB158_126
; %bb.125:                              ;   in Loop: Header=BB158_2 Depth=1
	s_waitcnt lgkmcnt(0)
	v_lshlrev_b32_e32 v25, 3, v29
	ds_read_b64 v[27:28], v25 offset:8
	v_mov_b32_e32 v26, v22
	v_mov_b32_e32 v25, v21
.LBB158_126:                            ;   in Loop: Header=BB158_2 Depth=1
	s_or_b64 exec, exec, s[28:29]
	v_add_u32_e32 v32, 1, v30
	v_add_u32_e32 v31, 1, v29
	v_cndmask_b32_e64 v34, v32, v30, s[26:27]
	s_waitcnt lgkmcnt(0)
	v_cmp_lt_i64_e64 s[30:31], v[27:28], v[25:26]
	v_cndmask_b32_e64 v33, v29, v31, s[26:27]
	v_cmp_ge_i32_e64 s[34:35], v34, v60
	v_cmp_lt_i32_e64 s[28:29], v33, v61
	s_or_b64 s[30:31], s[34:35], s[30:31]
	s_and_b64 s[28:29], s[28:29], s[30:31]
	s_xor_b64 s[30:31], s[28:29], -1
                                        ; implicit-def: $vgpr29_vgpr30
	s_and_saveexec_b64 s[34:35], s[30:31]
	s_xor_b64 s[30:31], exec, s[34:35]
; %bb.127:                              ;   in Loop: Header=BB158_2 Depth=1
	v_lshlrev_b32_e32 v29, 3, v34
	ds_read_b64 v[29:30], v29 offset:8
; %bb.128:                              ;   in Loop: Header=BB158_2 Depth=1
	s_or_saveexec_b64 s[30:31], s[30:31]
	v_mov_b32_e32 v32, v28
	v_mov_b32_e32 v31, v27
	s_xor_b64 exec, exec, s[30:31]
	s_cbranch_execz .LBB158_130
; %bb.129:                              ;   in Loop: Header=BB158_2 Depth=1
	s_waitcnt lgkmcnt(0)
	v_lshlrev_b32_e32 v29, 3, v33
	ds_read_b64 v[31:32], v29 offset:8
	v_mov_b32_e32 v30, v26
	v_mov_b32_e32 v29, v25
.LBB158_130:                            ;   in Loop: Header=BB158_2 Depth=1
	s_or_b64 exec, exec, s[30:31]
	v_cndmask_b32_e64 v26, v26, v28, s[28:29]
	v_add_u32_e32 v28, 1, v34
	v_cndmask_b32_e64 v25, v25, v27, s[28:29]
	v_add_u32_e32 v27, 1, v33
	v_cndmask_b32_e64 v28, v28, v34, s[28:29]
	v_cndmask_b32_e64 v6, v6, v8, s[18:19]
	;; [unrolled: 1-line block ×3, first 2 shown]
	s_waitcnt lgkmcnt(0)
	v_cmp_lt_i64_e64 s[18:19], v[31:32], v[29:30]
	v_cndmask_b32_e64 v27, v33, v27, s[28:29]
	v_cndmask_b32_e64 v10, v10, v12, s[20:21]
	;; [unrolled: 1-line block ×3, first 2 shown]
	v_cmp_ge_i32_e64 s[20:21], v28, v60
	v_cndmask_b32_e64 v2, v2, v4, s[16:17]
	v_cndmask_b32_e64 v1, v1, v3, s[16:17]
	v_cmp_lt_i32_e64 s[16:17], v27, v61
	s_or_b64 s[18:19], s[20:21], s[18:19]
	s_and_b64 s[16:17], s[16:17], s[18:19]
	v_cndmask_b32_e64 v22, v22, v24, s[26:27]
	v_cndmask_b32_e64 v21, v21, v23, s[26:27]
	;; [unrolled: 1-line block ×8, first 2 shown]
	s_barrier
	ds_write2_b64 v37, v[1:2], v[5:6] offset1:1
	ds_write2_b64 v37, v[9:10], v[13:14] offset0:2 offset1:3
	ds_write2_b64 v37, v[17:18], v[21:22] offset0:4 offset1:5
	ds_write2_b64 v37, v[25:26], v[3:4] offset0:6 offset1:7
	v_mov_b32_e32 v5, v70
	s_waitcnt lgkmcnt(0)
	s_barrier
	s_and_saveexec_b64 s[18:19], s[6:7]
	s_cbranch_execz .LBB158_134
; %bb.131:                              ;   in Loop: Header=BB158_2 Depth=1
	s_mov_b64 s[20:21], 0
	v_mov_b32_e32 v5, v70
	v_mov_b32_e32 v1, v71
.LBB158_132:                            ;   Parent Loop BB158_2 Depth=1
                                        ; =>  This Inner Loop Header: Depth=2
	v_sub_u32_e32 v2, v1, v5
	v_lshrrev_b32_e32 v2, 1, v2
	v_add_u32_e32 v4, v2, v5
	v_not_b32_e32 v3, v4
	v_lshl_add_u32 v2, v4, 3, v69
	v_lshl_add_u32 v6, v3, 3, v102
	ds_read_b64 v[2:3], v2
	ds_read_b64 v[6:7], v6
	v_add_u32_e32 v8, 1, v4
	s_waitcnt lgkmcnt(0)
	v_cmp_lt_i64_e64 s[16:17], v[6:7], v[2:3]
	v_cndmask_b32_e64 v1, v1, v4, s[16:17]
	v_cndmask_b32_e64 v5, v8, v5, s[16:17]
	v_cmp_ge_i32_e64 s[16:17], v5, v1
	s_or_b64 s[20:21], s[16:17], s[20:21]
	s_andn2_b64 exec, exec, s[20:21]
	s_cbranch_execnz .LBB158_132
; %bb.133:                              ;   in Loop: Header=BB158_2 Depth=1
	s_or_b64 exec, exec, s[20:21]
.LBB158_134:                            ;   in Loop: Header=BB158_2 Depth=1
	s_or_b64 exec, exec, s[18:19]
	v_sub_u32_e32 v9, v72, v5
	v_lshl_add_u32 v7, v5, 3, v69
	v_lshlrev_b32_e32 v11, 3, v9
	ds_read_b64 v[1:2], v7
	ds_read_b64 v[3:4], v11
	v_add_u32_e32 v10, v5, v66
	v_cmp_le_i32_e64 s[20:21], v67, v10
	v_cmp_gt_i32_e64 s[16:17], v68, v9
                                        ; implicit-def: $vgpr5_vgpr6
	s_waitcnt lgkmcnt(0)
	v_cmp_lt_i64_e64 s[18:19], v[3:4], v[1:2]
	s_or_b64 s[18:19], s[20:21], s[18:19]
	s_and_b64 s[16:17], s[16:17], s[18:19]
	s_xor_b64 s[18:19], s[16:17], -1
	s_and_saveexec_b64 s[20:21], s[18:19]
	s_xor_b64 s[18:19], exec, s[20:21]
; %bb.135:                              ;   in Loop: Header=BB158_2 Depth=1
	ds_read_b64 v[5:6], v7 offset:8
                                        ; implicit-def: $vgpr11
; %bb.136:                              ;   in Loop: Header=BB158_2 Depth=1
	s_or_saveexec_b64 s[18:19], s[18:19]
	v_mov_b32_e32 v8, v4
	v_mov_b32_e32 v7, v3
	s_xor_b64 exec, exec, s[18:19]
	s_cbranch_execz .LBB158_138
; %bb.137:                              ;   in Loop: Header=BB158_2 Depth=1
	ds_read_b64 v[7:8], v11 offset:8
	s_waitcnt lgkmcnt(1)
	v_mov_b32_e32 v6, v2
	v_mov_b32_e32 v5, v1
.LBB158_138:                            ;   in Loop: Header=BB158_2 Depth=1
	s_or_b64 exec, exec, s[18:19]
	v_add_u32_e32 v12, 1, v10
	v_add_u32_e32 v11, 1, v9
	v_cndmask_b32_e64 v14, v12, v10, s[16:17]
	s_waitcnt lgkmcnt(0)
	v_cmp_lt_i64_e64 s[20:21], v[7:8], v[5:6]
	v_cndmask_b32_e64 v13, v9, v11, s[16:17]
	v_cmp_ge_i32_e64 s[22:23], v14, v67
	v_cmp_lt_i32_e64 s[18:19], v13, v68
	s_or_b64 s[20:21], s[22:23], s[20:21]
	s_and_b64 s[18:19], s[18:19], s[20:21]
	s_xor_b64 s[20:21], s[18:19], -1
                                        ; implicit-def: $vgpr9_vgpr10
	s_and_saveexec_b64 s[22:23], s[20:21]
	s_xor_b64 s[20:21], exec, s[22:23]
; %bb.139:                              ;   in Loop: Header=BB158_2 Depth=1
	v_lshlrev_b32_e32 v9, 3, v14
	ds_read_b64 v[9:10], v9 offset:8
; %bb.140:                              ;   in Loop: Header=BB158_2 Depth=1
	s_or_saveexec_b64 s[20:21], s[20:21]
	v_mov_b32_e32 v12, v8
	v_mov_b32_e32 v11, v7
	s_xor_b64 exec, exec, s[20:21]
	s_cbranch_execz .LBB158_142
; %bb.141:                              ;   in Loop: Header=BB158_2 Depth=1
	s_waitcnt lgkmcnt(0)
	v_lshlrev_b32_e32 v9, 3, v13
	ds_read_b64 v[11:12], v9 offset:8
	v_mov_b32_e32 v10, v6
	v_mov_b32_e32 v9, v5
.LBB158_142:                            ;   in Loop: Header=BB158_2 Depth=1
	s_or_b64 exec, exec, s[20:21]
	v_add_u32_e32 v16, 1, v14
	v_add_u32_e32 v15, 1, v13
	v_cndmask_b32_e64 v18, v16, v14, s[18:19]
	s_waitcnt lgkmcnt(0)
	v_cmp_lt_i64_e64 s[22:23], v[11:12], v[9:10]
	v_cndmask_b32_e64 v17, v13, v15, s[18:19]
	v_cmp_ge_i32_e64 s[24:25], v18, v67
	v_cmp_lt_i32_e64 s[20:21], v17, v68
	s_or_b64 s[22:23], s[24:25], s[22:23]
	s_and_b64 s[20:21], s[20:21], s[22:23]
	s_xor_b64 s[22:23], s[20:21], -1
                                        ; implicit-def: $vgpr13_vgpr14
	s_and_saveexec_b64 s[24:25], s[22:23]
	s_xor_b64 s[22:23], exec, s[24:25]
; %bb.143:                              ;   in Loop: Header=BB158_2 Depth=1
	v_lshlrev_b32_e32 v13, 3, v18
	ds_read_b64 v[13:14], v13 offset:8
; %bb.144:                              ;   in Loop: Header=BB158_2 Depth=1
	s_or_saveexec_b64 s[22:23], s[22:23]
	v_mov_b32_e32 v16, v12
	v_mov_b32_e32 v15, v11
	s_xor_b64 exec, exec, s[22:23]
	s_cbranch_execz .LBB158_146
; %bb.145:                              ;   in Loop: Header=BB158_2 Depth=1
	s_waitcnt lgkmcnt(0)
	v_lshlrev_b32_e32 v13, 3, v17
	ds_read_b64 v[15:16], v13 offset:8
	v_mov_b32_e32 v14, v10
	v_mov_b32_e32 v13, v9
.LBB158_146:                            ;   in Loop: Header=BB158_2 Depth=1
	s_or_b64 exec, exec, s[22:23]
	v_add_u32_e32 v20, 1, v18
	v_add_u32_e32 v19, 1, v17
	v_cndmask_b32_e64 v22, v20, v18, s[20:21]
	s_waitcnt lgkmcnt(0)
	v_cmp_lt_i64_e64 s[24:25], v[15:16], v[13:14]
	v_cndmask_b32_e64 v21, v17, v19, s[20:21]
	v_cmp_ge_i32_e64 s[26:27], v22, v67
	v_cmp_lt_i32_e64 s[22:23], v21, v68
	s_or_b64 s[24:25], s[26:27], s[24:25]
	s_and_b64 s[22:23], s[22:23], s[24:25]
	s_xor_b64 s[24:25], s[22:23], -1
                                        ; implicit-def: $vgpr17_vgpr18
	s_and_saveexec_b64 s[26:27], s[24:25]
	s_xor_b64 s[24:25], exec, s[26:27]
; %bb.147:                              ;   in Loop: Header=BB158_2 Depth=1
	v_lshlrev_b32_e32 v17, 3, v22
	ds_read_b64 v[17:18], v17 offset:8
; %bb.148:                              ;   in Loop: Header=BB158_2 Depth=1
	s_or_saveexec_b64 s[24:25], s[24:25]
	v_mov_b32_e32 v20, v16
	v_mov_b32_e32 v19, v15
	s_xor_b64 exec, exec, s[24:25]
	s_cbranch_execz .LBB158_150
; %bb.149:                              ;   in Loop: Header=BB158_2 Depth=1
	s_waitcnt lgkmcnt(0)
	v_lshlrev_b32_e32 v17, 3, v21
	ds_read_b64 v[19:20], v17 offset:8
	v_mov_b32_e32 v18, v14
	v_mov_b32_e32 v17, v13
.LBB158_150:                            ;   in Loop: Header=BB158_2 Depth=1
	s_or_b64 exec, exec, s[24:25]
	v_add_u32_e32 v24, 1, v22
	v_add_u32_e32 v23, 1, v21
	v_cndmask_b32_e64 v26, v24, v22, s[22:23]
	s_waitcnt lgkmcnt(0)
	v_cmp_lt_i64_e64 s[26:27], v[19:20], v[17:18]
	v_cndmask_b32_e64 v25, v21, v23, s[22:23]
	v_cmp_ge_i32_e64 s[28:29], v26, v67
	v_cmp_lt_i32_e64 s[24:25], v25, v68
	s_or_b64 s[26:27], s[28:29], s[26:27]
	s_and_b64 s[24:25], s[24:25], s[26:27]
	s_xor_b64 s[26:27], s[24:25], -1
                                        ; implicit-def: $vgpr21_vgpr22
	s_and_saveexec_b64 s[28:29], s[26:27]
	s_xor_b64 s[26:27], exec, s[28:29]
; %bb.151:                              ;   in Loop: Header=BB158_2 Depth=1
	v_lshlrev_b32_e32 v21, 3, v26
	ds_read_b64 v[21:22], v21 offset:8
; %bb.152:                              ;   in Loop: Header=BB158_2 Depth=1
	s_or_saveexec_b64 s[26:27], s[26:27]
	v_mov_b32_e32 v24, v20
	v_mov_b32_e32 v23, v19
	s_xor_b64 exec, exec, s[26:27]
	s_cbranch_execz .LBB158_154
; %bb.153:                              ;   in Loop: Header=BB158_2 Depth=1
	s_waitcnt lgkmcnt(0)
	v_lshlrev_b32_e32 v21, 3, v25
	ds_read_b64 v[23:24], v21 offset:8
	v_mov_b32_e32 v22, v18
	v_mov_b32_e32 v21, v17
.LBB158_154:                            ;   in Loop: Header=BB158_2 Depth=1
	s_or_b64 exec, exec, s[26:27]
	v_add_u32_e32 v28, 1, v26
	v_add_u32_e32 v27, 1, v25
	v_cndmask_b32_e64 v30, v28, v26, s[24:25]
	s_waitcnt lgkmcnt(0)
	v_cmp_lt_i64_e64 s[28:29], v[23:24], v[21:22]
	v_cndmask_b32_e64 v29, v25, v27, s[24:25]
	v_cmp_ge_i32_e64 s[30:31], v30, v67
	v_cmp_lt_i32_e64 s[26:27], v29, v68
	s_or_b64 s[28:29], s[30:31], s[28:29]
	s_and_b64 s[26:27], s[26:27], s[28:29]
	s_xor_b64 s[28:29], s[26:27], -1
                                        ; implicit-def: $vgpr25_vgpr26
	s_and_saveexec_b64 s[30:31], s[28:29]
	s_xor_b64 s[28:29], exec, s[30:31]
; %bb.155:                              ;   in Loop: Header=BB158_2 Depth=1
	v_lshlrev_b32_e32 v25, 3, v30
	ds_read_b64 v[25:26], v25 offset:8
; %bb.156:                              ;   in Loop: Header=BB158_2 Depth=1
	s_or_saveexec_b64 s[28:29], s[28:29]
	v_mov_b32_e32 v28, v24
	v_mov_b32_e32 v27, v23
	s_xor_b64 exec, exec, s[28:29]
	s_cbranch_execz .LBB158_158
; %bb.157:                              ;   in Loop: Header=BB158_2 Depth=1
	s_waitcnt lgkmcnt(0)
	v_lshlrev_b32_e32 v25, 3, v29
	ds_read_b64 v[27:28], v25 offset:8
	v_mov_b32_e32 v26, v22
	v_mov_b32_e32 v25, v21
.LBB158_158:                            ;   in Loop: Header=BB158_2 Depth=1
	s_or_b64 exec, exec, s[28:29]
	v_add_u32_e32 v32, 1, v30
	v_add_u32_e32 v31, 1, v29
	v_cndmask_b32_e64 v34, v32, v30, s[26:27]
	s_waitcnt lgkmcnt(0)
	v_cmp_lt_i64_e64 s[30:31], v[27:28], v[25:26]
	v_cndmask_b32_e64 v33, v29, v31, s[26:27]
	v_cmp_ge_i32_e64 s[34:35], v34, v67
	v_cmp_lt_i32_e64 s[28:29], v33, v68
	s_or_b64 s[30:31], s[34:35], s[30:31]
	s_and_b64 s[28:29], s[28:29], s[30:31]
	s_xor_b64 s[30:31], s[28:29], -1
                                        ; implicit-def: $vgpr29_vgpr30
	s_and_saveexec_b64 s[34:35], s[30:31]
	s_xor_b64 s[30:31], exec, s[34:35]
; %bb.159:                              ;   in Loop: Header=BB158_2 Depth=1
	v_lshlrev_b32_e32 v29, 3, v34
	ds_read_b64 v[29:30], v29 offset:8
; %bb.160:                              ;   in Loop: Header=BB158_2 Depth=1
	s_or_saveexec_b64 s[30:31], s[30:31]
	v_mov_b32_e32 v32, v28
	v_mov_b32_e32 v31, v27
	s_xor_b64 exec, exec, s[30:31]
	s_cbranch_execz .LBB158_162
; %bb.161:                              ;   in Loop: Header=BB158_2 Depth=1
	s_waitcnt lgkmcnt(0)
	v_lshlrev_b32_e32 v29, 3, v33
	ds_read_b64 v[31:32], v29 offset:8
	v_mov_b32_e32 v30, v26
	v_mov_b32_e32 v29, v25
.LBB158_162:                            ;   in Loop: Header=BB158_2 Depth=1
	s_or_b64 exec, exec, s[30:31]
	v_cndmask_b32_e64 v26, v26, v28, s[28:29]
	v_add_u32_e32 v28, 1, v34
	v_cndmask_b32_e64 v25, v25, v27, s[28:29]
	v_add_u32_e32 v27, 1, v33
	v_cndmask_b32_e64 v28, v28, v34, s[28:29]
	v_cndmask_b32_e64 v6, v6, v8, s[18:19]
	;; [unrolled: 1-line block ×3, first 2 shown]
	s_waitcnt lgkmcnt(0)
	v_cmp_lt_i64_e64 s[18:19], v[31:32], v[29:30]
	v_cndmask_b32_e64 v27, v33, v27, s[28:29]
	v_cndmask_b32_e64 v10, v10, v12, s[20:21]
	;; [unrolled: 1-line block ×3, first 2 shown]
	v_cmp_ge_i32_e64 s[20:21], v28, v67
	v_cndmask_b32_e64 v2, v2, v4, s[16:17]
	v_cndmask_b32_e64 v1, v1, v3, s[16:17]
	v_cmp_lt_i32_e64 s[16:17], v27, v68
	s_or_b64 s[18:19], s[20:21], s[18:19]
	s_and_b64 s[16:17], s[16:17], s[18:19]
	v_cndmask_b32_e64 v22, v22, v24, s[26:27]
	v_cndmask_b32_e64 v21, v21, v23, s[26:27]
	;; [unrolled: 1-line block ×8, first 2 shown]
	s_barrier
	ds_write2_b64 v37, v[1:2], v[5:6] offset1:1
	ds_write2_b64 v37, v[9:10], v[13:14] offset0:2 offset1:3
	ds_write2_b64 v37, v[17:18], v[21:22] offset0:4 offset1:5
	;; [unrolled: 1-line block ×3, first 2 shown]
	v_mov_b32_e32 v5, v77
	s_waitcnt lgkmcnt(0)
	s_barrier
	s_and_saveexec_b64 s[18:19], s[8:9]
	s_cbranch_execz .LBB158_166
; %bb.163:                              ;   in Loop: Header=BB158_2 Depth=1
	s_mov_b64 s[20:21], 0
	v_mov_b32_e32 v5, v77
	v_mov_b32_e32 v1, v78
.LBB158_164:                            ;   Parent Loop BB158_2 Depth=1
                                        ; =>  This Inner Loop Header: Depth=2
	v_sub_u32_e32 v2, v1, v5
	v_lshrrev_b32_e32 v2, 1, v2
	v_add_u32_e32 v4, v2, v5
	v_not_b32_e32 v3, v4
	v_lshl_add_u32 v2, v4, 3, v76
	v_lshl_add_u32 v6, v3, 3, v103
	ds_read_b64 v[2:3], v2
	ds_read_b64 v[6:7], v6
	v_add_u32_e32 v8, 1, v4
	s_waitcnt lgkmcnt(0)
	v_cmp_lt_i64_e64 s[16:17], v[6:7], v[2:3]
	v_cndmask_b32_e64 v1, v1, v4, s[16:17]
	v_cndmask_b32_e64 v5, v8, v5, s[16:17]
	v_cmp_ge_i32_e64 s[16:17], v5, v1
	s_or_b64 s[20:21], s[16:17], s[20:21]
	s_andn2_b64 exec, exec, s[20:21]
	s_cbranch_execnz .LBB158_164
; %bb.165:                              ;   in Loop: Header=BB158_2 Depth=1
	s_or_b64 exec, exec, s[20:21]
.LBB158_166:                            ;   in Loop: Header=BB158_2 Depth=1
	s_or_b64 exec, exec, s[18:19]
	v_sub_u32_e32 v9, v79, v5
	v_lshl_add_u32 v7, v5, 3, v76
	v_lshlrev_b32_e32 v11, 3, v9
	ds_read_b64 v[1:2], v7
	ds_read_b64 v[3:4], v11
	v_add_u32_e32 v10, v5, v73
	v_cmp_le_i32_e64 s[20:21], v74, v10
	v_cmp_gt_i32_e64 s[16:17], v75, v9
                                        ; implicit-def: $vgpr5_vgpr6
	s_waitcnt lgkmcnt(0)
	v_cmp_lt_i64_e64 s[18:19], v[3:4], v[1:2]
	s_or_b64 s[18:19], s[20:21], s[18:19]
	s_and_b64 s[16:17], s[16:17], s[18:19]
	s_xor_b64 s[18:19], s[16:17], -1
	s_and_saveexec_b64 s[20:21], s[18:19]
	s_xor_b64 s[18:19], exec, s[20:21]
; %bb.167:                              ;   in Loop: Header=BB158_2 Depth=1
	ds_read_b64 v[5:6], v7 offset:8
                                        ; implicit-def: $vgpr11
; %bb.168:                              ;   in Loop: Header=BB158_2 Depth=1
	s_or_saveexec_b64 s[18:19], s[18:19]
	v_mov_b32_e32 v8, v4
	v_mov_b32_e32 v7, v3
	s_xor_b64 exec, exec, s[18:19]
	s_cbranch_execz .LBB158_170
; %bb.169:                              ;   in Loop: Header=BB158_2 Depth=1
	ds_read_b64 v[7:8], v11 offset:8
	s_waitcnt lgkmcnt(1)
	v_mov_b32_e32 v6, v2
	v_mov_b32_e32 v5, v1
.LBB158_170:                            ;   in Loop: Header=BB158_2 Depth=1
	s_or_b64 exec, exec, s[18:19]
	v_add_u32_e32 v12, 1, v10
	v_add_u32_e32 v11, 1, v9
	v_cndmask_b32_e64 v14, v12, v10, s[16:17]
	s_waitcnt lgkmcnt(0)
	v_cmp_lt_i64_e64 s[20:21], v[7:8], v[5:6]
	v_cndmask_b32_e64 v13, v9, v11, s[16:17]
	v_cmp_ge_i32_e64 s[22:23], v14, v74
	v_cmp_lt_i32_e64 s[18:19], v13, v75
	s_or_b64 s[20:21], s[22:23], s[20:21]
	s_and_b64 s[18:19], s[18:19], s[20:21]
	s_xor_b64 s[20:21], s[18:19], -1
                                        ; implicit-def: $vgpr9_vgpr10
	s_and_saveexec_b64 s[22:23], s[20:21]
	s_xor_b64 s[20:21], exec, s[22:23]
; %bb.171:                              ;   in Loop: Header=BB158_2 Depth=1
	v_lshlrev_b32_e32 v9, 3, v14
	ds_read_b64 v[9:10], v9 offset:8
; %bb.172:                              ;   in Loop: Header=BB158_2 Depth=1
	s_or_saveexec_b64 s[20:21], s[20:21]
	v_mov_b32_e32 v12, v8
	v_mov_b32_e32 v11, v7
	s_xor_b64 exec, exec, s[20:21]
	s_cbranch_execz .LBB158_174
; %bb.173:                              ;   in Loop: Header=BB158_2 Depth=1
	s_waitcnt lgkmcnt(0)
	v_lshlrev_b32_e32 v9, 3, v13
	ds_read_b64 v[11:12], v9 offset:8
	v_mov_b32_e32 v10, v6
	v_mov_b32_e32 v9, v5
.LBB158_174:                            ;   in Loop: Header=BB158_2 Depth=1
	s_or_b64 exec, exec, s[20:21]
	v_add_u32_e32 v16, 1, v14
	v_add_u32_e32 v15, 1, v13
	v_cndmask_b32_e64 v18, v16, v14, s[18:19]
	s_waitcnt lgkmcnt(0)
	v_cmp_lt_i64_e64 s[22:23], v[11:12], v[9:10]
	v_cndmask_b32_e64 v17, v13, v15, s[18:19]
	v_cmp_ge_i32_e64 s[24:25], v18, v74
	v_cmp_lt_i32_e64 s[20:21], v17, v75
	s_or_b64 s[22:23], s[24:25], s[22:23]
	s_and_b64 s[20:21], s[20:21], s[22:23]
	s_xor_b64 s[22:23], s[20:21], -1
                                        ; implicit-def: $vgpr13_vgpr14
	s_and_saveexec_b64 s[24:25], s[22:23]
	s_xor_b64 s[22:23], exec, s[24:25]
; %bb.175:                              ;   in Loop: Header=BB158_2 Depth=1
	v_lshlrev_b32_e32 v13, 3, v18
	ds_read_b64 v[13:14], v13 offset:8
; %bb.176:                              ;   in Loop: Header=BB158_2 Depth=1
	s_or_saveexec_b64 s[22:23], s[22:23]
	v_mov_b32_e32 v16, v12
	v_mov_b32_e32 v15, v11
	s_xor_b64 exec, exec, s[22:23]
	s_cbranch_execz .LBB158_178
; %bb.177:                              ;   in Loop: Header=BB158_2 Depth=1
	s_waitcnt lgkmcnt(0)
	v_lshlrev_b32_e32 v13, 3, v17
	ds_read_b64 v[15:16], v13 offset:8
	v_mov_b32_e32 v14, v10
	v_mov_b32_e32 v13, v9
.LBB158_178:                            ;   in Loop: Header=BB158_2 Depth=1
	s_or_b64 exec, exec, s[22:23]
	v_add_u32_e32 v20, 1, v18
	v_add_u32_e32 v19, 1, v17
	v_cndmask_b32_e64 v22, v20, v18, s[20:21]
	s_waitcnt lgkmcnt(0)
	v_cmp_lt_i64_e64 s[24:25], v[15:16], v[13:14]
	v_cndmask_b32_e64 v21, v17, v19, s[20:21]
	v_cmp_ge_i32_e64 s[26:27], v22, v74
	v_cmp_lt_i32_e64 s[22:23], v21, v75
	s_or_b64 s[24:25], s[26:27], s[24:25]
	s_and_b64 s[22:23], s[22:23], s[24:25]
	s_xor_b64 s[24:25], s[22:23], -1
                                        ; implicit-def: $vgpr17_vgpr18
	s_and_saveexec_b64 s[26:27], s[24:25]
	s_xor_b64 s[24:25], exec, s[26:27]
; %bb.179:                              ;   in Loop: Header=BB158_2 Depth=1
	v_lshlrev_b32_e32 v17, 3, v22
	ds_read_b64 v[17:18], v17 offset:8
; %bb.180:                              ;   in Loop: Header=BB158_2 Depth=1
	s_or_saveexec_b64 s[24:25], s[24:25]
	v_mov_b32_e32 v20, v16
	v_mov_b32_e32 v19, v15
	s_xor_b64 exec, exec, s[24:25]
	s_cbranch_execz .LBB158_182
; %bb.181:                              ;   in Loop: Header=BB158_2 Depth=1
	s_waitcnt lgkmcnt(0)
	v_lshlrev_b32_e32 v17, 3, v21
	ds_read_b64 v[19:20], v17 offset:8
	v_mov_b32_e32 v18, v14
	v_mov_b32_e32 v17, v13
.LBB158_182:                            ;   in Loop: Header=BB158_2 Depth=1
	s_or_b64 exec, exec, s[24:25]
	v_add_u32_e32 v24, 1, v22
	v_add_u32_e32 v23, 1, v21
	v_cndmask_b32_e64 v26, v24, v22, s[22:23]
	s_waitcnt lgkmcnt(0)
	v_cmp_lt_i64_e64 s[26:27], v[19:20], v[17:18]
	v_cndmask_b32_e64 v25, v21, v23, s[22:23]
	v_cmp_ge_i32_e64 s[28:29], v26, v74
	v_cmp_lt_i32_e64 s[24:25], v25, v75
	s_or_b64 s[26:27], s[28:29], s[26:27]
	s_and_b64 s[24:25], s[24:25], s[26:27]
	s_xor_b64 s[26:27], s[24:25], -1
                                        ; implicit-def: $vgpr21_vgpr22
	s_and_saveexec_b64 s[28:29], s[26:27]
	s_xor_b64 s[26:27], exec, s[28:29]
; %bb.183:                              ;   in Loop: Header=BB158_2 Depth=1
	v_lshlrev_b32_e32 v21, 3, v26
	ds_read_b64 v[21:22], v21 offset:8
; %bb.184:                              ;   in Loop: Header=BB158_2 Depth=1
	s_or_saveexec_b64 s[26:27], s[26:27]
	v_mov_b32_e32 v24, v20
	v_mov_b32_e32 v23, v19
	s_xor_b64 exec, exec, s[26:27]
	s_cbranch_execz .LBB158_186
; %bb.185:                              ;   in Loop: Header=BB158_2 Depth=1
	s_waitcnt lgkmcnt(0)
	v_lshlrev_b32_e32 v21, 3, v25
	ds_read_b64 v[23:24], v21 offset:8
	v_mov_b32_e32 v22, v18
	v_mov_b32_e32 v21, v17
.LBB158_186:                            ;   in Loop: Header=BB158_2 Depth=1
	s_or_b64 exec, exec, s[26:27]
	v_add_u32_e32 v28, 1, v26
	v_add_u32_e32 v27, 1, v25
	v_cndmask_b32_e64 v30, v28, v26, s[24:25]
	s_waitcnt lgkmcnt(0)
	v_cmp_lt_i64_e64 s[28:29], v[23:24], v[21:22]
	v_cndmask_b32_e64 v29, v25, v27, s[24:25]
	v_cmp_ge_i32_e64 s[30:31], v30, v74
	v_cmp_lt_i32_e64 s[26:27], v29, v75
	s_or_b64 s[28:29], s[30:31], s[28:29]
	s_and_b64 s[26:27], s[26:27], s[28:29]
	s_xor_b64 s[28:29], s[26:27], -1
                                        ; implicit-def: $vgpr25_vgpr26
	s_and_saveexec_b64 s[30:31], s[28:29]
	s_xor_b64 s[28:29], exec, s[30:31]
; %bb.187:                              ;   in Loop: Header=BB158_2 Depth=1
	v_lshlrev_b32_e32 v25, 3, v30
	ds_read_b64 v[25:26], v25 offset:8
; %bb.188:                              ;   in Loop: Header=BB158_2 Depth=1
	s_or_saveexec_b64 s[28:29], s[28:29]
	v_mov_b32_e32 v28, v24
	v_mov_b32_e32 v27, v23
	s_xor_b64 exec, exec, s[28:29]
	s_cbranch_execz .LBB158_190
; %bb.189:                              ;   in Loop: Header=BB158_2 Depth=1
	s_waitcnt lgkmcnt(0)
	v_lshlrev_b32_e32 v25, 3, v29
	ds_read_b64 v[27:28], v25 offset:8
	v_mov_b32_e32 v26, v22
	v_mov_b32_e32 v25, v21
.LBB158_190:                            ;   in Loop: Header=BB158_2 Depth=1
	s_or_b64 exec, exec, s[28:29]
	v_add_u32_e32 v32, 1, v30
	v_add_u32_e32 v31, 1, v29
	v_cndmask_b32_e64 v34, v32, v30, s[26:27]
	s_waitcnt lgkmcnt(0)
	v_cmp_lt_i64_e64 s[30:31], v[27:28], v[25:26]
	v_cndmask_b32_e64 v33, v29, v31, s[26:27]
	v_cmp_ge_i32_e64 s[34:35], v34, v74
	v_cmp_lt_i32_e64 s[28:29], v33, v75
	s_or_b64 s[30:31], s[34:35], s[30:31]
	s_and_b64 s[28:29], s[28:29], s[30:31]
	s_xor_b64 s[30:31], s[28:29], -1
                                        ; implicit-def: $vgpr29_vgpr30
	s_and_saveexec_b64 s[34:35], s[30:31]
	s_xor_b64 s[30:31], exec, s[34:35]
; %bb.191:                              ;   in Loop: Header=BB158_2 Depth=1
	v_lshlrev_b32_e32 v29, 3, v34
	ds_read_b64 v[29:30], v29 offset:8
; %bb.192:                              ;   in Loop: Header=BB158_2 Depth=1
	s_or_saveexec_b64 s[30:31], s[30:31]
	v_mov_b32_e32 v32, v28
	v_mov_b32_e32 v31, v27
	s_xor_b64 exec, exec, s[30:31]
	s_cbranch_execz .LBB158_194
; %bb.193:                              ;   in Loop: Header=BB158_2 Depth=1
	s_waitcnt lgkmcnt(0)
	v_lshlrev_b32_e32 v29, 3, v33
	ds_read_b64 v[31:32], v29 offset:8
	v_mov_b32_e32 v30, v26
	v_mov_b32_e32 v29, v25
.LBB158_194:                            ;   in Loop: Header=BB158_2 Depth=1
	s_or_b64 exec, exec, s[30:31]
	v_cndmask_b32_e64 v26, v26, v28, s[28:29]
	v_add_u32_e32 v28, 1, v34
	v_cndmask_b32_e64 v25, v25, v27, s[28:29]
	v_add_u32_e32 v27, 1, v33
	v_cndmask_b32_e64 v28, v28, v34, s[28:29]
	v_cndmask_b32_e64 v6, v6, v8, s[18:19]
	;; [unrolled: 1-line block ×3, first 2 shown]
	s_waitcnt lgkmcnt(0)
	v_cmp_lt_i64_e64 s[18:19], v[31:32], v[29:30]
	v_cndmask_b32_e64 v27, v33, v27, s[28:29]
	v_cndmask_b32_e64 v10, v10, v12, s[20:21]
	;; [unrolled: 1-line block ×3, first 2 shown]
	v_cmp_ge_i32_e64 s[20:21], v28, v74
	v_cndmask_b32_e64 v2, v2, v4, s[16:17]
	v_cndmask_b32_e64 v1, v1, v3, s[16:17]
	v_cmp_lt_i32_e64 s[16:17], v27, v75
	s_or_b64 s[18:19], s[20:21], s[18:19]
	s_and_b64 s[16:17], s[16:17], s[18:19]
	v_cndmask_b32_e64 v22, v22, v24, s[26:27]
	v_cndmask_b32_e64 v21, v21, v23, s[26:27]
	;; [unrolled: 1-line block ×8, first 2 shown]
	s_barrier
	ds_write2_b64 v37, v[1:2], v[5:6] offset1:1
	ds_write2_b64 v37, v[9:10], v[13:14] offset0:2 offset1:3
	ds_write2_b64 v37, v[17:18], v[21:22] offset0:4 offset1:5
	;; [unrolled: 1-line block ×3, first 2 shown]
	v_mov_b32_e32 v5, v84
	s_waitcnt lgkmcnt(0)
	s_barrier
	s_and_saveexec_b64 s[18:19], s[10:11]
	s_cbranch_execz .LBB158_198
; %bb.195:                              ;   in Loop: Header=BB158_2 Depth=1
	s_mov_b64 s[20:21], 0
	v_mov_b32_e32 v5, v84
	v_mov_b32_e32 v1, v85
.LBB158_196:                            ;   Parent Loop BB158_2 Depth=1
                                        ; =>  This Inner Loop Header: Depth=2
	v_sub_u32_e32 v2, v1, v5
	v_lshrrev_b32_e32 v2, 1, v2
	v_add_u32_e32 v4, v2, v5
	v_not_b32_e32 v3, v4
	v_lshl_add_u32 v2, v4, 3, v83
	v_lshl_add_u32 v6, v3, 3, v104
	ds_read_b64 v[2:3], v2
	ds_read_b64 v[6:7], v6
	v_add_u32_e32 v8, 1, v4
	s_waitcnt lgkmcnt(0)
	v_cmp_lt_i64_e64 s[16:17], v[6:7], v[2:3]
	v_cndmask_b32_e64 v1, v1, v4, s[16:17]
	v_cndmask_b32_e64 v5, v8, v5, s[16:17]
	v_cmp_ge_i32_e64 s[16:17], v5, v1
	s_or_b64 s[20:21], s[16:17], s[20:21]
	s_andn2_b64 exec, exec, s[20:21]
	s_cbranch_execnz .LBB158_196
; %bb.197:                              ;   in Loop: Header=BB158_2 Depth=1
	s_or_b64 exec, exec, s[20:21]
.LBB158_198:                            ;   in Loop: Header=BB158_2 Depth=1
	s_or_b64 exec, exec, s[18:19]
	v_sub_u32_e32 v9, v86, v5
	v_lshl_add_u32 v7, v5, 3, v83
	v_lshlrev_b32_e32 v11, 3, v9
	ds_read_b64 v[1:2], v7
	ds_read_b64 v[3:4], v11
	v_add_u32_e32 v10, v5, v80
	v_cmp_le_i32_e64 s[20:21], v81, v10
	v_cmp_gt_i32_e64 s[16:17], v82, v9
                                        ; implicit-def: $vgpr5_vgpr6
	s_waitcnt lgkmcnt(0)
	v_cmp_lt_i64_e64 s[18:19], v[3:4], v[1:2]
	s_or_b64 s[18:19], s[20:21], s[18:19]
	s_and_b64 s[16:17], s[16:17], s[18:19]
	s_xor_b64 s[18:19], s[16:17], -1
	s_and_saveexec_b64 s[20:21], s[18:19]
	s_xor_b64 s[18:19], exec, s[20:21]
; %bb.199:                              ;   in Loop: Header=BB158_2 Depth=1
	ds_read_b64 v[5:6], v7 offset:8
                                        ; implicit-def: $vgpr11
; %bb.200:                              ;   in Loop: Header=BB158_2 Depth=1
	s_or_saveexec_b64 s[18:19], s[18:19]
	v_mov_b32_e32 v8, v4
	v_mov_b32_e32 v7, v3
	s_xor_b64 exec, exec, s[18:19]
	s_cbranch_execz .LBB158_202
; %bb.201:                              ;   in Loop: Header=BB158_2 Depth=1
	ds_read_b64 v[7:8], v11 offset:8
	s_waitcnt lgkmcnt(1)
	v_mov_b32_e32 v6, v2
	v_mov_b32_e32 v5, v1
.LBB158_202:                            ;   in Loop: Header=BB158_2 Depth=1
	s_or_b64 exec, exec, s[18:19]
	v_add_u32_e32 v12, 1, v10
	v_add_u32_e32 v11, 1, v9
	v_cndmask_b32_e64 v14, v12, v10, s[16:17]
	s_waitcnt lgkmcnt(0)
	v_cmp_lt_i64_e64 s[20:21], v[7:8], v[5:6]
	v_cndmask_b32_e64 v13, v9, v11, s[16:17]
	v_cmp_ge_i32_e64 s[22:23], v14, v81
	v_cmp_lt_i32_e64 s[18:19], v13, v82
	s_or_b64 s[20:21], s[22:23], s[20:21]
	s_and_b64 s[18:19], s[18:19], s[20:21]
	s_xor_b64 s[20:21], s[18:19], -1
                                        ; implicit-def: $vgpr9_vgpr10
	s_and_saveexec_b64 s[22:23], s[20:21]
	s_xor_b64 s[20:21], exec, s[22:23]
; %bb.203:                              ;   in Loop: Header=BB158_2 Depth=1
	v_lshlrev_b32_e32 v9, 3, v14
	ds_read_b64 v[9:10], v9 offset:8
; %bb.204:                              ;   in Loop: Header=BB158_2 Depth=1
	s_or_saveexec_b64 s[20:21], s[20:21]
	v_mov_b32_e32 v12, v8
	v_mov_b32_e32 v11, v7
	s_xor_b64 exec, exec, s[20:21]
	s_cbranch_execz .LBB158_206
; %bb.205:                              ;   in Loop: Header=BB158_2 Depth=1
	s_waitcnt lgkmcnt(0)
	v_lshlrev_b32_e32 v9, 3, v13
	ds_read_b64 v[11:12], v9 offset:8
	v_mov_b32_e32 v10, v6
	v_mov_b32_e32 v9, v5
.LBB158_206:                            ;   in Loop: Header=BB158_2 Depth=1
	s_or_b64 exec, exec, s[20:21]
	v_add_u32_e32 v16, 1, v14
	v_add_u32_e32 v15, 1, v13
	v_cndmask_b32_e64 v18, v16, v14, s[18:19]
	s_waitcnt lgkmcnt(0)
	v_cmp_lt_i64_e64 s[22:23], v[11:12], v[9:10]
	v_cndmask_b32_e64 v17, v13, v15, s[18:19]
	v_cmp_ge_i32_e64 s[24:25], v18, v81
	v_cmp_lt_i32_e64 s[20:21], v17, v82
	s_or_b64 s[22:23], s[24:25], s[22:23]
	s_and_b64 s[20:21], s[20:21], s[22:23]
	s_xor_b64 s[22:23], s[20:21], -1
                                        ; implicit-def: $vgpr13_vgpr14
	s_and_saveexec_b64 s[24:25], s[22:23]
	s_xor_b64 s[22:23], exec, s[24:25]
; %bb.207:                              ;   in Loop: Header=BB158_2 Depth=1
	v_lshlrev_b32_e32 v13, 3, v18
	ds_read_b64 v[13:14], v13 offset:8
; %bb.208:                              ;   in Loop: Header=BB158_2 Depth=1
	s_or_saveexec_b64 s[22:23], s[22:23]
	v_mov_b32_e32 v16, v12
	v_mov_b32_e32 v15, v11
	s_xor_b64 exec, exec, s[22:23]
	s_cbranch_execz .LBB158_210
; %bb.209:                              ;   in Loop: Header=BB158_2 Depth=1
	s_waitcnt lgkmcnt(0)
	v_lshlrev_b32_e32 v13, 3, v17
	ds_read_b64 v[15:16], v13 offset:8
	v_mov_b32_e32 v14, v10
	v_mov_b32_e32 v13, v9
.LBB158_210:                            ;   in Loop: Header=BB158_2 Depth=1
	s_or_b64 exec, exec, s[22:23]
	v_add_u32_e32 v20, 1, v18
	v_add_u32_e32 v19, 1, v17
	v_cndmask_b32_e64 v22, v20, v18, s[20:21]
	s_waitcnt lgkmcnt(0)
	v_cmp_lt_i64_e64 s[24:25], v[15:16], v[13:14]
	v_cndmask_b32_e64 v21, v17, v19, s[20:21]
	v_cmp_ge_i32_e64 s[26:27], v22, v81
	v_cmp_lt_i32_e64 s[22:23], v21, v82
	s_or_b64 s[24:25], s[26:27], s[24:25]
	s_and_b64 s[22:23], s[22:23], s[24:25]
	s_xor_b64 s[24:25], s[22:23], -1
                                        ; implicit-def: $vgpr17_vgpr18
	s_and_saveexec_b64 s[26:27], s[24:25]
	s_xor_b64 s[24:25], exec, s[26:27]
; %bb.211:                              ;   in Loop: Header=BB158_2 Depth=1
	v_lshlrev_b32_e32 v17, 3, v22
	ds_read_b64 v[17:18], v17 offset:8
; %bb.212:                              ;   in Loop: Header=BB158_2 Depth=1
	s_or_saveexec_b64 s[24:25], s[24:25]
	v_mov_b32_e32 v20, v16
	v_mov_b32_e32 v19, v15
	s_xor_b64 exec, exec, s[24:25]
	s_cbranch_execz .LBB158_214
; %bb.213:                              ;   in Loop: Header=BB158_2 Depth=1
	s_waitcnt lgkmcnt(0)
	v_lshlrev_b32_e32 v17, 3, v21
	ds_read_b64 v[19:20], v17 offset:8
	v_mov_b32_e32 v18, v14
	v_mov_b32_e32 v17, v13
.LBB158_214:                            ;   in Loop: Header=BB158_2 Depth=1
	s_or_b64 exec, exec, s[24:25]
	v_add_u32_e32 v24, 1, v22
	v_add_u32_e32 v23, 1, v21
	v_cndmask_b32_e64 v26, v24, v22, s[22:23]
	s_waitcnt lgkmcnt(0)
	v_cmp_lt_i64_e64 s[26:27], v[19:20], v[17:18]
	v_cndmask_b32_e64 v25, v21, v23, s[22:23]
	v_cmp_ge_i32_e64 s[28:29], v26, v81
	v_cmp_lt_i32_e64 s[24:25], v25, v82
	s_or_b64 s[26:27], s[28:29], s[26:27]
	s_and_b64 s[24:25], s[24:25], s[26:27]
	s_xor_b64 s[26:27], s[24:25], -1
                                        ; implicit-def: $vgpr21_vgpr22
	s_and_saveexec_b64 s[28:29], s[26:27]
	s_xor_b64 s[26:27], exec, s[28:29]
; %bb.215:                              ;   in Loop: Header=BB158_2 Depth=1
	v_lshlrev_b32_e32 v21, 3, v26
	ds_read_b64 v[21:22], v21 offset:8
; %bb.216:                              ;   in Loop: Header=BB158_2 Depth=1
	s_or_saveexec_b64 s[26:27], s[26:27]
	v_mov_b32_e32 v24, v20
	v_mov_b32_e32 v23, v19
	s_xor_b64 exec, exec, s[26:27]
	s_cbranch_execz .LBB158_218
; %bb.217:                              ;   in Loop: Header=BB158_2 Depth=1
	s_waitcnt lgkmcnt(0)
	v_lshlrev_b32_e32 v21, 3, v25
	ds_read_b64 v[23:24], v21 offset:8
	v_mov_b32_e32 v22, v18
	v_mov_b32_e32 v21, v17
.LBB158_218:                            ;   in Loop: Header=BB158_2 Depth=1
	s_or_b64 exec, exec, s[26:27]
	v_add_u32_e32 v28, 1, v26
	v_add_u32_e32 v27, 1, v25
	v_cndmask_b32_e64 v30, v28, v26, s[24:25]
	s_waitcnt lgkmcnt(0)
	v_cmp_lt_i64_e64 s[28:29], v[23:24], v[21:22]
	v_cndmask_b32_e64 v29, v25, v27, s[24:25]
	v_cmp_ge_i32_e64 s[30:31], v30, v81
	v_cmp_lt_i32_e64 s[26:27], v29, v82
	s_or_b64 s[28:29], s[30:31], s[28:29]
	s_and_b64 s[26:27], s[26:27], s[28:29]
	s_xor_b64 s[28:29], s[26:27], -1
                                        ; implicit-def: $vgpr25_vgpr26
	s_and_saveexec_b64 s[30:31], s[28:29]
	s_xor_b64 s[28:29], exec, s[30:31]
; %bb.219:                              ;   in Loop: Header=BB158_2 Depth=1
	v_lshlrev_b32_e32 v25, 3, v30
	ds_read_b64 v[25:26], v25 offset:8
; %bb.220:                              ;   in Loop: Header=BB158_2 Depth=1
	s_or_saveexec_b64 s[28:29], s[28:29]
	v_mov_b32_e32 v28, v24
	v_mov_b32_e32 v27, v23
	s_xor_b64 exec, exec, s[28:29]
	s_cbranch_execz .LBB158_222
; %bb.221:                              ;   in Loop: Header=BB158_2 Depth=1
	s_waitcnt lgkmcnt(0)
	v_lshlrev_b32_e32 v25, 3, v29
	ds_read_b64 v[27:28], v25 offset:8
	v_mov_b32_e32 v26, v22
	v_mov_b32_e32 v25, v21
.LBB158_222:                            ;   in Loop: Header=BB158_2 Depth=1
	s_or_b64 exec, exec, s[28:29]
	v_add_u32_e32 v32, 1, v30
	v_add_u32_e32 v31, 1, v29
	v_cndmask_b32_e64 v34, v32, v30, s[26:27]
	s_waitcnt lgkmcnt(0)
	v_cmp_lt_i64_e64 s[30:31], v[27:28], v[25:26]
	v_cndmask_b32_e64 v33, v29, v31, s[26:27]
	v_cmp_ge_i32_e64 s[34:35], v34, v81
	v_cmp_lt_i32_e64 s[28:29], v33, v82
	s_or_b64 s[30:31], s[34:35], s[30:31]
	s_and_b64 s[28:29], s[28:29], s[30:31]
	s_xor_b64 s[30:31], s[28:29], -1
                                        ; implicit-def: $vgpr29_vgpr30
	s_and_saveexec_b64 s[34:35], s[30:31]
	s_xor_b64 s[30:31], exec, s[34:35]
; %bb.223:                              ;   in Loop: Header=BB158_2 Depth=1
	v_lshlrev_b32_e32 v29, 3, v34
	ds_read_b64 v[29:30], v29 offset:8
; %bb.224:                              ;   in Loop: Header=BB158_2 Depth=1
	s_or_saveexec_b64 s[30:31], s[30:31]
	v_mov_b32_e32 v32, v28
	v_mov_b32_e32 v31, v27
	s_xor_b64 exec, exec, s[30:31]
	s_cbranch_execz .LBB158_226
; %bb.225:                              ;   in Loop: Header=BB158_2 Depth=1
	s_waitcnt lgkmcnt(0)
	v_lshlrev_b32_e32 v29, 3, v33
	ds_read_b64 v[31:32], v29 offset:8
	v_mov_b32_e32 v30, v26
	v_mov_b32_e32 v29, v25
.LBB158_226:                            ;   in Loop: Header=BB158_2 Depth=1
	s_or_b64 exec, exec, s[30:31]
	v_cndmask_b32_e64 v26, v26, v28, s[28:29]
	v_add_u32_e32 v28, 1, v34
	v_cndmask_b32_e64 v25, v25, v27, s[28:29]
	v_add_u32_e32 v27, 1, v33
	v_cndmask_b32_e64 v28, v28, v34, s[28:29]
	v_cndmask_b32_e64 v6, v6, v8, s[18:19]
	;; [unrolled: 1-line block ×3, first 2 shown]
	s_waitcnt lgkmcnt(0)
	v_cmp_lt_i64_e64 s[18:19], v[31:32], v[29:30]
	v_cndmask_b32_e64 v27, v33, v27, s[28:29]
	v_cndmask_b32_e64 v10, v10, v12, s[20:21]
	;; [unrolled: 1-line block ×3, first 2 shown]
	v_cmp_ge_i32_e64 s[20:21], v28, v81
	v_cndmask_b32_e64 v2, v2, v4, s[16:17]
	v_cndmask_b32_e64 v1, v1, v3, s[16:17]
	v_cmp_lt_i32_e64 s[16:17], v27, v82
	s_or_b64 s[18:19], s[20:21], s[18:19]
	s_and_b64 s[16:17], s[16:17], s[18:19]
	v_cndmask_b32_e64 v22, v22, v24, s[26:27]
	v_cndmask_b32_e64 v21, v21, v23, s[26:27]
	;; [unrolled: 1-line block ×8, first 2 shown]
	s_barrier
	ds_write2_b64 v37, v[1:2], v[5:6] offset1:1
	ds_write2_b64 v37, v[9:10], v[13:14] offset0:2 offset1:3
	ds_write2_b64 v37, v[17:18], v[21:22] offset0:4 offset1:5
	;; [unrolled: 1-line block ×3, first 2 shown]
	v_mov_b32_e32 v5, v92
	s_waitcnt lgkmcnt(0)
	s_barrier
	s_and_saveexec_b64 s[18:19], s[12:13]
	s_cbranch_execz .LBB158_230
; %bb.227:                              ;   in Loop: Header=BB158_2 Depth=1
	s_mov_b64 s[20:21], 0
	v_mov_b32_e32 v5, v92
	v_mov_b32_e32 v1, v93
.LBB158_228:                            ;   Parent Loop BB158_2 Depth=1
                                        ; =>  This Inner Loop Header: Depth=2
	v_sub_u32_e32 v2, v1, v5
	v_lshrrev_b32_e32 v2, 1, v2
	v_add_u32_e32 v4, v2, v5
	v_not_b32_e32 v3, v4
	v_lshl_add_u32 v2, v4, 3, v91
	v_lshl_add_u32 v6, v3, 3, v105
	ds_read_b64 v[2:3], v2
	ds_read_b64 v[6:7], v6
	v_add_u32_e32 v8, 1, v4
	s_waitcnt lgkmcnt(0)
	v_cmp_lt_i64_e64 s[16:17], v[6:7], v[2:3]
	v_cndmask_b32_e64 v1, v1, v4, s[16:17]
	v_cndmask_b32_e64 v5, v8, v5, s[16:17]
	v_cmp_ge_i32_e64 s[16:17], v5, v1
	s_or_b64 s[20:21], s[16:17], s[20:21]
	s_andn2_b64 exec, exec, s[20:21]
	s_cbranch_execnz .LBB158_228
; %bb.229:                              ;   in Loop: Header=BB158_2 Depth=1
	s_or_b64 exec, exec, s[20:21]
.LBB158_230:                            ;   in Loop: Header=BB158_2 Depth=1
	s_or_b64 exec, exec, s[18:19]
	v_sub_u32_e32 v9, v94, v5
	v_lshl_add_u32 v7, v5, 3, v91
	v_lshlrev_b32_e32 v11, 3, v9
	ds_read_b64 v[1:2], v7
	ds_read_b64 v[3:4], v11
	v_add_u32_e32 v10, v5, v88
	v_cmp_le_i32_e64 s[20:21], v89, v10
	v_cmp_gt_i32_e64 s[16:17], v90, v9
                                        ; implicit-def: $vgpr5_vgpr6
	s_waitcnt lgkmcnt(0)
	v_cmp_lt_i64_e64 s[18:19], v[3:4], v[1:2]
	s_or_b64 s[18:19], s[20:21], s[18:19]
	s_and_b64 s[16:17], s[16:17], s[18:19]
	s_xor_b64 s[18:19], s[16:17], -1
	s_and_saveexec_b64 s[20:21], s[18:19]
	s_xor_b64 s[18:19], exec, s[20:21]
; %bb.231:                              ;   in Loop: Header=BB158_2 Depth=1
	ds_read_b64 v[5:6], v7 offset:8
                                        ; implicit-def: $vgpr11
; %bb.232:                              ;   in Loop: Header=BB158_2 Depth=1
	s_or_saveexec_b64 s[18:19], s[18:19]
	v_mov_b32_e32 v8, v4
	v_mov_b32_e32 v7, v3
	s_xor_b64 exec, exec, s[18:19]
	s_cbranch_execz .LBB158_234
; %bb.233:                              ;   in Loop: Header=BB158_2 Depth=1
	ds_read_b64 v[7:8], v11 offset:8
	s_waitcnt lgkmcnt(1)
	v_mov_b32_e32 v6, v2
	v_mov_b32_e32 v5, v1
.LBB158_234:                            ;   in Loop: Header=BB158_2 Depth=1
	s_or_b64 exec, exec, s[18:19]
	v_add_u32_e32 v12, 1, v10
	v_add_u32_e32 v11, 1, v9
	v_cndmask_b32_e64 v14, v12, v10, s[16:17]
	s_waitcnt lgkmcnt(0)
	v_cmp_lt_i64_e64 s[20:21], v[7:8], v[5:6]
	v_cndmask_b32_e64 v13, v9, v11, s[16:17]
	v_cmp_ge_i32_e64 s[22:23], v14, v89
	v_cmp_lt_i32_e64 s[18:19], v13, v90
	s_or_b64 s[20:21], s[22:23], s[20:21]
	s_and_b64 s[18:19], s[18:19], s[20:21]
	s_xor_b64 s[20:21], s[18:19], -1
                                        ; implicit-def: $vgpr9_vgpr10
	s_and_saveexec_b64 s[22:23], s[20:21]
	s_xor_b64 s[20:21], exec, s[22:23]
; %bb.235:                              ;   in Loop: Header=BB158_2 Depth=1
	v_lshlrev_b32_e32 v9, 3, v14
	ds_read_b64 v[9:10], v9 offset:8
; %bb.236:                              ;   in Loop: Header=BB158_2 Depth=1
	s_or_saveexec_b64 s[20:21], s[20:21]
	v_mov_b32_e32 v12, v8
	v_mov_b32_e32 v11, v7
	s_xor_b64 exec, exec, s[20:21]
	s_cbranch_execz .LBB158_238
; %bb.237:                              ;   in Loop: Header=BB158_2 Depth=1
	s_waitcnt lgkmcnt(0)
	v_lshlrev_b32_e32 v9, 3, v13
	ds_read_b64 v[11:12], v9 offset:8
	v_mov_b32_e32 v10, v6
	v_mov_b32_e32 v9, v5
.LBB158_238:                            ;   in Loop: Header=BB158_2 Depth=1
	s_or_b64 exec, exec, s[20:21]
	v_add_u32_e32 v16, 1, v14
	v_add_u32_e32 v15, 1, v13
	v_cndmask_b32_e64 v18, v16, v14, s[18:19]
	s_waitcnt lgkmcnt(0)
	v_cmp_lt_i64_e64 s[22:23], v[11:12], v[9:10]
	v_cndmask_b32_e64 v17, v13, v15, s[18:19]
	v_cmp_ge_i32_e64 s[24:25], v18, v89
	v_cmp_lt_i32_e64 s[20:21], v17, v90
	s_or_b64 s[22:23], s[24:25], s[22:23]
	s_and_b64 s[20:21], s[20:21], s[22:23]
	s_xor_b64 s[22:23], s[20:21], -1
                                        ; implicit-def: $vgpr13_vgpr14
	s_and_saveexec_b64 s[24:25], s[22:23]
	s_xor_b64 s[22:23], exec, s[24:25]
; %bb.239:                              ;   in Loop: Header=BB158_2 Depth=1
	v_lshlrev_b32_e32 v13, 3, v18
	ds_read_b64 v[13:14], v13 offset:8
; %bb.240:                              ;   in Loop: Header=BB158_2 Depth=1
	s_or_saveexec_b64 s[22:23], s[22:23]
	v_mov_b32_e32 v16, v12
	v_mov_b32_e32 v15, v11
	s_xor_b64 exec, exec, s[22:23]
	s_cbranch_execz .LBB158_242
; %bb.241:                              ;   in Loop: Header=BB158_2 Depth=1
	s_waitcnt lgkmcnt(0)
	v_lshlrev_b32_e32 v13, 3, v17
	ds_read_b64 v[15:16], v13 offset:8
	v_mov_b32_e32 v14, v10
	v_mov_b32_e32 v13, v9
.LBB158_242:                            ;   in Loop: Header=BB158_2 Depth=1
	s_or_b64 exec, exec, s[22:23]
	v_add_u32_e32 v20, 1, v18
	v_add_u32_e32 v19, 1, v17
	v_cndmask_b32_e64 v22, v20, v18, s[20:21]
	s_waitcnt lgkmcnt(0)
	v_cmp_lt_i64_e64 s[24:25], v[15:16], v[13:14]
	v_cndmask_b32_e64 v21, v17, v19, s[20:21]
	v_cmp_ge_i32_e64 s[26:27], v22, v89
	v_cmp_lt_i32_e64 s[22:23], v21, v90
	s_or_b64 s[24:25], s[26:27], s[24:25]
	s_and_b64 s[22:23], s[22:23], s[24:25]
	s_xor_b64 s[24:25], s[22:23], -1
                                        ; implicit-def: $vgpr17_vgpr18
	s_and_saveexec_b64 s[26:27], s[24:25]
	s_xor_b64 s[24:25], exec, s[26:27]
; %bb.243:                              ;   in Loop: Header=BB158_2 Depth=1
	v_lshlrev_b32_e32 v17, 3, v22
	ds_read_b64 v[17:18], v17 offset:8
; %bb.244:                              ;   in Loop: Header=BB158_2 Depth=1
	s_or_saveexec_b64 s[24:25], s[24:25]
	v_mov_b32_e32 v20, v16
	v_mov_b32_e32 v19, v15
	s_xor_b64 exec, exec, s[24:25]
	s_cbranch_execz .LBB158_246
; %bb.245:                              ;   in Loop: Header=BB158_2 Depth=1
	s_waitcnt lgkmcnt(0)
	v_lshlrev_b32_e32 v17, 3, v21
	ds_read_b64 v[19:20], v17 offset:8
	v_mov_b32_e32 v18, v14
	v_mov_b32_e32 v17, v13
.LBB158_246:                            ;   in Loop: Header=BB158_2 Depth=1
	s_or_b64 exec, exec, s[24:25]
	v_add_u32_e32 v24, 1, v22
	v_add_u32_e32 v23, 1, v21
	v_cndmask_b32_e64 v26, v24, v22, s[22:23]
	s_waitcnt lgkmcnt(0)
	v_cmp_lt_i64_e64 s[26:27], v[19:20], v[17:18]
	v_cndmask_b32_e64 v25, v21, v23, s[22:23]
	v_cmp_ge_i32_e64 s[28:29], v26, v89
	v_cmp_lt_i32_e64 s[24:25], v25, v90
	s_or_b64 s[26:27], s[28:29], s[26:27]
	s_and_b64 s[24:25], s[24:25], s[26:27]
	s_xor_b64 s[26:27], s[24:25], -1
                                        ; implicit-def: $vgpr21_vgpr22
	s_and_saveexec_b64 s[28:29], s[26:27]
	s_xor_b64 s[26:27], exec, s[28:29]
; %bb.247:                              ;   in Loop: Header=BB158_2 Depth=1
	v_lshlrev_b32_e32 v21, 3, v26
	ds_read_b64 v[21:22], v21 offset:8
; %bb.248:                              ;   in Loop: Header=BB158_2 Depth=1
	s_or_saveexec_b64 s[26:27], s[26:27]
	v_mov_b32_e32 v24, v20
	v_mov_b32_e32 v23, v19
	s_xor_b64 exec, exec, s[26:27]
	s_cbranch_execz .LBB158_250
; %bb.249:                              ;   in Loop: Header=BB158_2 Depth=1
	s_waitcnt lgkmcnt(0)
	v_lshlrev_b32_e32 v21, 3, v25
	ds_read_b64 v[23:24], v21 offset:8
	v_mov_b32_e32 v22, v18
	v_mov_b32_e32 v21, v17
.LBB158_250:                            ;   in Loop: Header=BB158_2 Depth=1
	s_or_b64 exec, exec, s[26:27]
	v_add_u32_e32 v28, 1, v26
	v_add_u32_e32 v27, 1, v25
	v_cndmask_b32_e64 v30, v28, v26, s[24:25]
	s_waitcnt lgkmcnt(0)
	v_cmp_lt_i64_e64 s[28:29], v[23:24], v[21:22]
	v_cndmask_b32_e64 v29, v25, v27, s[24:25]
	v_cmp_ge_i32_e64 s[30:31], v30, v89
	v_cmp_lt_i32_e64 s[26:27], v29, v90
	s_or_b64 s[28:29], s[30:31], s[28:29]
	s_and_b64 s[26:27], s[26:27], s[28:29]
	s_xor_b64 s[28:29], s[26:27], -1
                                        ; implicit-def: $vgpr25_vgpr26
	s_and_saveexec_b64 s[30:31], s[28:29]
	s_xor_b64 s[28:29], exec, s[30:31]
; %bb.251:                              ;   in Loop: Header=BB158_2 Depth=1
	v_lshlrev_b32_e32 v25, 3, v30
	ds_read_b64 v[25:26], v25 offset:8
; %bb.252:                              ;   in Loop: Header=BB158_2 Depth=1
	s_or_saveexec_b64 s[28:29], s[28:29]
	v_mov_b32_e32 v28, v24
	v_mov_b32_e32 v27, v23
	s_xor_b64 exec, exec, s[28:29]
	s_cbranch_execz .LBB158_254
; %bb.253:                              ;   in Loop: Header=BB158_2 Depth=1
	s_waitcnt lgkmcnt(0)
	v_lshlrev_b32_e32 v25, 3, v29
	ds_read_b64 v[27:28], v25 offset:8
	v_mov_b32_e32 v26, v22
	v_mov_b32_e32 v25, v21
.LBB158_254:                            ;   in Loop: Header=BB158_2 Depth=1
	s_or_b64 exec, exec, s[28:29]
	v_add_u32_e32 v32, 1, v30
	v_add_u32_e32 v31, 1, v29
	v_cndmask_b32_e64 v34, v32, v30, s[26:27]
	s_waitcnt lgkmcnt(0)
	v_cmp_lt_i64_e64 s[30:31], v[27:28], v[25:26]
	v_cndmask_b32_e64 v33, v29, v31, s[26:27]
	v_cmp_ge_i32_e64 s[34:35], v34, v89
	v_cmp_lt_i32_e64 s[28:29], v33, v90
	s_or_b64 s[30:31], s[34:35], s[30:31]
	s_and_b64 s[28:29], s[28:29], s[30:31]
	s_xor_b64 s[30:31], s[28:29], -1
                                        ; implicit-def: $vgpr29_vgpr30
	s_and_saveexec_b64 s[34:35], s[30:31]
	s_xor_b64 s[30:31], exec, s[34:35]
; %bb.255:                              ;   in Loop: Header=BB158_2 Depth=1
	v_lshlrev_b32_e32 v29, 3, v34
	ds_read_b64 v[29:30], v29 offset:8
; %bb.256:                              ;   in Loop: Header=BB158_2 Depth=1
	s_or_saveexec_b64 s[30:31], s[30:31]
	v_mov_b32_e32 v32, v28
	v_mov_b32_e32 v31, v27
	s_xor_b64 exec, exec, s[30:31]
	s_cbranch_execz .LBB158_258
; %bb.257:                              ;   in Loop: Header=BB158_2 Depth=1
	s_waitcnt lgkmcnt(0)
	v_lshlrev_b32_e32 v29, 3, v33
	ds_read_b64 v[31:32], v29 offset:8
	v_mov_b32_e32 v30, v26
	v_mov_b32_e32 v29, v25
.LBB158_258:                            ;   in Loop: Header=BB158_2 Depth=1
	s_or_b64 exec, exec, s[30:31]
	v_cndmask_b32_e64 v26, v26, v28, s[28:29]
	v_add_u32_e32 v28, 1, v34
	v_cndmask_b32_e64 v25, v25, v27, s[28:29]
	v_add_u32_e32 v27, 1, v33
	v_cndmask_b32_e64 v28, v28, v34, s[28:29]
	v_cndmask_b32_e64 v6, v6, v8, s[18:19]
	;; [unrolled: 1-line block ×3, first 2 shown]
	s_waitcnt lgkmcnt(0)
	v_cmp_lt_i64_e64 s[18:19], v[31:32], v[29:30]
	v_cndmask_b32_e64 v27, v33, v27, s[28:29]
	v_cndmask_b32_e64 v10, v10, v12, s[20:21]
	;; [unrolled: 1-line block ×3, first 2 shown]
	v_cmp_ge_i32_e64 s[20:21], v28, v89
	v_cndmask_b32_e64 v2, v2, v4, s[16:17]
	v_cndmask_b32_e64 v1, v1, v3, s[16:17]
	v_cmp_lt_i32_e64 s[16:17], v27, v90
	s_or_b64 s[18:19], s[20:21], s[18:19]
	s_and_b64 s[16:17], s[16:17], s[18:19]
	v_cndmask_b32_e64 v22, v22, v24, s[26:27]
	v_cndmask_b32_e64 v21, v21, v23, s[26:27]
	;; [unrolled: 1-line block ×8, first 2 shown]
	s_barrier
	ds_write2_b64 v37, v[1:2], v[5:6] offset1:1
	ds_write2_b64 v37, v[9:10], v[13:14] offset0:2 offset1:3
	ds_write2_b64 v37, v[17:18], v[21:22] offset0:4 offset1:5
	ds_write2_b64 v37, v[25:26], v[3:4] offset0:6 offset1:7
	v_mov_b32_e32 v9, v95
	s_waitcnt lgkmcnt(0)
	s_barrier
	s_and_saveexec_b64 s[18:19], s[14:15]
	s_cbranch_execz .LBB158_262
; %bb.259:                              ;   in Loop: Header=BB158_2 Depth=1
	s_mov_b64 s[20:21], 0
	v_mov_b32_e32 v9, v95
	v_mov_b32_e32 v1, v96
.LBB158_260:                            ;   Parent Loop BB158_2 Depth=1
                                        ; =>  This Inner Loop Header: Depth=2
	v_sub_u32_e32 v2, v1, v9
	v_lshrrev_b32_e32 v2, 1, v2
	v_add_u32_e32 v6, v2, v9
	v_not_b32_e32 v3, v6
	v_lshlrev_b32_e32 v2, 3, v6
	v_lshl_add_u32 v4, v3, 3, v106
	ds_read_b64 v[2:3], v2
	ds_read_b64 v[4:5], v4
	v_add_u32_e32 v7, 1, v6
	s_waitcnt lgkmcnt(0)
	v_cmp_lt_i64_e64 s[16:17], v[4:5], v[2:3]
	v_cndmask_b32_e64 v1, v1, v6, s[16:17]
	v_cndmask_b32_e64 v9, v7, v9, s[16:17]
	v_cmp_ge_i32_e64 s[16:17], v9, v1
	s_or_b64 s[20:21], s[16:17], s[20:21]
	s_andn2_b64 exec, exec, s[20:21]
	s_cbranch_execnz .LBB158_260
; %bb.261:                              ;   in Loop: Header=BB158_2 Depth=1
	s_or_b64 exec, exec, s[20:21]
.LBB158_262:                            ;   in Loop: Header=BB158_2 Depth=1
	s_or_b64 exec, exec, s[18:19]
	v_sub_u32_e32 v10, v97, v9
	v_lshlrev_b32_e32 v7, 3, v9
	v_lshlrev_b32_e32 v11, 3, v10
	ds_read_b64 v[1:2], v7
	ds_read_b64 v[3:4], v11
	v_cmp_le_i32_e64 s[20:21], v87, v9
	v_cmp_gt_i32_e64 s[16:17], s33, v10
                                        ; implicit-def: $vgpr5_vgpr6
	s_waitcnt lgkmcnt(0)
	v_cmp_lt_i64_e64 s[18:19], v[3:4], v[1:2]
	s_or_b64 s[18:19], s[20:21], s[18:19]
	s_and_b64 s[16:17], s[16:17], s[18:19]
	s_xor_b64 s[18:19], s[16:17], -1
	s_and_saveexec_b64 s[20:21], s[18:19]
	s_xor_b64 s[18:19], exec, s[20:21]
; %bb.263:                              ;   in Loop: Header=BB158_2 Depth=1
	ds_read_b64 v[5:6], v7 offset:8
                                        ; implicit-def: $vgpr11
; %bb.264:                              ;   in Loop: Header=BB158_2 Depth=1
	s_or_saveexec_b64 s[18:19], s[18:19]
	v_mov_b32_e32 v8, v4
	v_mov_b32_e32 v7, v3
	s_xor_b64 exec, exec, s[18:19]
	s_cbranch_execz .LBB158_266
; %bb.265:                              ;   in Loop: Header=BB158_2 Depth=1
	ds_read_b64 v[7:8], v11 offset:8
	s_waitcnt lgkmcnt(1)
	v_mov_b32_e32 v6, v2
	v_mov_b32_e32 v5, v1
.LBB158_266:                            ;   in Loop: Header=BB158_2 Depth=1
	s_or_b64 exec, exec, s[18:19]
	v_add_u32_e32 v12, 1, v9
	v_add_u32_e32 v11, 1, v10
	v_cndmask_b32_e64 v14, v12, v9, s[16:17]
	s_waitcnt lgkmcnt(0)
	v_cmp_lt_i64_e64 s[20:21], v[7:8], v[5:6]
	v_cndmask_b32_e64 v13, v10, v11, s[16:17]
	v_cmp_ge_i32_e64 s[22:23], v14, v87
	v_cmp_gt_i32_e64 s[18:19], s33, v13
	s_or_b64 s[20:21], s[22:23], s[20:21]
	s_and_b64 s[18:19], s[18:19], s[20:21]
	s_xor_b64 s[20:21], s[18:19], -1
                                        ; implicit-def: $vgpr9_vgpr10
	s_and_saveexec_b64 s[22:23], s[20:21]
	s_xor_b64 s[20:21], exec, s[22:23]
; %bb.267:                              ;   in Loop: Header=BB158_2 Depth=1
	v_lshlrev_b32_e32 v9, 3, v14
	ds_read_b64 v[9:10], v9 offset:8
; %bb.268:                              ;   in Loop: Header=BB158_2 Depth=1
	s_or_saveexec_b64 s[20:21], s[20:21]
	v_mov_b32_e32 v12, v8
	v_mov_b32_e32 v11, v7
	s_xor_b64 exec, exec, s[20:21]
	s_cbranch_execz .LBB158_270
; %bb.269:                              ;   in Loop: Header=BB158_2 Depth=1
	s_waitcnt lgkmcnt(0)
	v_lshlrev_b32_e32 v9, 3, v13
	ds_read_b64 v[11:12], v9 offset:8
	v_mov_b32_e32 v10, v6
	v_mov_b32_e32 v9, v5
.LBB158_270:                            ;   in Loop: Header=BB158_2 Depth=1
	s_or_b64 exec, exec, s[20:21]
	v_add_u32_e32 v16, 1, v14
	v_add_u32_e32 v15, 1, v13
	v_cndmask_b32_e64 v14, v16, v14, s[18:19]
	s_waitcnt lgkmcnt(0)
	v_cmp_lt_i64_e64 s[22:23], v[11:12], v[9:10]
	v_cndmask_b32_e64 v13, v13, v15, s[18:19]
	v_cmp_ge_i32_e64 s[24:25], v14, v87
	v_cmp_gt_i32_e64 s[20:21], s33, v13
	s_or_b64 s[22:23], s[24:25], s[22:23]
	s_and_b64 s[20:21], s[20:21], s[22:23]
	s_xor_b64 s[22:23], s[20:21], -1
                                        ; implicit-def: $vgpr17_vgpr18
	s_and_saveexec_b64 s[24:25], s[22:23]
	s_xor_b64 s[22:23], exec, s[24:25]
; %bb.271:                              ;   in Loop: Header=BB158_2 Depth=1
	v_lshlrev_b32_e32 v15, 3, v14
	ds_read_b64 v[17:18], v15 offset:8
; %bb.272:                              ;   in Loop: Header=BB158_2 Depth=1
	s_or_saveexec_b64 s[22:23], s[22:23]
	v_mov_b32_e32 v20, v12
	v_mov_b32_e32 v19, v11
	s_xor_b64 exec, exec, s[22:23]
	s_cbranch_execz .LBB158_274
; %bb.273:                              ;   in Loop: Header=BB158_2 Depth=1
	v_lshlrev_b32_e32 v15, 3, v13
	ds_read_b64 v[19:20], v15 offset:8
	s_waitcnt lgkmcnt(1)
	v_mov_b32_e32 v18, v10
	v_mov_b32_e32 v17, v9
.LBB158_274:                            ;   in Loop: Header=BB158_2 Depth=1
	s_or_b64 exec, exec, s[22:23]
	v_add_u32_e32 v16, 1, v14
	v_add_u32_e32 v15, 1, v13
	v_cndmask_b32_e64 v14, v16, v14, s[20:21]
	s_waitcnt lgkmcnt(0)
	v_cmp_lt_i64_e64 s[24:25], v[19:20], v[17:18]
	v_cndmask_b32_e64 v13, v13, v15, s[20:21]
	v_cmp_ge_i32_e64 s[26:27], v14, v87
	v_cmp_gt_i32_e64 s[22:23], s33, v13
	s_or_b64 s[24:25], s[26:27], s[24:25]
	s_and_b64 s[22:23], s[22:23], s[24:25]
	s_xor_b64 s[24:25], s[22:23], -1
                                        ; implicit-def: $vgpr21_vgpr22
	s_and_saveexec_b64 s[26:27], s[24:25]
	s_xor_b64 s[24:25], exec, s[26:27]
; %bb.275:                              ;   in Loop: Header=BB158_2 Depth=1
	v_lshlrev_b32_e32 v15, 3, v14
	ds_read_b64 v[21:22], v15 offset:8
; %bb.276:                              ;   in Loop: Header=BB158_2 Depth=1
	s_or_saveexec_b64 s[24:25], s[24:25]
	v_mov_b32_e32 v24, v20
	v_mov_b32_e32 v23, v19
	s_xor_b64 exec, exec, s[24:25]
	s_cbranch_execz .LBB158_278
; %bb.277:                              ;   in Loop: Header=BB158_2 Depth=1
	v_lshlrev_b32_e32 v15, 3, v13
	ds_read_b64 v[23:24], v15 offset:8
	s_waitcnt lgkmcnt(1)
	v_mov_b32_e32 v22, v18
	v_mov_b32_e32 v21, v17
.LBB158_278:                            ;   in Loop: Header=BB158_2 Depth=1
	s_or_b64 exec, exec, s[24:25]
	v_add_u32_e32 v16, 1, v14
	v_add_u32_e32 v15, 1, v13
	v_cndmask_b32_e64 v14, v16, v14, s[22:23]
	s_waitcnt lgkmcnt(0)
	v_cmp_lt_i64_e64 s[26:27], v[23:24], v[21:22]
	v_cndmask_b32_e64 v13, v13, v15, s[22:23]
	v_cmp_ge_i32_e64 s[28:29], v14, v87
	v_cmp_gt_i32_e64 s[24:25], s33, v13
	s_or_b64 s[26:27], s[28:29], s[26:27]
	s_and_b64 s[24:25], s[24:25], s[26:27]
	s_xor_b64 s[26:27], s[24:25], -1
                                        ; implicit-def: $vgpr25_vgpr26
	s_and_saveexec_b64 s[28:29], s[26:27]
	s_xor_b64 s[26:27], exec, s[28:29]
; %bb.279:                              ;   in Loop: Header=BB158_2 Depth=1
	v_lshlrev_b32_e32 v15, 3, v14
	ds_read_b64 v[25:26], v15 offset:8
; %bb.280:                              ;   in Loop: Header=BB158_2 Depth=1
	s_or_saveexec_b64 s[26:27], s[26:27]
	v_mov_b32_e32 v28, v24
	v_mov_b32_e32 v27, v23
	s_xor_b64 exec, exec, s[26:27]
	s_cbranch_execz .LBB158_282
; %bb.281:                              ;   in Loop: Header=BB158_2 Depth=1
	v_lshlrev_b32_e32 v15, 3, v13
	ds_read_b64 v[27:28], v15 offset:8
	s_waitcnt lgkmcnt(1)
	v_mov_b32_e32 v26, v22
	v_mov_b32_e32 v25, v21
.LBB158_282:                            ;   in Loop: Header=BB158_2 Depth=1
	s_or_b64 exec, exec, s[26:27]
	v_add_u32_e32 v16, 1, v14
	v_add_u32_e32 v15, 1, v13
	v_cndmask_b32_e64 v14, v16, v14, s[24:25]
	s_waitcnt lgkmcnt(0)
	v_cmp_lt_i64_e64 s[28:29], v[27:28], v[25:26]
	v_cndmask_b32_e64 v13, v13, v15, s[24:25]
	v_cmp_ge_i32_e64 s[30:31], v14, v87
	v_cmp_gt_i32_e64 s[26:27], s33, v13
	s_or_b64 s[28:29], s[30:31], s[28:29]
	s_and_b64 s[26:27], s[26:27], s[28:29]
	s_xor_b64 s[28:29], s[26:27], -1
                                        ; implicit-def: $vgpr29_vgpr30
	s_and_saveexec_b64 s[30:31], s[28:29]
	s_xor_b64 s[28:29], exec, s[30:31]
; %bb.283:                              ;   in Loop: Header=BB158_2 Depth=1
	v_lshlrev_b32_e32 v15, 3, v14
	ds_read_b64 v[29:30], v15 offset:8
; %bb.284:                              ;   in Loop: Header=BB158_2 Depth=1
	s_or_saveexec_b64 s[28:29], s[28:29]
	v_mov_b32_e32 v32, v28
	v_mov_b32_e32 v31, v27
	s_xor_b64 exec, exec, s[28:29]
	s_cbranch_execz .LBB158_286
; %bb.285:                              ;   in Loop: Header=BB158_2 Depth=1
	v_lshlrev_b32_e32 v15, 3, v13
	ds_read_b64 v[31:32], v15 offset:8
	s_waitcnt lgkmcnt(1)
	v_mov_b32_e32 v30, v26
	v_mov_b32_e32 v29, v25
.LBB158_286:                            ;   in Loop: Header=BB158_2 Depth=1
	s_or_b64 exec, exec, s[28:29]
	v_add_u32_e32 v15, 1, v13
	v_add_u32_e32 v16, 1, v14
	v_cndmask_b32_e64 v107, v13, v15, s[26:27]
	v_cndmask_b32_e64 v13, v16, v14, s[26:27]
	s_waitcnt lgkmcnt(0)
	v_cmp_lt_i64_e64 s[30:31], v[31:32], v[29:30]
	v_cmp_ge_i32_e64 s[34:35], v13, v87
	v_cmp_gt_i32_e64 s[28:29], s33, v107
	s_or_b64 s[30:31], s[34:35], s[30:31]
	s_and_b64 s[28:29], s[28:29], s[30:31]
	s_xor_b64 s[30:31], s[28:29], -1
                                        ; implicit-def: $vgpr33_vgpr34
                                        ; implicit-def: $vgpr108
	s_and_saveexec_b64 s[34:35], s[30:31]
	s_xor_b64 s[30:31], exec, s[34:35]
; %bb.287:                              ;   in Loop: Header=BB158_2 Depth=1
	v_lshlrev_b32_e32 v14, 3, v13
	ds_read_b64 v[33:34], v14 offset:8
	v_add_u32_e32 v108, 1, v13
                                        ; implicit-def: $vgpr13
; %bb.288:                              ;   in Loop: Header=BB158_2 Depth=1
	s_or_saveexec_b64 s[30:31], s[30:31]
	v_mov_b32_e32 v36, v32
	v_mov_b32_e32 v35, v31
	s_xor_b64 exec, exec, s[30:31]
	s_cbranch_execz .LBB158_1
; %bb.289:                              ;   in Loop: Header=BB158_2 Depth=1
	v_lshlrev_b32_e32 v14, 3, v107
	ds_read_b64 v[35:36], v14 offset:8
	s_waitcnt lgkmcnt(1)
	v_mov_b32_e32 v34, v30
	v_add_u32_e32 v107, 1, v107
	v_mov_b32_e32 v108, v13
	v_mov_b32_e32 v33, v29
	s_branch .LBB158_1
.LBB158_290:
	s_add_u32 s0, s38, s42
	s_addc_u32 s1, s39, s43
	v_lshlrev_b32_e32 v0, 3, v0
	v_mov_b32_e32 v17, s1
	v_add_co_u32_e32 v18, vcc, s0, v0
	v_addc_co_u32_e32 v17, vcc, 0, v17, vcc
	global_store_dwordx2 v0, v[13:14], s[0:1]
	v_add_co_u32_e32 v13, vcc, 0x1000, v18
	v_addc_co_u32_e32 v14, vcc, 0, v17, vcc
	global_store_dwordx2 v[13:14], v[15:16], off
	v_add_co_u32_e32 v13, vcc, 0x2000, v18
	v_addc_co_u32_e32 v14, vcc, 0, v17, vcc
	global_store_dwordx2 v[13:14], v[11:12], off
	;; [unrolled: 3-line block ×5, first 2 shown]
	v_add_co_u32_e32 v3, vcc, 0x6000, v18
	v_addc_co_u32_e32 v4, vcc, 0, v17, vcc
	v_add_co_u32_e32 v0, vcc, 0x7000, v18
	global_store_dwordx2 v[3:4], v[1:2], off
	v_addc_co_u32_e32 v1, vcc, 0, v17, vcc
	global_store_dwordx2 v[0:1], v[7:8], off
	s_endpgm
	.section	.rodata,"a",@progbits
	.p2align	6, 0x0
	.amdhsa_kernel _Z16sort_keys_kernelIxLj512ELj8EN10test_utils4lessELj10EEvPKT_PS2_T2_
		.amdhsa_group_segment_fixed_size 32776
		.amdhsa_private_segment_fixed_size 0
		.amdhsa_kernarg_size 20
		.amdhsa_user_sgpr_count 6
		.amdhsa_user_sgpr_private_segment_buffer 1
		.amdhsa_user_sgpr_dispatch_ptr 0
		.amdhsa_user_sgpr_queue_ptr 0
		.amdhsa_user_sgpr_kernarg_segment_ptr 1
		.amdhsa_user_sgpr_dispatch_id 0
		.amdhsa_user_sgpr_flat_scratch_init 0
		.amdhsa_user_sgpr_private_segment_size 0
		.amdhsa_uses_dynamic_stack 0
		.amdhsa_system_sgpr_private_segment_wavefront_offset 0
		.amdhsa_system_sgpr_workgroup_id_x 1
		.amdhsa_system_sgpr_workgroup_id_y 0
		.amdhsa_system_sgpr_workgroup_id_z 0
		.amdhsa_system_sgpr_workgroup_info 0
		.amdhsa_system_vgpr_workitem_id 0
		.amdhsa_next_free_vgpr 109
		.amdhsa_next_free_sgpr 98
		.amdhsa_reserve_vcc 1
		.amdhsa_reserve_flat_scratch 0
		.amdhsa_float_round_mode_32 0
		.amdhsa_float_round_mode_16_64 0
		.amdhsa_float_denorm_mode_32 3
		.amdhsa_float_denorm_mode_16_64 3
		.amdhsa_dx10_clamp 1
		.amdhsa_ieee_mode 1
		.amdhsa_fp16_overflow 0
		.amdhsa_exception_fp_ieee_invalid_op 0
		.amdhsa_exception_fp_denorm_src 0
		.amdhsa_exception_fp_ieee_div_zero 0
		.amdhsa_exception_fp_ieee_overflow 0
		.amdhsa_exception_fp_ieee_underflow 0
		.amdhsa_exception_fp_ieee_inexact 0
		.amdhsa_exception_int_div_zero 0
	.end_amdhsa_kernel
	.section	.text._Z16sort_keys_kernelIxLj512ELj8EN10test_utils4lessELj10EEvPKT_PS2_T2_,"axG",@progbits,_Z16sort_keys_kernelIxLj512ELj8EN10test_utils4lessELj10EEvPKT_PS2_T2_,comdat
.Lfunc_end158:
	.size	_Z16sort_keys_kernelIxLj512ELj8EN10test_utils4lessELj10EEvPKT_PS2_T2_, .Lfunc_end158-_Z16sort_keys_kernelIxLj512ELj8EN10test_utils4lessELj10EEvPKT_PS2_T2_
                                        ; -- End function
	.set _Z16sort_keys_kernelIxLj512ELj8EN10test_utils4lessELj10EEvPKT_PS2_T2_.num_vgpr, 109
	.set _Z16sort_keys_kernelIxLj512ELj8EN10test_utils4lessELj10EEvPKT_PS2_T2_.num_agpr, 0
	.set _Z16sort_keys_kernelIxLj512ELj8EN10test_utils4lessELj10EEvPKT_PS2_T2_.numbered_sgpr, 44
	.set _Z16sort_keys_kernelIxLj512ELj8EN10test_utils4lessELj10EEvPKT_PS2_T2_.num_named_barrier, 0
	.set _Z16sort_keys_kernelIxLj512ELj8EN10test_utils4lessELj10EEvPKT_PS2_T2_.private_seg_size, 0
	.set _Z16sort_keys_kernelIxLj512ELj8EN10test_utils4lessELj10EEvPKT_PS2_T2_.uses_vcc, 1
	.set _Z16sort_keys_kernelIxLj512ELj8EN10test_utils4lessELj10EEvPKT_PS2_T2_.uses_flat_scratch, 0
	.set _Z16sort_keys_kernelIxLj512ELj8EN10test_utils4lessELj10EEvPKT_PS2_T2_.has_dyn_sized_stack, 0
	.set _Z16sort_keys_kernelIxLj512ELj8EN10test_utils4lessELj10EEvPKT_PS2_T2_.has_recursion, 0
	.set _Z16sort_keys_kernelIxLj512ELj8EN10test_utils4lessELj10EEvPKT_PS2_T2_.has_indirect_call, 0
	.section	.AMDGPU.csdata,"",@progbits
; Kernel info:
; codeLenInByte = 14668
; TotalNumSgprs: 48
; NumVgprs: 109
; ScratchSize: 0
; MemoryBound: 0
; FloatMode: 240
; IeeeMode: 1
; LDSByteSize: 32776 bytes/workgroup (compile time only)
; SGPRBlocks: 12
; VGPRBlocks: 27
; NumSGPRsForWavesPerEU: 102
; NumVGPRsForWavesPerEU: 109
; Occupancy: 2
; WaveLimiterHint : 1
; COMPUTE_PGM_RSRC2:SCRATCH_EN: 0
; COMPUTE_PGM_RSRC2:USER_SGPR: 6
; COMPUTE_PGM_RSRC2:TRAP_HANDLER: 0
; COMPUTE_PGM_RSRC2:TGID_X_EN: 1
; COMPUTE_PGM_RSRC2:TGID_Y_EN: 0
; COMPUTE_PGM_RSRC2:TGID_Z_EN: 0
; COMPUTE_PGM_RSRC2:TIDIG_COMP_CNT: 0
	.section	.text._Z17sort_pairs_kernelIxLj512ELj8EN10test_utils4lessELj10EEvPKT_PS2_T2_,"axG",@progbits,_Z17sort_pairs_kernelIxLj512ELj8EN10test_utils4lessELj10EEvPKT_PS2_T2_,comdat
	.protected	_Z17sort_pairs_kernelIxLj512ELj8EN10test_utils4lessELj10EEvPKT_PS2_T2_ ; -- Begin function _Z17sort_pairs_kernelIxLj512ELj8EN10test_utils4lessELj10EEvPKT_PS2_T2_
	.globl	_Z17sort_pairs_kernelIxLj512ELj8EN10test_utils4lessELj10EEvPKT_PS2_T2_
	.p2align	8
	.type	_Z17sort_pairs_kernelIxLj512ELj8EN10test_utils4lessELj10EEvPKT_PS2_T2_,@function
_Z17sort_pairs_kernelIxLj512ELj8EN10test_utils4lessELj10EEvPKT_PS2_T2_: ; @_Z17sort_pairs_kernelIxLj512ELj8EN10test_utils4lessELj10EEvPKT_PS2_T2_
; %bb.0:
	s_mov_b64 s[98:99], s[2:3]
	s_mov_b64 s[96:97], s[0:1]
	s_load_dwordx4 s[0:3], s[4:5], 0x0
	s_add_u32 s96, s96, s7
	s_addc_u32 s97, s97, 0
	s_lshl_b32 s94, s6, 12
	s_mov_b32 s95, 0
	s_lshl_b64 s[4:5], s[94:95], 3
	s_waitcnt lgkmcnt(0)
	s_add_u32 s0, s0, s4
                                        ; implicit-def: $vgpr127 : SGPR spill to VGPR lane
	v_lshlrev_b32_e32 v33, 3, v0
	v_writelane_b32 v127, s0, 0
	v_writelane_b32 v127, s1, 1
	;; [unrolled: 1-line block ×5, first 2 shown]
	s_addc_u32 s1, s1, s5
	v_mov_b32_e32 v1, s1
	v_add_co_u32_e32 v2, vcc, s0, v33
	v_addc_co_u32_e32 v3, vcc, 0, v1, vcc
	global_load_dwordx2 v[17:18], v33, s[0:1]
	s_movk_i32 s0, 0x2000
	v_add_co_u32_e32 v4, vcc, s0, v2
	v_addc_co_u32_e32 v5, vcc, 0, v3, vcc
	global_load_dwordx2 v[25:26], v[4:5], off offset:-4096
	global_load_dwordx2 v[19:20], v[4:5], off
	s_movk_i32 s0, 0x4000
	v_add_co_u32_e32 v4, vcc, s0, v2
	v_addc_co_u32_e32 v5, vcc, 0, v3, vcc
	global_load_dwordx2 v[27:28], v[4:5], off offset:-4096
	global_load_dwordx2 v[21:22], v[4:5], off
	;; [unrolled: 5-line block ×3, first 2 shown]
	s_movk_i32 s0, 0x7000
	v_add_co_u32_e32 v1, vcc, s0, v2
	v_addc_co_u32_e32 v2, vcc, 0, v3, vcc
	global_load_dwordx2 v[31:32], v[1:2], off
	v_and_b32_e32 v52, 0xff0, v33
	v_or_b32_e32 v54, 8, v52
	v_add_u32_e32 v55, 16, v52
	buffer_store_dword v0, off, s[96:99], 0 offset:28 ; 4-byte Folded Spill
	v_lshlrev_b32_e32 v51, 6, v0
	v_and_b32_e32 v0, 8, v33
	v_sub_u32_e32 v2, v55, v54
	v_sub_u32_e32 v3, v0, v2
	v_cmp_ge_i32_e32 vcc, v0, v2
	v_sub_u32_e32 v1, v54, v52
	v_cndmask_b32_e32 v59, 0, v3, vcc
	v_and_b32_e32 v53, 0xfe0, v33
	v_min_i32_e32 v1, v0, v1
	buffer_store_dword v1, off, s[96:99], 0 ; 4-byte Folded Spill
	v_cmp_lt_i32_e32 vcc, v59, v1
	v_or_b32_e32 v60, 16, v53
	v_add_u32_e32 v61, 32, v53
	v_and_b32_e32 v34, 24, v33
	v_sub_u32_e32 v36, v61, v60
	v_sub_u32_e32 v35, v60, v53
	;; [unrolled: 1-line block ×3, first 2 shown]
	v_and_b32_e32 v66, 0xfc0, v33
	v_min_i32_e32 v35, v34, v35
	v_or_b32_e32 v67, 32, v66
	v_add_u32_e32 v68, 64, v66
	buffer_store_dword v35, off, s[96:99], 0 offset:4 ; 4-byte Folded Spill
	v_and_b32_e32 v73, 0xf80, v33
	v_or_b32_e32 v74, 64, v73
	v_add_u32_e32 v75, 0x80, v73
	v_writelane_b32 v127, s5, 5
	v_and_b32_e32 v80, 0xf00, v33
	v_or_b32_e32 v81, 0x80, v80
	v_add_u32_e32 v82, 0x100, v80
	v_and_b32_e32 v87, 0xe00, v33
	v_or_b32_e32 v88, 0x100, v87
	v_add_u32_e32 v89, 0x200, v87
	v_add_u32_e32 v57, v54, v0
	v_and_b32_e32 v94, 0xc00, v33
	v_lshlrev_b32_e32 v0, 3, v0
	v_or_b32_e32 v95, 0x200, v94
	v_add_u32_e32 v96, 0x400, v94
	v_lshl_add_u32 v112, v54, 3, v0
	v_lshlrev_b32_e32 v0, 3, v34
	v_lshl_add_u32 v113, v60, 3, v0
	v_and_b32_e32 v102, 0x800, v33
	v_or_b32_e32 v103, 0x400, v102
	v_add_u32_e32 v104, 0x800, v102
	v_mov_b32_e32 v101, 0x800
	v_sub_u32_e64 v109, v33, v101 clamp
	v_min_i32_e32 v110, 0x800, v33
	s_movk_i32 s33, 0x1000
	v_lshlrev_b32_e32 v56, 3, v52
	v_lshlrev_b32_e32 v62, 3, v53
	v_add_u32_e32 v65, v60, v34
	v_lshlrev_b32_e32 v69, 3, v66
	s_waitcnt vmcnt(10)
	v_add_co_u32_e64 v15, s[0:1], 1, v17
	v_addc_co_u32_e64 v16, s[0:1], 0, v18, s[0:1]
	v_lshlrev_b32_e32 v76, 3, v73
	s_waitcnt vmcnt(9)
	v_add_co_u32_e64 v13, s[0:1], 1, v25
	v_addc_co_u32_e64 v14, s[0:1], 0, v26, s[0:1]
	s_waitcnt vmcnt(8)
	v_add_co_u32_e64 v7, s[0:1], 1, v19
	v_addc_co_u32_e64 v8, s[0:1], 0, v20, s[0:1]
	;; [unrolled: 3-line block ×7, first 2 shown]
	v_cmp_ge_i32_e64 s[0:1], v34, v36
	v_cndmask_b32_e64 v63, 0, v37, s[0:1]
	v_cmp_lt_i32_e64 s[0:1], v63, v35
	v_and_b32_e32 v35, 56, v33
	v_sub_u32_e32 v37, v68, v67
	v_sub_u32_e32 v36, v67, v66
	v_sub_u32_e32 v38, v35, v37
	v_cmp_ge_i32_e64 s[2:3], v35, v37
	v_cndmask_b32_e64 v70, 0, v38, s[2:3]
	v_min_i32_e32 v36, v35, v36
	buffer_store_dword v36, off, s[96:99], 0 offset:8 ; 4-byte Folded Spill
	v_cmp_lt_i32_e64 s[2:3], v70, v36
	v_and_b32_e32 v36, 0x78, v33
	v_sub_u32_e32 v38, v75, v74
	v_sub_u32_e32 v37, v74, v73
	v_sub_u32_e32 v39, v36, v38
	v_cmp_ge_i32_e64 s[4:5], v36, v38
	v_cndmask_b32_e64 v77, 0, v39, s[4:5]
	v_min_i32_e32 v37, v36, v37
	buffer_store_dword v37, off, s[96:99], 0 offset:12 ; 4-byte Folded Spill
	;; [unrolled: 9-line block ×4, first 2 shown]
	v_cmp_lt_i32_e64 s[8:9], v91, v39
	v_and_b32_e32 v39, 0x3f8, v33
	v_sub_u32_e32 v41, v96, v95
	v_lshlrev_b32_e32 v0, 3, v35
	v_sub_u32_e32 v40, v95, v94
	v_sub_u32_e32 v42, v39, v41
	v_cmp_ge_i32_e64 s[10:11], v39, v41
	v_lshl_add_u32 v114, v67, 3, v0
	v_lshlrev_b32_e32 v0, 3, v36
	v_cndmask_b32_e64 v98, 0, v42, s[10:11]
	v_min_i32_e32 v40, v39, v40
	v_lshl_add_u32 v115, v74, 3, v0
	v_lshlrev_b32_e32 v0, 3, v37
	buffer_store_dword v40, off, s[96:99], 0 offset:24 ; 4-byte Folded Spill
	v_cmp_lt_i32_e64 s[10:11], v98, v40
	v_and_b32_e32 v40, 0x7f8, v33
	v_sub_u32_e32 v42, v104, v103
	v_lshl_add_u32 v116, v81, 3, v0
	v_lshlrev_b32_e32 v0, 3, v38
	v_sub_u32_e32 v41, v103, v102
	v_sub_u32_e32 v43, v40, v42
	v_cmp_ge_i32_e64 s[12:13], v40, v42
	v_lshl_add_u32 v117, v88, 3, v0
	v_lshlrev_b32_e32 v0, 3, v39
	v_cndmask_b32_e64 v106, 0, v43, s[12:13]
	v_min_i32_e32 v107, v40, v41
	v_lshl_add_u32 v118, v95, 3, v0
	v_lshlrev_b32_e32 v0, 3, v40
	v_add_u32_e32 v72, v67, v35
	v_add_u32_e32 v79, v74, v36
	v_lshlrev_b32_e32 v83, 3, v80
	v_add_u32_e32 v86, v81, v37
	v_lshlrev_b32_e32 v90, 3, v87
	;; [unrolled: 2-line block ×4, first 2 shown]
	v_cmp_lt_i32_e64 s[12:13], v106, v107
	v_add_u32_e32 v108, v103, v40
	v_cmp_lt_i32_e64 s[14:15], v109, v110
	v_add_u32_e32 v111, 0x800, v33
	v_lshl_add_u32 v119, v103, 3, v0
	s_branch .LBB159_2
.LBB159_1:                              ;   in Loop: Header=BB159_2 Depth=1
	s_or_b64 exec, exec, s[30:31]
	v_cndmask_b32_e64 v18, v18, v20, s[16:17]
	v_cndmask_b32_e64 v26, v22, v24, s[18:19]
	;; [unrolled: 1-line block ×6, first 2 shown]
	s_waitcnt lgkmcnt(0)
	v_cmp_lt_i64_e64 s[18:19], v[49:50], v[45:46]
	v_cndmask_b32_e64 v17, v17, v19, s[16:17]
	v_cndmask_b32_e64 v19, v27, v29, s[20:21]
	;; [unrolled: 1-line block ×4, first 2 shown]
	v_cmp_ge_i32_e64 s[20:21], v99, v101
	v_cndmask_b32_e64 v21, v35, v39, s[24:25]
	v_cndmask_b32_e64 v35, v120, v121, s[16:17]
	v_cmp_gt_i32_e64 s[16:17], s33, v85
	s_or_b64 s[18:19], s[20:21], s[18:19]
	v_cndmask_b32_e64 v23, v78, v71, s[28:29]
	v_cndmask_b32_e64 v0, v64, v0, s[24:25]
	;; [unrolled: 1-line block ×3, first 2 shown]
	s_and_b64 s[16:17], s[16:17], s[18:19]
	s_barrier
	ds_write2_b64 v51, v[9:10], v[13:14] offset1:1
	ds_write2_b64 v51, v[1:2], v[5:6] offset0:2 offset1:3
	ds_write2_b64 v51, v[11:12], v[15:16] offset0:4 offset1:5
	ds_write2_b64 v51, v[3:4], v[7:8] offset0:6 offset1:7
	v_lshlrev_b32_e32 v1, 3, v35
	v_lshlrev_b32_e32 v2, 3, v34
	v_cndmask_b32_e64 v22, v36, v40, s[24:25]
	v_cndmask_b32_e64 v36, v99, v85, s[16:17]
	s_waitcnt lgkmcnt(0)
	s_barrier
	v_lshlrev_b32_e32 v3, 3, v33
	v_lshlrev_b32_e32 v4, 3, v31
	ds_read_b64 v[15:16], v1
	ds_read_b64 v[13:14], v2
	;; [unrolled: 1-line block ×4, first 2 shown]
	v_lshlrev_b32_e32 v0, 3, v0
	v_lshlrev_b32_e32 v1, 3, v23
	;; [unrolled: 1-line block ×4, first 2 shown]
	ds_read_b64 v[11:12], v0
	ds_read_b64 v[9:10], v1
	;; [unrolled: 1-line block ×4, first 2 shown]
	s_add_i32 s95, s95, 1
	v_cndmask_b32_e64 v30, v44, v48, s[28:29]
	v_cndmask_b32_e64 v29, v43, v47, s[28:29]
	;; [unrolled: 1-line block ×5, first 2 shown]
	s_cmp_eq_u32 s95, 10
	v_cndmask_b32_e64 v31, v45, v49, s[16:17]
	s_cbranch_scc1 .LBB159_290
.LBB159_2:                              ; =>This Loop Header: Depth=1
                                        ;     Child Loop BB159_4 Depth 2
                                        ;     Child Loop BB159_36 Depth 2
	;; [unrolled: 1-line block ×9, first 2 shown]
	v_cmp_lt_i64_e64 s[16:17], v[25:26], v[17:18]
	v_cmp_lt_i64_e64 s[18:19], v[27:28], v[19:20]
	v_cmp_lt_i64_e64 s[20:21], v[29:30], v[21:22]
	v_cmp_lt_i64_e64 s[22:23], v[31:32], v[23:24]
	v_cndmask_b32_e64 v34, v18, v26, s[16:17]
	v_cndmask_b32_e64 v33, v17, v25, s[16:17]
	v_cndmask_b32_e64 v18, v26, v18, s[16:17]
	v_cndmask_b32_e64 v17, v25, v17, s[16:17]
	v_cndmask_b32_e64 v26, v28, v20, s[18:19]
	v_cndmask_b32_e64 v25, v27, v19, s[18:19]
	v_cndmask_b32_e64 v20, v20, v28, s[18:19]
	v_cndmask_b32_e64 v19, v19, v27, s[18:19]
	v_cndmask_b32_e64 v28, v30, v22, s[20:21]
	v_cndmask_b32_e64 v27, v29, v21, s[20:21]
	v_cndmask_b32_e64 v22, v22, v30, s[20:21]
	v_cndmask_b32_e64 v21, v21, v29, s[20:21]
	v_cndmask_b32_e64 v30, v32, v24, s[22:23]
	v_cndmask_b32_e64 v29, v31, v23, s[22:23]
	v_cndmask_b32_e64 v24, v24, v32, s[22:23]
	v_cndmask_b32_e64 v23, v23, v31, s[22:23]
	v_cmp_lt_i64_e64 s[24:25], v[19:20], v[17:18]
	v_cmp_lt_i64_e64 s[26:27], v[21:22], v[25:26]
	v_cmp_lt_i64_e64 s[28:29], v[23:24], v[27:28]
	v_cndmask_b32_e64 v32, v20, v18, s[24:25]
	v_cndmask_b32_e64 v31, v19, v17, s[24:25]
	v_cndmask_b32_e64 v18, v18, v20, s[24:25]
	v_cndmask_b32_e64 v17, v17, v19, s[24:25]
	v_cndmask_b32_e64 v20, v22, v26, s[26:27]
	v_cndmask_b32_e64 v19, v21, v25, s[26:27]
	v_cndmask_b32_e64 v22, v26, v22, s[26:27]
	v_cndmask_b32_e64 v21, v25, v21, s[26:27]
	v_cndmask_b32_e64 v26, v24, v28, s[28:29]
	v_cndmask_b32_e64 v25, v23, v27, s[28:29]
	v_cndmask_b32_e64 v24, v28, v24, s[28:29]
	v_cndmask_b32_e64 v23, v27, v23, s[28:29]
	v_cmp_lt_i64_e64 s[30:31], v[17:18], v[33:34]
	v_cmp_lt_i64_e64 s[34:35], v[21:22], v[31:32]
	v_cmp_lt_i64_e64 s[36:37], v[23:24], v[19:20]
	v_cmp_lt_i64_e64 s[38:39], v[29:30], v[25:26]
	v_cndmask_b32_e64 v28, v34, v18, s[30:31]
	v_cndmask_b32_e64 v27, v33, v17, s[30:31]
	v_cndmask_b32_e64 v18, v18, v34, s[30:31]
	v_cndmask_b32_e64 v17, v17, v33, s[30:31]
	v_cndmask_b32_e64 v34, v22, v32, s[34:35]
	v_cndmask_b32_e64 v33, v21, v31, s[34:35]
	v_cndmask_b32_e64 v22, v32, v22, s[34:35]
	v_cndmask_b32_e64 v21, v31, v21, s[34:35]
	v_cndmask_b32_e64 v32, v24, v20, s[36:37]
	v_cndmask_b32_e64 v31, v23, v19, s[36:37]
	v_cndmask_b32_e64 v20, v20, v24, s[36:37]
	v_cndmask_b32_e64 v19, v19, v23, s[36:37]
	v_cndmask_b32_e64 v24, v30, v26, s[38:39]
	v_cndmask_b32_e64 v23, v29, v25, s[38:39]
	v_cndmask_b32_e64 v26, v26, v30, s[38:39]
	v_cndmask_b32_e64 v25, v25, v29, s[38:39]
	v_cmp_lt_i64_e64 s[40:41], v[21:22], v[17:18]
	v_cmp_lt_i64_e64 s[42:43], v[19:20], v[33:34]
	v_cmp_lt_i64_e64 s[44:45], v[25:26], v[31:32]
	v_cndmask_b32_e64 v30, v22, v18, s[40:41]
	v_cndmask_b32_e64 v29, v21, v17, s[40:41]
	v_cndmask_b32_e64 v18, v18, v22, s[40:41]
	v_cndmask_b32_e64 v17, v17, v21, s[40:41]
	v_cndmask_b32_e64 v22, v20, v34, s[42:43]
	v_cndmask_b32_e64 v21, v19, v33, s[42:43]
	v_cndmask_b32_e64 v20, v34, v20, s[42:43]
	v_cndmask_b32_e64 v19, v33, v19, s[42:43]
	v_cndmask_b32_e64 v34, v26, v32, s[44:45]
	v_cndmask_b32_e64 v33, v25, v31, s[44:45]
	v_cndmask_b32_e64 v26, v32, v26, s[44:45]
	v_cndmask_b32_e64 v25, v31, v25, s[44:45]
	;; [unrolled: 35-line block ×3, first 2 shown]
	v_cmp_lt_i64_e64 s[60:61], v[17:18], v[31:32]
	v_cmp_lt_i64_e64 s[62:63], v[21:22], v[33:34]
	;; [unrolled: 1-line block ×4, first 2 shown]
	v_cndmask_b32_e64 v30, v18, v32, s[60:61]
	v_cndmask_b32_e64 v29, v17, v31, s[60:61]
	v_cndmask_b32_e64 v18, v32, v18, s[60:61]
	v_cndmask_b32_e64 v17, v31, v17, s[60:61]
	v_cndmask_b32_e64 v32, v22, v34, s[62:63]
	v_cndmask_b32_e64 v31, v21, v33, s[62:63]
	v_cndmask_b32_e64 v22, v34, v22, s[62:63]
	v_cndmask_b32_e64 v21, v33, v21, s[62:63]
	v_cndmask_b32_e64 v34, v24, v20, s[64:65]
	v_cndmask_b32_e64 v33, v23, v19, s[64:65]
	v_cndmask_b32_e64 v20, v20, v24, s[64:65]
	v_cndmask_b32_e64 v19, v19, v23, s[64:65]
	v_cndmask_b32_e64 v24, v28, v26, s[66:67]
	v_cndmask_b32_e64 v23, v27, v25, s[66:67]
	v_cmp_lt_i64_e64 s[68:69], v[21:22], v[29:30]
	v_cmp_lt_i64_e64 s[70:71], v[19:20], v[31:32]
	;; [unrolled: 1-line block ×3, first 2 shown]
	v_cndmask_b32_e64 v26, v26, v28, s[66:67]
	v_cndmask_b32_e64 v25, v25, v27, s[66:67]
	;; [unrolled: 1-line block ×6, first 2 shown]
	v_mov_b32_e32 v0, v59
	v_cndmask_b32_e64 v30, v20, v32, s[70:71]
	v_cndmask_b32_e64 v29, v19, v31, s[70:71]
	;; [unrolled: 1-line block ×8, first 2 shown]
	s_waitcnt vmcnt(0) lgkmcnt(0)
	s_barrier
	ds_write2_b64 v51, v[17:18], v[21:22] offset1:1
	ds_write2_b64 v51, v[27:28], v[19:20] offset0:2 offset1:3
	ds_write2_b64 v51, v[29:30], v[23:24] offset0:4 offset1:5
	;; [unrolled: 1-line block ×3, first 2 shown]
	s_waitcnt lgkmcnt(0)
	s_barrier
	s_and_saveexec_b64 s[76:77], vcc
	s_cbranch_execz .LBB159_6
; %bb.3:                                ;   in Loop: Header=BB159_2 Depth=1
	buffer_load_dword v17, off, s[96:99], 0 ; 4-byte Folded Reload
	s_mov_b64 s[78:79], 0
	v_mov_b32_e32 v0, v59
.LBB159_4:                              ;   Parent Loop BB159_2 Depth=1
                                        ; =>  This Inner Loop Header: Depth=2
	s_waitcnt vmcnt(0)
	v_sub_u32_e32 v18, v17, v0
	v_lshrrev_b32_e32 v18, 1, v18
	v_add_u32_e32 v22, v18, v0
	v_not_b32_e32 v19, v22
	v_lshl_add_u32 v18, v22, 3, v56
	v_lshl_add_u32 v20, v19, 3, v112
	ds_read_b64 v[18:19], v18
	ds_read_b64 v[20:21], v20
	v_add_u32_e32 v23, 1, v22
	s_waitcnt lgkmcnt(0)
	v_cmp_lt_i64_e64 s[74:75], v[20:21], v[18:19]
	v_cndmask_b32_e64 v17, v17, v22, s[74:75]
	v_cndmask_b32_e64 v0, v23, v0, s[74:75]
	v_cmp_ge_i32_e64 s[74:75], v0, v17
	s_or_b64 s[78:79], s[74:75], s[78:79]
	s_andn2_b64 exec, exec, s[78:79]
	s_cbranch_execnz .LBB159_4
; %bb.5:                                ;   in Loop: Header=BB159_2 Depth=1
	s_or_b64 exec, exec, s[78:79]
.LBB159_6:                              ;   in Loop: Header=BB159_2 Depth=1
	s_or_b64 exec, exec, s[76:77]
	v_sub_u32_e32 v49, v57, v0
	v_lshl_add_u32 v23, v0, 3, v56
	v_lshlrev_b32_e32 v25, 3, v49
	ds_read_b64 v[17:18], v23
	ds_read_b64 v[19:20], v25
	v_add_u32_e32 v50, v0, v52
	v_cmp_le_i32_e64 s[78:79], v54, v50
	v_cmp_gt_i32_e64 s[74:75], v55, v49
                                        ; implicit-def: $vgpr21_vgpr22
	s_waitcnt lgkmcnt(0)
	v_cmp_lt_i64_e64 s[76:77], v[19:20], v[17:18]
	s_or_b64 s[76:77], s[78:79], s[76:77]
	s_and_b64 s[74:75], s[74:75], s[76:77]
	s_xor_b64 s[76:77], s[74:75], -1
	s_and_saveexec_b64 s[78:79], s[76:77]
	s_xor_b64 s[76:77], exec, s[78:79]
; %bb.7:                                ;   in Loop: Header=BB159_2 Depth=1
	ds_read_b64 v[21:22], v23 offset:8
                                        ; implicit-def: $vgpr25
; %bb.8:                                ;   in Loop: Header=BB159_2 Depth=1
	s_or_saveexec_b64 s[76:77], s[76:77]
	v_mov_b32_e32 v24, v20
	v_mov_b32_e32 v23, v19
	s_xor_b64 exec, exec, s[76:77]
	s_cbranch_execz .LBB159_10
; %bb.9:                                ;   in Loop: Header=BB159_2 Depth=1
	ds_read_b64 v[23:24], v25 offset:8
	s_waitcnt lgkmcnt(1)
	v_mov_b32_e32 v22, v18
	v_mov_b32_e32 v21, v17
.LBB159_10:                             ;   in Loop: Header=BB159_2 Depth=1
	s_or_b64 exec, exec, s[76:77]
	v_add_u32_e32 v25, 1, v50
	v_add_u32_e32 v0, 1, v49
	v_cndmask_b32_e64 v121, v25, v50, s[74:75]
	s_waitcnt lgkmcnt(0)
	v_cmp_lt_i64_e64 s[78:79], v[23:24], v[21:22]
	v_cndmask_b32_e64 v120, v49, v0, s[74:75]
	v_cmp_ge_i32_e64 s[80:81], v121, v54
	v_cmp_lt_i32_e64 s[76:77], v120, v55
	s_or_b64 s[78:79], s[80:81], s[78:79]
	s_and_b64 s[76:77], s[76:77], s[78:79]
	s_xor_b64 s[78:79], s[76:77], -1
                                        ; implicit-def: $vgpr25_vgpr26
	s_and_saveexec_b64 s[80:81], s[78:79]
	s_xor_b64 s[78:79], exec, s[80:81]
; %bb.11:                               ;   in Loop: Header=BB159_2 Depth=1
	v_lshlrev_b32_e32 v0, 3, v121
	ds_read_b64 v[25:26], v0 offset:8
; %bb.12:                               ;   in Loop: Header=BB159_2 Depth=1
	s_or_saveexec_b64 s[78:79], s[78:79]
	v_mov_b32_e32 v28, v24
	v_mov_b32_e32 v27, v23
	s_xor_b64 exec, exec, s[78:79]
	s_cbranch_execz .LBB159_14
; %bb.13:                               ;   in Loop: Header=BB159_2 Depth=1
	v_lshlrev_b32_e32 v0, 3, v120
	ds_read_b64 v[27:28], v0 offset:8
	s_waitcnt lgkmcnt(1)
	v_mov_b32_e32 v26, v22
	v_mov_b32_e32 v25, v21
.LBB159_14:                             ;   in Loop: Header=BB159_2 Depth=1
	s_or_b64 exec, exec, s[78:79]
	v_add_u32_e32 v29, 1, v121
	v_add_u32_e32 v0, 1, v120
	v_cndmask_b32_e64 v123, v29, v121, s[76:77]
	s_waitcnt lgkmcnt(0)
	v_cmp_lt_i64_e64 s[80:81], v[27:28], v[25:26]
	v_cndmask_b32_e64 v122, v120, v0, s[76:77]
	v_cmp_ge_i32_e64 s[82:83], v123, v54
	v_cmp_lt_i32_e64 s[78:79], v122, v55
	s_or_b64 s[80:81], s[82:83], s[80:81]
	s_and_b64 s[78:79], s[78:79], s[80:81]
	s_xor_b64 s[80:81], s[78:79], -1
                                        ; implicit-def: $vgpr29_vgpr30
	s_and_saveexec_b64 s[82:83], s[80:81]
	s_xor_b64 s[80:81], exec, s[82:83]
; %bb.15:                               ;   in Loop: Header=BB159_2 Depth=1
	v_lshlrev_b32_e32 v0, 3, v123
	ds_read_b64 v[29:30], v0 offset:8
; %bb.16:                               ;   in Loop: Header=BB159_2 Depth=1
	s_or_saveexec_b64 s[80:81], s[80:81]
	v_mov_b32_e32 v32, v28
	v_mov_b32_e32 v31, v27
	s_xor_b64 exec, exec, s[80:81]
	s_cbranch_execz .LBB159_18
; %bb.17:                               ;   in Loop: Header=BB159_2 Depth=1
	v_lshlrev_b32_e32 v0, 3, v122
	ds_read_b64 v[31:32], v0 offset:8
	s_waitcnt lgkmcnt(1)
	v_mov_b32_e32 v30, v26
	v_mov_b32_e32 v29, v25
.LBB159_18:                             ;   in Loop: Header=BB159_2 Depth=1
	s_or_b64 exec, exec, s[80:81]
	v_add_u32_e32 v33, 1, v123
	v_add_u32_e32 v0, 1, v122
	v_cndmask_b32_e64 v124, v33, v123, s[78:79]
	s_waitcnt lgkmcnt(0)
	v_cmp_lt_i64_e64 s[82:83], v[31:32], v[29:30]
	v_cndmask_b32_e64 v58, v122, v0, s[78:79]
	v_cmp_ge_i32_e64 s[84:85], v124, v54
	v_cmp_lt_i32_e64 s[80:81], v58, v55
	s_or_b64 s[82:83], s[84:85], s[82:83]
	s_and_b64 s[80:81], s[80:81], s[82:83]
	s_xor_b64 s[82:83], s[80:81], -1
                                        ; implicit-def: $vgpr35_vgpr36
	s_and_saveexec_b64 s[84:85], s[82:83]
	s_xor_b64 s[82:83], exec, s[84:85]
; %bb.19:                               ;   in Loop: Header=BB159_2 Depth=1
	v_lshlrev_b32_e32 v0, 3, v124
	ds_read_b64 v[35:36], v0 offset:8
; %bb.20:                               ;   in Loop: Header=BB159_2 Depth=1
	s_or_saveexec_b64 s[82:83], s[82:83]
	v_mov_b32_e32 v40, v32
	v_mov_b32_e32 v39, v31
	s_xor_b64 exec, exec, s[82:83]
	s_cbranch_execz .LBB159_22
; %bb.21:                               ;   in Loop: Header=BB159_2 Depth=1
	v_lshlrev_b32_e32 v0, 3, v58
	ds_read_b64 v[39:40], v0 offset:8
	s_waitcnt lgkmcnt(1)
	v_mov_b32_e32 v36, v30
	v_mov_b32_e32 v35, v29
.LBB159_22:                             ;   in Loop: Header=BB159_2 Depth=1
	s_or_b64 exec, exec, s[82:83]
	v_add_u32_e32 v33, 1, v124
	v_add_u32_e32 v0, 1, v58
	v_cndmask_b32_e64 v64, v33, v124, s[80:81]
	s_waitcnt lgkmcnt(0)
	v_cmp_lt_i64_e64 s[84:85], v[39:40], v[35:36]
	v_cndmask_b32_e64 v0, v58, v0, s[80:81]
	v_cmp_ge_i32_e64 s[86:87], v64, v54
	v_cmp_lt_i32_e64 s[82:83], v0, v55
	s_or_b64 s[84:85], s[86:87], s[84:85]
	s_and_b64 s[82:83], s[82:83], s[84:85]
	s_xor_b64 s[84:85], s[82:83], -1
                                        ; implicit-def: $vgpr41_vgpr42
	s_and_saveexec_b64 s[86:87], s[84:85]
	s_xor_b64 s[84:85], exec, s[86:87]
; %bb.23:                               ;   in Loop: Header=BB159_2 Depth=1
	v_lshlrev_b32_e32 v33, 3, v64
	ds_read_b64 v[41:42], v33 offset:8
; %bb.24:                               ;   in Loop: Header=BB159_2 Depth=1
	s_or_saveexec_b64 s[84:85], s[84:85]
	v_mov_b32_e32 v44, v40
	v_mov_b32_e32 v43, v39
	s_xor_b64 exec, exec, s[84:85]
	s_cbranch_execz .LBB159_26
; %bb.25:                               ;   in Loop: Header=BB159_2 Depth=1
	v_lshlrev_b32_e32 v33, 3, v0
	ds_read_b64 v[43:44], v33 offset:8
	s_waitcnt lgkmcnt(1)
	v_mov_b32_e32 v42, v36
	v_mov_b32_e32 v41, v35
.LBB159_26:                             ;   in Loop: Header=BB159_2 Depth=1
	s_or_b64 exec, exec, s[84:85]
	v_add_u32_e32 v34, 1, v64
	v_add_u32_e32 v33, 1, v0
	v_cndmask_b32_e64 v78, v34, v64, s[82:83]
	s_waitcnt lgkmcnt(0)
	v_cmp_lt_i64_e64 s[86:87], v[43:44], v[41:42]
	v_cndmask_b32_e64 v71, v0, v33, s[82:83]
	v_cmp_ge_i32_e64 s[88:89], v78, v54
	v_cmp_lt_i32_e64 s[84:85], v71, v55
	s_or_b64 s[86:87], s[88:89], s[86:87]
	s_and_b64 s[84:85], s[84:85], s[86:87]
	s_xor_b64 s[86:87], s[84:85], -1
                                        ; implicit-def: $vgpr45_vgpr46
	s_and_saveexec_b64 s[88:89], s[86:87]
	s_xor_b64 s[86:87], exec, s[88:89]
; %bb.27:                               ;   in Loop: Header=BB159_2 Depth=1
	v_lshlrev_b32_e32 v33, 3, v78
	ds_read_b64 v[45:46], v33 offset:8
; %bb.28:                               ;   in Loop: Header=BB159_2 Depth=1
	s_or_saveexec_b64 s[86:87], s[86:87]
	v_mov_b32_e32 v48, v44
	v_mov_b32_e32 v47, v43
	s_xor_b64 exec, exec, s[86:87]
	s_cbranch_execz .LBB159_30
; %bb.29:                               ;   in Loop: Header=BB159_2 Depth=1
	v_lshlrev_b32_e32 v33, 3, v71
	ds_read_b64 v[47:48], v33 offset:8
	s_waitcnt lgkmcnt(1)
	v_mov_b32_e32 v46, v42
	v_mov_b32_e32 v45, v41
.LBB159_30:                             ;   in Loop: Header=BB159_2 Depth=1
	s_or_b64 exec, exec, s[86:87]
	v_add_u32_e32 v34, 1, v78
	v_add_u32_e32 v33, 1, v71
	v_cndmask_b32_e64 v92, v34, v78, s[84:85]
	s_waitcnt lgkmcnt(0)
	v_cmp_lt_i64_e64 s[88:89], v[47:48], v[45:46]
	v_cndmask_b32_e64 v85, v71, v33, s[84:85]
	v_cmp_ge_i32_e64 s[90:91], v92, v54
	v_cmp_lt_i32_e64 s[86:87], v85, v55
	s_or_b64 s[88:89], s[90:91], s[88:89]
	s_and_b64 s[86:87], s[86:87], s[88:89]
	s_xor_b64 s[88:89], s[86:87], -1
                                        ; implicit-def: $vgpr33_vgpr34
	s_and_saveexec_b64 s[90:91], s[88:89]
	s_xor_b64 s[88:89], exec, s[90:91]
; %bb.31:                               ;   in Loop: Header=BB159_2 Depth=1
	v_lshlrev_b32_e32 v33, 3, v92
	ds_read_b64 v[33:34], v33 offset:8
; %bb.32:                               ;   in Loop: Header=BB159_2 Depth=1
	s_or_saveexec_b64 s[88:89], s[88:89]
	v_mov_b32_e32 v37, v47
	v_mov_b32_e32 v38, v48
	s_xor_b64 exec, exec, s[88:89]
	s_cbranch_execz .LBB159_34
; %bb.33:                               ;   in Loop: Header=BB159_2 Depth=1
	s_waitcnt lgkmcnt(0)
	v_lshlrev_b32_e32 v33, 3, v85
	ds_read_b64 v[37:38], v33 offset:8
	v_mov_b32_e32 v33, v45
	v_mov_b32_e32 v34, v46
.LBB159_34:                             ;   in Loop: Header=BB159_2 Depth=1
	s_or_b64 exec, exec, s[88:89]
	v_cndmask_b32_e64 v35, v35, v39, s[82:83]
	v_cndmask_b32_e64 v39, v64, v0, s[82:83]
	;; [unrolled: 1-line block ×48, first 2 shown]
	v_add_u32_e32 v48, 1, v92
	v_cndmask_b32_e64 v15, v4, v5, s[40:41]
	v_cndmask_b32_e64 v16, v3, v0, s[40:41]
	;; [unrolled: 1-line block ×13, first 2 shown]
	v_add_u32_e32 v47, 1, v85
	v_cndmask_b32_e64 v48, v48, v92, s[86:87]
	v_cndmask_b32_e64 v11, v8, v0, s[46:47]
	;; [unrolled: 1-line block ×13, first 2 shown]
	s_waitcnt lgkmcnt(0)
	v_cmp_lt_i64_e64 s[18:19], v[37:38], v[33:34]
	v_cndmask_b32_e64 v47, v85, v47, s[86:87]
	v_cndmask_b32_e64 v26, v26, v28, s[78:79]
	;; [unrolled: 1-line block ×15, first 2 shown]
	v_cmp_ge_i32_e64 s[20:21], v48, v54
	v_cndmask_b32_e64 v7, v13, v16, s[58:59]
	v_cndmask_b32_e64 v8, v6, v15, s[58:59]
	;; [unrolled: 1-line block ×12, first 2 shown]
	v_cmp_lt_i32_e64 s[16:17], v47, v55
	s_or_b64 s[18:19], s[20:21], s[18:19]
	v_cndmask_b32_e64 v42, v42, v44, s[84:85]
	v_cndmask_b32_e64 v36, v36, v40, s[82:83]
	;; [unrolled: 1-line block ×21, first 2 shown]
	s_and_b64 s[16:17], s[16:17], s[18:19]
	v_cndmask_b32_e64 v85, v92, v85, s[86:87]
	v_cndmask_b32_e64 v41, v41, v43, s[84:85]
	;; [unrolled: 1-line block ×14, first 2 shown]
	s_barrier
	ds_write2_b64 v51, v[0:1], v[6:7] offset1:1
	ds_write2_b64 v51, v[4:5], v[10:11] offset0:2 offset1:3
	ds_write2_b64 v51, v[8:9], v[14:15] offset0:4 offset1:5
	;; [unrolled: 1-line block ×3, first 2 shown]
	v_lshlrev_b32_e32 v0, 3, v24
	v_lshlrev_b32_e32 v1, 3, v23
	;; [unrolled: 1-line block ×4, first 2 shown]
	s_waitcnt lgkmcnt(0)
	s_barrier
	ds_read_b64 v[9:10], v0
	ds_read_b64 v[13:14], v1
	;; [unrolled: 1-line block ×4, first 2 shown]
	v_lshlrev_b32_e32 v0, 3, v39
	v_lshlrev_b32_e32 v3, 3, v43
	v_lshlrev_b32_e32 v4, 3, v85
	v_lshlrev_b32_e32 v7, 3, v16
	ds_read_b64 v[11:12], v0
	ds_read_b64 v[15:16], v3
	ds_read_b64 v[3:4], v4
	ds_read_b64 v[7:8], v7
	v_mov_b32_e32 v0, v63
	v_cndmask_b32_e64 v20, v34, v38, s[16:17]
	v_cndmask_b32_e64 v19, v33, v37, s[16:17]
	s_waitcnt lgkmcnt(0)
	s_barrier
	ds_write2_b64 v51, v[17:18], v[21:22] offset1:1
	ds_write2_b64 v51, v[25:26], v[29:30] offset0:2 offset1:3
	ds_write2_b64 v51, v[35:36], v[41:42] offset0:4 offset1:5
	;; [unrolled: 1-line block ×3, first 2 shown]
	s_waitcnt lgkmcnt(0)
	s_barrier
	s_and_saveexec_b64 s[18:19], s[0:1]
	s_cbranch_execz .LBB159_38
; %bb.35:                               ;   in Loop: Header=BB159_2 Depth=1
	buffer_load_dword v17, off, s[96:99], 0 offset:4 ; 4-byte Folded Reload
	s_mov_b64 s[20:21], 0
	v_mov_b32_e32 v0, v63
.LBB159_36:                             ;   Parent Loop BB159_2 Depth=1
                                        ; =>  This Inner Loop Header: Depth=2
	s_waitcnt vmcnt(0)
	v_sub_u32_e32 v18, v17, v0
	v_lshrrev_b32_e32 v18, 1, v18
	v_add_u32_e32 v22, v18, v0
	v_not_b32_e32 v19, v22
	v_lshl_add_u32 v18, v22, 3, v62
	v_lshl_add_u32 v20, v19, 3, v113
	ds_read_b64 v[18:19], v18
	ds_read_b64 v[20:21], v20
	v_add_u32_e32 v23, 1, v22
	s_waitcnt lgkmcnt(0)
	v_cmp_lt_i64_e64 s[16:17], v[20:21], v[18:19]
	v_cndmask_b32_e64 v17, v17, v22, s[16:17]
	v_cndmask_b32_e64 v0, v23, v0, s[16:17]
	v_cmp_ge_i32_e64 s[16:17], v0, v17
	s_or_b64 s[20:21], s[16:17], s[20:21]
	s_andn2_b64 exec, exec, s[20:21]
	s_cbranch_execnz .LBB159_36
; %bb.37:                               ;   in Loop: Header=BB159_2 Depth=1
	s_or_b64 exec, exec, s[20:21]
.LBB159_38:                             ;   in Loop: Header=BB159_2 Depth=1
	s_or_b64 exec, exec, s[18:19]
	v_sub_u32_e32 v49, v65, v0
	v_lshl_add_u32 v23, v0, 3, v62
	v_lshlrev_b32_e32 v25, 3, v49
	ds_read_b64 v[17:18], v23
	ds_read_b64 v[19:20], v25
	v_add_u32_e32 v50, v0, v53
	v_cmp_le_i32_e64 s[20:21], v60, v50
	v_cmp_gt_i32_e64 s[16:17], v61, v49
                                        ; implicit-def: $vgpr21_vgpr22
	s_waitcnt lgkmcnt(0)
	v_cmp_lt_i64_e64 s[18:19], v[19:20], v[17:18]
	s_or_b64 s[18:19], s[20:21], s[18:19]
	s_and_b64 s[16:17], s[16:17], s[18:19]
	s_xor_b64 s[18:19], s[16:17], -1
	s_and_saveexec_b64 s[20:21], s[18:19]
	s_xor_b64 s[18:19], exec, s[20:21]
; %bb.39:                               ;   in Loop: Header=BB159_2 Depth=1
	ds_read_b64 v[21:22], v23 offset:8
                                        ; implicit-def: $vgpr25
; %bb.40:                               ;   in Loop: Header=BB159_2 Depth=1
	s_or_saveexec_b64 s[18:19], s[18:19]
	v_mov_b32_e32 v24, v20
	v_mov_b32_e32 v23, v19
	s_xor_b64 exec, exec, s[18:19]
	s_cbranch_execz .LBB159_42
; %bb.41:                               ;   in Loop: Header=BB159_2 Depth=1
	ds_read_b64 v[23:24], v25 offset:8
	s_waitcnt lgkmcnt(1)
	v_mov_b32_e32 v22, v18
	v_mov_b32_e32 v21, v17
.LBB159_42:                             ;   in Loop: Header=BB159_2 Depth=1
	s_or_b64 exec, exec, s[18:19]
	v_add_u32_e32 v25, 1, v50
	v_add_u32_e32 v0, 1, v49
	v_cndmask_b32_e64 v121, v25, v50, s[16:17]
	s_waitcnt lgkmcnt(0)
	v_cmp_lt_i64_e64 s[20:21], v[23:24], v[21:22]
	v_cndmask_b32_e64 v120, v49, v0, s[16:17]
	v_cmp_ge_i32_e64 s[22:23], v121, v60
	v_cmp_lt_i32_e64 s[18:19], v120, v61
	s_or_b64 s[20:21], s[22:23], s[20:21]
	s_and_b64 s[18:19], s[18:19], s[20:21]
	s_xor_b64 s[20:21], s[18:19], -1
                                        ; implicit-def: $vgpr25_vgpr26
	s_and_saveexec_b64 s[22:23], s[20:21]
	s_xor_b64 s[20:21], exec, s[22:23]
; %bb.43:                               ;   in Loop: Header=BB159_2 Depth=1
	v_lshlrev_b32_e32 v0, 3, v121
	ds_read_b64 v[25:26], v0 offset:8
; %bb.44:                               ;   in Loop: Header=BB159_2 Depth=1
	s_or_saveexec_b64 s[20:21], s[20:21]
	v_mov_b32_e32 v28, v24
	v_mov_b32_e32 v27, v23
	s_xor_b64 exec, exec, s[20:21]
	s_cbranch_execz .LBB159_46
; %bb.45:                               ;   in Loop: Header=BB159_2 Depth=1
	v_lshlrev_b32_e32 v0, 3, v120
	ds_read_b64 v[27:28], v0 offset:8
	s_waitcnt lgkmcnt(1)
	v_mov_b32_e32 v26, v22
	v_mov_b32_e32 v25, v21
.LBB159_46:                             ;   in Loop: Header=BB159_2 Depth=1
	s_or_b64 exec, exec, s[20:21]
	v_add_u32_e32 v29, 1, v121
	v_add_u32_e32 v0, 1, v120
	v_cndmask_b32_e64 v123, v29, v121, s[18:19]
	s_waitcnt lgkmcnt(0)
	v_cmp_lt_i64_e64 s[22:23], v[27:28], v[25:26]
	v_cndmask_b32_e64 v122, v120, v0, s[18:19]
	v_cmp_ge_i32_e64 s[24:25], v123, v60
	v_cmp_lt_i32_e64 s[20:21], v122, v61
	s_or_b64 s[22:23], s[24:25], s[22:23]
	s_and_b64 s[20:21], s[20:21], s[22:23]
	s_xor_b64 s[22:23], s[20:21], -1
                                        ; implicit-def: $vgpr29_vgpr30
	s_and_saveexec_b64 s[24:25], s[22:23]
	s_xor_b64 s[22:23], exec, s[24:25]
; %bb.47:                               ;   in Loop: Header=BB159_2 Depth=1
	v_lshlrev_b32_e32 v0, 3, v123
	ds_read_b64 v[29:30], v0 offset:8
; %bb.48:                               ;   in Loop: Header=BB159_2 Depth=1
	s_or_saveexec_b64 s[22:23], s[22:23]
	v_mov_b32_e32 v32, v28
	v_mov_b32_e32 v31, v27
	s_xor_b64 exec, exec, s[22:23]
	s_cbranch_execz .LBB159_50
; %bb.49:                               ;   in Loop: Header=BB159_2 Depth=1
	v_lshlrev_b32_e32 v0, 3, v122
	ds_read_b64 v[31:32], v0 offset:8
	s_waitcnt lgkmcnt(1)
	v_mov_b32_e32 v30, v26
	v_mov_b32_e32 v29, v25
.LBB159_50:                             ;   in Loop: Header=BB159_2 Depth=1
	s_or_b64 exec, exec, s[22:23]
	v_add_u32_e32 v33, 1, v123
	v_add_u32_e32 v0, 1, v122
	v_cndmask_b32_e64 v124, v33, v123, s[20:21]
	s_waitcnt lgkmcnt(0)
	v_cmp_lt_i64_e64 s[24:25], v[31:32], v[29:30]
	v_cndmask_b32_e64 v58, v122, v0, s[20:21]
	v_cmp_ge_i32_e64 s[26:27], v124, v60
	v_cmp_lt_i32_e64 s[22:23], v58, v61
	s_or_b64 s[24:25], s[26:27], s[24:25]
	s_and_b64 s[22:23], s[22:23], s[24:25]
	s_xor_b64 s[24:25], s[22:23], -1
                                        ; implicit-def: $vgpr33_vgpr34
	s_and_saveexec_b64 s[26:27], s[24:25]
	s_xor_b64 s[24:25], exec, s[26:27]
; %bb.51:                               ;   in Loop: Header=BB159_2 Depth=1
	v_lshlrev_b32_e32 v0, 3, v124
	ds_read_b64 v[33:34], v0 offset:8
; %bb.52:                               ;   in Loop: Header=BB159_2 Depth=1
	s_or_saveexec_b64 s[24:25], s[24:25]
	v_mov_b32_e32 v36, v32
	v_mov_b32_e32 v35, v31
	s_xor_b64 exec, exec, s[24:25]
	s_cbranch_execz .LBB159_54
; %bb.53:                               ;   in Loop: Header=BB159_2 Depth=1
	v_lshlrev_b32_e32 v0, 3, v58
	ds_read_b64 v[35:36], v0 offset:8
	s_waitcnt lgkmcnt(1)
	v_mov_b32_e32 v34, v30
	v_mov_b32_e32 v33, v29
.LBB159_54:                             ;   in Loop: Header=BB159_2 Depth=1
	s_or_b64 exec, exec, s[24:25]
	v_add_u32_e32 v37, 1, v124
	v_add_u32_e32 v0, 1, v58
	v_cndmask_b32_e64 v64, v37, v124, s[22:23]
	s_waitcnt lgkmcnt(0)
	v_cmp_lt_i64_e64 s[26:27], v[35:36], v[33:34]
	v_cndmask_b32_e64 v0, v58, v0, s[22:23]
	v_cmp_ge_i32_e64 s[28:29], v64, v60
	v_cmp_lt_i32_e64 s[24:25], v0, v61
	s_or_b64 s[26:27], s[28:29], s[26:27]
	s_and_b64 s[24:25], s[24:25], s[26:27]
	s_xor_b64 s[26:27], s[24:25], -1
                                        ; implicit-def: $vgpr37_vgpr38
	s_and_saveexec_b64 s[28:29], s[26:27]
	s_xor_b64 s[26:27], exec, s[28:29]
; %bb.55:                               ;   in Loop: Header=BB159_2 Depth=1
	v_lshlrev_b32_e32 v37, 3, v64
	ds_read_b64 v[37:38], v37 offset:8
; %bb.56:                               ;   in Loop: Header=BB159_2 Depth=1
	s_or_saveexec_b64 s[26:27], s[26:27]
	v_mov_b32_e32 v40, v36
	v_mov_b32_e32 v39, v35
	s_xor_b64 exec, exec, s[26:27]
	s_cbranch_execz .LBB159_58
; %bb.57:                               ;   in Loop: Header=BB159_2 Depth=1
	s_waitcnt lgkmcnt(0)
	v_lshlrev_b32_e32 v37, 3, v0
	ds_read_b64 v[39:40], v37 offset:8
	v_mov_b32_e32 v38, v34
	v_mov_b32_e32 v37, v33
.LBB159_58:                             ;   in Loop: Header=BB159_2 Depth=1
	s_or_b64 exec, exec, s[26:27]
	v_add_u32_e32 v42, 1, v64
	v_add_u32_e32 v41, 1, v0
	v_cndmask_b32_e64 v78, v42, v64, s[24:25]
	s_waitcnt lgkmcnt(0)
	v_cmp_lt_i64_e64 s[28:29], v[39:40], v[37:38]
	v_cndmask_b32_e64 v71, v0, v41, s[24:25]
	v_cmp_ge_i32_e64 s[30:31], v78, v60
	v_cmp_lt_i32_e64 s[26:27], v71, v61
	s_or_b64 s[28:29], s[30:31], s[28:29]
	s_and_b64 s[26:27], s[26:27], s[28:29]
	s_xor_b64 s[28:29], s[26:27], -1
                                        ; implicit-def: $vgpr41_vgpr42
	s_and_saveexec_b64 s[30:31], s[28:29]
	s_xor_b64 s[28:29], exec, s[30:31]
; %bb.59:                               ;   in Loop: Header=BB159_2 Depth=1
	v_lshlrev_b32_e32 v41, 3, v78
	ds_read_b64 v[41:42], v41 offset:8
; %bb.60:                               ;   in Loop: Header=BB159_2 Depth=1
	s_or_saveexec_b64 s[28:29], s[28:29]
	v_mov_b32_e32 v46, v40
	v_mov_b32_e32 v45, v39
	s_xor_b64 exec, exec, s[28:29]
	s_cbranch_execz .LBB159_62
; %bb.61:                               ;   in Loop: Header=BB159_2 Depth=1
	s_waitcnt lgkmcnt(0)
	v_lshlrev_b32_e32 v41, 3, v71
	ds_read_b64 v[45:46], v41 offset:8
	v_mov_b32_e32 v42, v38
	v_mov_b32_e32 v41, v37
.LBB159_62:                             ;   in Loop: Header=BB159_2 Depth=1
	s_or_b64 exec, exec, s[28:29]
	v_add_u32_e32 v44, 1, v78
	v_add_u32_e32 v43, 1, v71
	v_cndmask_b32_e64 v92, v44, v78, s[26:27]
	s_waitcnt lgkmcnt(0)
	v_cmp_lt_i64_e64 s[30:31], v[45:46], v[41:42]
	v_cndmask_b32_e64 v85, v71, v43, s[26:27]
	v_cmp_ge_i32_e64 s[34:35], v92, v60
	v_cmp_lt_i32_e64 s[28:29], v85, v61
	s_or_b64 s[30:31], s[34:35], s[30:31]
	s_and_b64 s[28:29], s[28:29], s[30:31]
	s_xor_b64 s[30:31], s[28:29], -1
                                        ; implicit-def: $vgpr43_vgpr44
	s_and_saveexec_b64 s[34:35], s[30:31]
	s_xor_b64 s[30:31], exec, s[34:35]
; %bb.63:                               ;   in Loop: Header=BB159_2 Depth=1
	v_lshlrev_b32_e32 v43, 3, v92
	ds_read_b64 v[43:44], v43 offset:8
; %bb.64:                               ;   in Loop: Header=BB159_2 Depth=1
	s_or_saveexec_b64 s[30:31], s[30:31]
	v_mov_b32_e32 v48, v46
	v_mov_b32_e32 v47, v45
	s_xor_b64 exec, exec, s[30:31]
	s_cbranch_execz .LBB159_66
; %bb.65:                               ;   in Loop: Header=BB159_2 Depth=1
	s_waitcnt lgkmcnt(0)
	v_lshlrev_b32_e32 v43, 3, v85
	ds_read_b64 v[47:48], v43 offset:8
	v_mov_b32_e32 v44, v42
	v_mov_b32_e32 v43, v41
.LBB159_66:                             ;   in Loop: Header=BB159_2 Depth=1
	s_or_b64 exec, exec, s[30:31]
	v_cndmask_b32_e64 v42, v42, v46, s[28:29]
	v_add_u32_e32 v46, 1, v92
	v_cndmask_b32_e64 v41, v41, v45, s[28:29]
	v_add_u32_e32 v45, 1, v85
	v_cndmask_b32_e64 v46, v46, v92, s[28:29]
	v_cndmask_b32_e64 v22, v22, v24, s[18:19]
	;; [unrolled: 1-line block ×4, first 2 shown]
	s_waitcnt lgkmcnt(0)
	v_cmp_lt_i64_e64 s[18:19], v[47:48], v[43:44]
	v_cndmask_b32_e64 v45, v85, v45, s[28:29]
	v_cndmask_b32_e64 v26, v26, v28, s[20:21]
	;; [unrolled: 1-line block ×4, first 2 shown]
	v_cmp_ge_i32_e64 s[20:21], v46, v60
	v_cndmask_b32_e64 v18, v18, v20, s[16:17]
	v_cndmask_b32_e64 v17, v17, v19, s[16:17]
	;; [unrolled: 1-line block ×3, first 2 shown]
	v_cmp_lt_i32_e64 s[16:17], v45, v61
	s_or_b64 s[18:19], s[20:21], s[18:19]
	v_cndmask_b32_e64 v29, v29, v31, s[22:23]
	v_cndmask_b32_e64 v31, v124, v58, s[22:23]
	s_and_b64 s[16:17], s[16:17], s[18:19]
	v_cndmask_b32_e64 v85, v92, v85, s[28:29]
	v_cndmask_b32_e64 v37, v37, v39, s[26:27]
	;; [unrolled: 1-line block ×5, first 2 shown]
	s_barrier
	ds_write2_b64 v51, v[9:10], v[13:14] offset1:1
	ds_write2_b64 v51, v[1:2], v[5:6] offset0:2 offset1:3
	ds_write2_b64 v51, v[11:12], v[15:16] offset0:4 offset1:5
	;; [unrolled: 1-line block ×3, first 2 shown]
	v_lshlrev_b32_e32 v1, 3, v24
	v_lshlrev_b32_e32 v2, 3, v23
	;; [unrolled: 1-line block ×4, first 2 shown]
	s_waitcnt lgkmcnt(0)
	s_barrier
	ds_read_b64 v[9:10], v1
	ds_read_b64 v[13:14], v2
	;; [unrolled: 1-line block ×4, first 2 shown]
	v_lshlrev_b32_e32 v0, 3, v0
	v_lshlrev_b32_e32 v3, 3, v39
	;; [unrolled: 1-line block ×4, first 2 shown]
	ds_read_b64 v[11:12], v0
	ds_read_b64 v[15:16], v3
	;; [unrolled: 1-line block ×4, first 2 shown]
	v_mov_b32_e32 v0, v70
	v_cndmask_b32_e64 v38, v38, v40, s[26:27]
	v_cndmask_b32_e64 v34, v34, v36, s[24:25]
	;; [unrolled: 1-line block ×6, first 2 shown]
	s_waitcnt lgkmcnt(0)
	s_barrier
	ds_write2_b64 v51, v[17:18], v[21:22] offset1:1
	ds_write2_b64 v51, v[25:26], v[29:30] offset0:2 offset1:3
	ds_write2_b64 v51, v[33:34], v[37:38] offset0:4 offset1:5
	;; [unrolled: 1-line block ×3, first 2 shown]
	s_waitcnt lgkmcnt(0)
	s_barrier
	s_and_saveexec_b64 s[18:19], s[2:3]
	s_cbranch_execz .LBB159_70
; %bb.67:                               ;   in Loop: Header=BB159_2 Depth=1
	buffer_load_dword v17, off, s[96:99], 0 offset:8 ; 4-byte Folded Reload
	s_mov_b64 s[20:21], 0
	v_mov_b32_e32 v0, v70
.LBB159_68:                             ;   Parent Loop BB159_2 Depth=1
                                        ; =>  This Inner Loop Header: Depth=2
	s_waitcnt vmcnt(0)
	v_sub_u32_e32 v18, v17, v0
	v_lshrrev_b32_e32 v18, 1, v18
	v_add_u32_e32 v22, v18, v0
	v_not_b32_e32 v19, v22
	v_lshl_add_u32 v18, v22, 3, v69
	v_lshl_add_u32 v20, v19, 3, v114
	ds_read_b64 v[18:19], v18
	ds_read_b64 v[20:21], v20
	v_add_u32_e32 v23, 1, v22
	s_waitcnt lgkmcnt(0)
	v_cmp_lt_i64_e64 s[16:17], v[20:21], v[18:19]
	v_cndmask_b32_e64 v17, v17, v22, s[16:17]
	v_cndmask_b32_e64 v0, v23, v0, s[16:17]
	v_cmp_ge_i32_e64 s[16:17], v0, v17
	s_or_b64 s[20:21], s[16:17], s[20:21]
	s_andn2_b64 exec, exec, s[20:21]
	s_cbranch_execnz .LBB159_68
; %bb.69:                               ;   in Loop: Header=BB159_2 Depth=1
	s_or_b64 exec, exec, s[20:21]
.LBB159_70:                             ;   in Loop: Header=BB159_2 Depth=1
	s_or_b64 exec, exec, s[18:19]
	v_sub_u32_e32 v49, v72, v0
	v_lshl_add_u32 v23, v0, 3, v69
	v_lshlrev_b32_e32 v25, 3, v49
	ds_read_b64 v[17:18], v23
	ds_read_b64 v[19:20], v25
	v_add_u32_e32 v50, v0, v66
	v_cmp_le_i32_e64 s[20:21], v67, v50
	v_cmp_gt_i32_e64 s[16:17], v68, v49
                                        ; implicit-def: $vgpr21_vgpr22
	s_waitcnt lgkmcnt(0)
	v_cmp_lt_i64_e64 s[18:19], v[19:20], v[17:18]
	s_or_b64 s[18:19], s[20:21], s[18:19]
	s_and_b64 s[16:17], s[16:17], s[18:19]
	s_xor_b64 s[18:19], s[16:17], -1
	s_and_saveexec_b64 s[20:21], s[18:19]
	s_xor_b64 s[18:19], exec, s[20:21]
; %bb.71:                               ;   in Loop: Header=BB159_2 Depth=1
	ds_read_b64 v[21:22], v23 offset:8
                                        ; implicit-def: $vgpr25
; %bb.72:                               ;   in Loop: Header=BB159_2 Depth=1
	s_or_saveexec_b64 s[18:19], s[18:19]
	v_mov_b32_e32 v24, v20
	v_mov_b32_e32 v23, v19
	s_xor_b64 exec, exec, s[18:19]
	s_cbranch_execz .LBB159_74
; %bb.73:                               ;   in Loop: Header=BB159_2 Depth=1
	ds_read_b64 v[23:24], v25 offset:8
	s_waitcnt lgkmcnt(1)
	v_mov_b32_e32 v22, v18
	v_mov_b32_e32 v21, v17
.LBB159_74:                             ;   in Loop: Header=BB159_2 Depth=1
	s_or_b64 exec, exec, s[18:19]
	v_add_u32_e32 v25, 1, v50
	v_add_u32_e32 v0, 1, v49
	v_cndmask_b32_e64 v121, v25, v50, s[16:17]
	s_waitcnt lgkmcnt(0)
	v_cmp_lt_i64_e64 s[20:21], v[23:24], v[21:22]
	v_cndmask_b32_e64 v120, v49, v0, s[16:17]
	v_cmp_ge_i32_e64 s[22:23], v121, v67
	v_cmp_lt_i32_e64 s[18:19], v120, v68
	s_or_b64 s[20:21], s[22:23], s[20:21]
	s_and_b64 s[18:19], s[18:19], s[20:21]
	s_xor_b64 s[20:21], s[18:19], -1
                                        ; implicit-def: $vgpr25_vgpr26
	s_and_saveexec_b64 s[22:23], s[20:21]
	s_xor_b64 s[20:21], exec, s[22:23]
; %bb.75:                               ;   in Loop: Header=BB159_2 Depth=1
	v_lshlrev_b32_e32 v0, 3, v121
	ds_read_b64 v[25:26], v0 offset:8
; %bb.76:                               ;   in Loop: Header=BB159_2 Depth=1
	s_or_saveexec_b64 s[20:21], s[20:21]
	v_mov_b32_e32 v28, v24
	v_mov_b32_e32 v27, v23
	s_xor_b64 exec, exec, s[20:21]
	s_cbranch_execz .LBB159_78
; %bb.77:                               ;   in Loop: Header=BB159_2 Depth=1
	v_lshlrev_b32_e32 v0, 3, v120
	ds_read_b64 v[27:28], v0 offset:8
	s_waitcnt lgkmcnt(1)
	v_mov_b32_e32 v26, v22
	v_mov_b32_e32 v25, v21
.LBB159_78:                             ;   in Loop: Header=BB159_2 Depth=1
	s_or_b64 exec, exec, s[20:21]
	v_add_u32_e32 v29, 1, v121
	v_add_u32_e32 v0, 1, v120
	v_cndmask_b32_e64 v123, v29, v121, s[18:19]
	s_waitcnt lgkmcnt(0)
	v_cmp_lt_i64_e64 s[22:23], v[27:28], v[25:26]
	v_cndmask_b32_e64 v122, v120, v0, s[18:19]
	v_cmp_ge_i32_e64 s[24:25], v123, v67
	v_cmp_lt_i32_e64 s[20:21], v122, v68
	s_or_b64 s[22:23], s[24:25], s[22:23]
	s_and_b64 s[20:21], s[20:21], s[22:23]
	s_xor_b64 s[22:23], s[20:21], -1
                                        ; implicit-def: $vgpr29_vgpr30
	s_and_saveexec_b64 s[24:25], s[22:23]
	s_xor_b64 s[22:23], exec, s[24:25]
; %bb.79:                               ;   in Loop: Header=BB159_2 Depth=1
	v_lshlrev_b32_e32 v0, 3, v123
	ds_read_b64 v[29:30], v0 offset:8
; %bb.80:                               ;   in Loop: Header=BB159_2 Depth=1
	s_or_saveexec_b64 s[22:23], s[22:23]
	v_mov_b32_e32 v32, v28
	v_mov_b32_e32 v31, v27
	s_xor_b64 exec, exec, s[22:23]
	s_cbranch_execz .LBB159_82
; %bb.81:                               ;   in Loop: Header=BB159_2 Depth=1
	v_lshlrev_b32_e32 v0, 3, v122
	ds_read_b64 v[31:32], v0 offset:8
	s_waitcnt lgkmcnt(1)
	v_mov_b32_e32 v30, v26
	v_mov_b32_e32 v29, v25
.LBB159_82:                             ;   in Loop: Header=BB159_2 Depth=1
	s_or_b64 exec, exec, s[22:23]
	v_add_u32_e32 v33, 1, v123
	v_add_u32_e32 v0, 1, v122
	v_cndmask_b32_e64 v124, v33, v123, s[20:21]
	s_waitcnt lgkmcnt(0)
	v_cmp_lt_i64_e64 s[24:25], v[31:32], v[29:30]
	v_cndmask_b32_e64 v58, v122, v0, s[20:21]
	v_cmp_ge_i32_e64 s[26:27], v124, v67
	v_cmp_lt_i32_e64 s[22:23], v58, v68
	s_or_b64 s[24:25], s[26:27], s[24:25]
	s_and_b64 s[22:23], s[22:23], s[24:25]
	s_xor_b64 s[24:25], s[22:23], -1
                                        ; implicit-def: $vgpr33_vgpr34
	s_and_saveexec_b64 s[26:27], s[24:25]
	s_xor_b64 s[24:25], exec, s[26:27]
; %bb.83:                               ;   in Loop: Header=BB159_2 Depth=1
	v_lshlrev_b32_e32 v0, 3, v124
	ds_read_b64 v[33:34], v0 offset:8
; %bb.84:                               ;   in Loop: Header=BB159_2 Depth=1
	s_or_saveexec_b64 s[24:25], s[24:25]
	v_mov_b32_e32 v36, v32
	v_mov_b32_e32 v35, v31
	s_xor_b64 exec, exec, s[24:25]
	s_cbranch_execz .LBB159_86
; %bb.85:                               ;   in Loop: Header=BB159_2 Depth=1
	v_lshlrev_b32_e32 v0, 3, v58
	ds_read_b64 v[35:36], v0 offset:8
	s_waitcnt lgkmcnt(1)
	v_mov_b32_e32 v34, v30
	v_mov_b32_e32 v33, v29
.LBB159_86:                             ;   in Loop: Header=BB159_2 Depth=1
	s_or_b64 exec, exec, s[24:25]
	v_add_u32_e32 v37, 1, v124
	v_add_u32_e32 v0, 1, v58
	v_cndmask_b32_e64 v64, v37, v124, s[22:23]
	s_waitcnt lgkmcnt(0)
	v_cmp_lt_i64_e64 s[26:27], v[35:36], v[33:34]
	v_cndmask_b32_e64 v0, v58, v0, s[22:23]
	v_cmp_ge_i32_e64 s[28:29], v64, v67
	v_cmp_lt_i32_e64 s[24:25], v0, v68
	s_or_b64 s[26:27], s[28:29], s[26:27]
	s_and_b64 s[24:25], s[24:25], s[26:27]
	s_xor_b64 s[26:27], s[24:25], -1
                                        ; implicit-def: $vgpr37_vgpr38
	s_and_saveexec_b64 s[28:29], s[26:27]
	s_xor_b64 s[26:27], exec, s[28:29]
; %bb.87:                               ;   in Loop: Header=BB159_2 Depth=1
	v_lshlrev_b32_e32 v37, 3, v64
	ds_read_b64 v[37:38], v37 offset:8
; %bb.88:                               ;   in Loop: Header=BB159_2 Depth=1
	s_or_saveexec_b64 s[26:27], s[26:27]
	v_mov_b32_e32 v40, v36
	v_mov_b32_e32 v39, v35
	s_xor_b64 exec, exec, s[26:27]
	s_cbranch_execz .LBB159_90
; %bb.89:                               ;   in Loop: Header=BB159_2 Depth=1
	s_waitcnt lgkmcnt(0)
	v_lshlrev_b32_e32 v37, 3, v0
	ds_read_b64 v[39:40], v37 offset:8
	v_mov_b32_e32 v38, v34
	v_mov_b32_e32 v37, v33
.LBB159_90:                             ;   in Loop: Header=BB159_2 Depth=1
	s_or_b64 exec, exec, s[26:27]
	v_add_u32_e32 v42, 1, v64
	v_add_u32_e32 v41, 1, v0
	v_cndmask_b32_e64 v78, v42, v64, s[24:25]
	s_waitcnt lgkmcnt(0)
	v_cmp_lt_i64_e64 s[28:29], v[39:40], v[37:38]
	v_cndmask_b32_e64 v71, v0, v41, s[24:25]
	v_cmp_ge_i32_e64 s[30:31], v78, v67
	v_cmp_lt_i32_e64 s[26:27], v71, v68
	s_or_b64 s[28:29], s[30:31], s[28:29]
	s_and_b64 s[26:27], s[26:27], s[28:29]
	s_xor_b64 s[28:29], s[26:27], -1
                                        ; implicit-def: $vgpr41_vgpr42
	s_and_saveexec_b64 s[30:31], s[28:29]
	s_xor_b64 s[28:29], exec, s[30:31]
; %bb.91:                               ;   in Loop: Header=BB159_2 Depth=1
	v_lshlrev_b32_e32 v41, 3, v78
	ds_read_b64 v[41:42], v41 offset:8
; %bb.92:                               ;   in Loop: Header=BB159_2 Depth=1
	s_or_saveexec_b64 s[28:29], s[28:29]
	v_mov_b32_e32 v46, v40
	v_mov_b32_e32 v45, v39
	s_xor_b64 exec, exec, s[28:29]
	s_cbranch_execz .LBB159_94
; %bb.93:                               ;   in Loop: Header=BB159_2 Depth=1
	s_waitcnt lgkmcnt(0)
	v_lshlrev_b32_e32 v41, 3, v71
	ds_read_b64 v[45:46], v41 offset:8
	v_mov_b32_e32 v42, v38
	v_mov_b32_e32 v41, v37
.LBB159_94:                             ;   in Loop: Header=BB159_2 Depth=1
	s_or_b64 exec, exec, s[28:29]
	v_add_u32_e32 v44, 1, v78
	v_add_u32_e32 v43, 1, v71
	v_cndmask_b32_e64 v92, v44, v78, s[26:27]
	s_waitcnt lgkmcnt(0)
	v_cmp_lt_i64_e64 s[30:31], v[45:46], v[41:42]
	v_cndmask_b32_e64 v85, v71, v43, s[26:27]
	v_cmp_ge_i32_e64 s[34:35], v92, v67
	v_cmp_lt_i32_e64 s[28:29], v85, v68
	s_or_b64 s[30:31], s[34:35], s[30:31]
	s_and_b64 s[28:29], s[28:29], s[30:31]
	s_xor_b64 s[30:31], s[28:29], -1
                                        ; implicit-def: $vgpr43_vgpr44
	s_and_saveexec_b64 s[34:35], s[30:31]
	s_xor_b64 s[30:31], exec, s[34:35]
; %bb.95:                               ;   in Loop: Header=BB159_2 Depth=1
	v_lshlrev_b32_e32 v43, 3, v92
	ds_read_b64 v[43:44], v43 offset:8
; %bb.96:                               ;   in Loop: Header=BB159_2 Depth=1
	s_or_saveexec_b64 s[30:31], s[30:31]
	v_mov_b32_e32 v48, v46
	v_mov_b32_e32 v47, v45
	s_xor_b64 exec, exec, s[30:31]
	s_cbranch_execz .LBB159_98
; %bb.97:                               ;   in Loop: Header=BB159_2 Depth=1
	s_waitcnt lgkmcnt(0)
	v_lshlrev_b32_e32 v43, 3, v85
	ds_read_b64 v[47:48], v43 offset:8
	v_mov_b32_e32 v44, v42
	v_mov_b32_e32 v43, v41
.LBB159_98:                             ;   in Loop: Header=BB159_2 Depth=1
	s_or_b64 exec, exec, s[30:31]
	v_cndmask_b32_e64 v42, v42, v46, s[28:29]
	v_add_u32_e32 v46, 1, v92
	v_cndmask_b32_e64 v41, v41, v45, s[28:29]
	v_add_u32_e32 v45, 1, v85
	v_cndmask_b32_e64 v46, v46, v92, s[28:29]
	v_cndmask_b32_e64 v22, v22, v24, s[18:19]
	;; [unrolled: 1-line block ×4, first 2 shown]
	s_waitcnt lgkmcnt(0)
	v_cmp_lt_i64_e64 s[18:19], v[47:48], v[43:44]
	v_cndmask_b32_e64 v45, v85, v45, s[28:29]
	v_cndmask_b32_e64 v26, v26, v28, s[20:21]
	;; [unrolled: 1-line block ×4, first 2 shown]
	v_cmp_ge_i32_e64 s[20:21], v46, v67
	v_cndmask_b32_e64 v18, v18, v20, s[16:17]
	v_cndmask_b32_e64 v17, v17, v19, s[16:17]
	;; [unrolled: 1-line block ×3, first 2 shown]
	v_cmp_lt_i32_e64 s[16:17], v45, v68
	s_or_b64 s[18:19], s[20:21], s[18:19]
	v_cndmask_b32_e64 v29, v29, v31, s[22:23]
	v_cndmask_b32_e64 v31, v124, v58, s[22:23]
	s_and_b64 s[16:17], s[16:17], s[18:19]
	v_cndmask_b32_e64 v85, v92, v85, s[28:29]
	v_cndmask_b32_e64 v37, v37, v39, s[26:27]
	;; [unrolled: 1-line block ×5, first 2 shown]
	s_barrier
	ds_write2_b64 v51, v[9:10], v[13:14] offset1:1
	ds_write2_b64 v51, v[1:2], v[5:6] offset0:2 offset1:3
	ds_write2_b64 v51, v[11:12], v[15:16] offset0:4 offset1:5
	;; [unrolled: 1-line block ×3, first 2 shown]
	v_lshlrev_b32_e32 v1, 3, v24
	v_lshlrev_b32_e32 v2, 3, v23
	;; [unrolled: 1-line block ×4, first 2 shown]
	s_waitcnt lgkmcnt(0)
	s_barrier
	ds_read_b64 v[9:10], v1
	ds_read_b64 v[13:14], v2
	;; [unrolled: 1-line block ×4, first 2 shown]
	v_lshlrev_b32_e32 v0, 3, v0
	v_lshlrev_b32_e32 v3, 3, v39
	;; [unrolled: 1-line block ×4, first 2 shown]
	ds_read_b64 v[11:12], v0
	ds_read_b64 v[15:16], v3
	;; [unrolled: 1-line block ×4, first 2 shown]
	v_mov_b32_e32 v0, v77
	v_cndmask_b32_e64 v38, v38, v40, s[26:27]
	v_cndmask_b32_e64 v34, v34, v36, s[24:25]
	;; [unrolled: 1-line block ×6, first 2 shown]
	s_waitcnt lgkmcnt(0)
	s_barrier
	ds_write2_b64 v51, v[17:18], v[21:22] offset1:1
	ds_write2_b64 v51, v[25:26], v[29:30] offset0:2 offset1:3
	ds_write2_b64 v51, v[33:34], v[37:38] offset0:4 offset1:5
	;; [unrolled: 1-line block ×3, first 2 shown]
	s_waitcnt lgkmcnt(0)
	s_barrier
	s_and_saveexec_b64 s[18:19], s[4:5]
	s_cbranch_execz .LBB159_102
; %bb.99:                               ;   in Loop: Header=BB159_2 Depth=1
	buffer_load_dword v17, off, s[96:99], 0 offset:12 ; 4-byte Folded Reload
	s_mov_b64 s[20:21], 0
	v_mov_b32_e32 v0, v77
.LBB159_100:                            ;   Parent Loop BB159_2 Depth=1
                                        ; =>  This Inner Loop Header: Depth=2
	s_waitcnt vmcnt(0)
	v_sub_u32_e32 v18, v17, v0
	v_lshrrev_b32_e32 v18, 1, v18
	v_add_u32_e32 v22, v18, v0
	v_not_b32_e32 v19, v22
	v_lshl_add_u32 v18, v22, 3, v76
	v_lshl_add_u32 v20, v19, 3, v115
	ds_read_b64 v[18:19], v18
	ds_read_b64 v[20:21], v20
	v_add_u32_e32 v23, 1, v22
	s_waitcnt lgkmcnt(0)
	v_cmp_lt_i64_e64 s[16:17], v[20:21], v[18:19]
	v_cndmask_b32_e64 v17, v17, v22, s[16:17]
	v_cndmask_b32_e64 v0, v23, v0, s[16:17]
	v_cmp_ge_i32_e64 s[16:17], v0, v17
	s_or_b64 s[20:21], s[16:17], s[20:21]
	s_andn2_b64 exec, exec, s[20:21]
	s_cbranch_execnz .LBB159_100
; %bb.101:                              ;   in Loop: Header=BB159_2 Depth=1
	s_or_b64 exec, exec, s[20:21]
.LBB159_102:                            ;   in Loop: Header=BB159_2 Depth=1
	s_or_b64 exec, exec, s[18:19]
	v_sub_u32_e32 v49, v79, v0
	v_lshl_add_u32 v23, v0, 3, v76
	v_lshlrev_b32_e32 v25, 3, v49
	ds_read_b64 v[17:18], v23
	ds_read_b64 v[19:20], v25
	v_add_u32_e32 v50, v0, v73
	v_cmp_le_i32_e64 s[20:21], v74, v50
	v_cmp_gt_i32_e64 s[16:17], v75, v49
                                        ; implicit-def: $vgpr21_vgpr22
	s_waitcnt lgkmcnt(0)
	v_cmp_lt_i64_e64 s[18:19], v[19:20], v[17:18]
	s_or_b64 s[18:19], s[20:21], s[18:19]
	s_and_b64 s[16:17], s[16:17], s[18:19]
	s_xor_b64 s[18:19], s[16:17], -1
	s_and_saveexec_b64 s[20:21], s[18:19]
	s_xor_b64 s[18:19], exec, s[20:21]
; %bb.103:                              ;   in Loop: Header=BB159_2 Depth=1
	ds_read_b64 v[21:22], v23 offset:8
                                        ; implicit-def: $vgpr25
; %bb.104:                              ;   in Loop: Header=BB159_2 Depth=1
	s_or_saveexec_b64 s[18:19], s[18:19]
	v_mov_b32_e32 v24, v20
	v_mov_b32_e32 v23, v19
	s_xor_b64 exec, exec, s[18:19]
	s_cbranch_execz .LBB159_106
; %bb.105:                              ;   in Loop: Header=BB159_2 Depth=1
	ds_read_b64 v[23:24], v25 offset:8
	s_waitcnt lgkmcnt(1)
	v_mov_b32_e32 v22, v18
	v_mov_b32_e32 v21, v17
.LBB159_106:                            ;   in Loop: Header=BB159_2 Depth=1
	s_or_b64 exec, exec, s[18:19]
	v_add_u32_e32 v25, 1, v50
	v_add_u32_e32 v0, 1, v49
	v_cndmask_b32_e64 v121, v25, v50, s[16:17]
	s_waitcnt lgkmcnt(0)
	v_cmp_lt_i64_e64 s[20:21], v[23:24], v[21:22]
	v_cndmask_b32_e64 v120, v49, v0, s[16:17]
	v_cmp_ge_i32_e64 s[22:23], v121, v74
	v_cmp_lt_i32_e64 s[18:19], v120, v75
	s_or_b64 s[20:21], s[22:23], s[20:21]
	s_and_b64 s[18:19], s[18:19], s[20:21]
	s_xor_b64 s[20:21], s[18:19], -1
                                        ; implicit-def: $vgpr25_vgpr26
	s_and_saveexec_b64 s[22:23], s[20:21]
	s_xor_b64 s[20:21], exec, s[22:23]
; %bb.107:                              ;   in Loop: Header=BB159_2 Depth=1
	v_lshlrev_b32_e32 v0, 3, v121
	ds_read_b64 v[25:26], v0 offset:8
; %bb.108:                              ;   in Loop: Header=BB159_2 Depth=1
	s_or_saveexec_b64 s[20:21], s[20:21]
	v_mov_b32_e32 v28, v24
	v_mov_b32_e32 v27, v23
	s_xor_b64 exec, exec, s[20:21]
	s_cbranch_execz .LBB159_110
; %bb.109:                              ;   in Loop: Header=BB159_2 Depth=1
	v_lshlrev_b32_e32 v0, 3, v120
	ds_read_b64 v[27:28], v0 offset:8
	s_waitcnt lgkmcnt(1)
	v_mov_b32_e32 v26, v22
	v_mov_b32_e32 v25, v21
.LBB159_110:                            ;   in Loop: Header=BB159_2 Depth=1
	s_or_b64 exec, exec, s[20:21]
	v_add_u32_e32 v29, 1, v121
	v_add_u32_e32 v0, 1, v120
	v_cndmask_b32_e64 v123, v29, v121, s[18:19]
	s_waitcnt lgkmcnt(0)
	v_cmp_lt_i64_e64 s[22:23], v[27:28], v[25:26]
	v_cndmask_b32_e64 v122, v120, v0, s[18:19]
	v_cmp_ge_i32_e64 s[24:25], v123, v74
	v_cmp_lt_i32_e64 s[20:21], v122, v75
	s_or_b64 s[22:23], s[24:25], s[22:23]
	s_and_b64 s[20:21], s[20:21], s[22:23]
	s_xor_b64 s[22:23], s[20:21], -1
                                        ; implicit-def: $vgpr29_vgpr30
	s_and_saveexec_b64 s[24:25], s[22:23]
	s_xor_b64 s[22:23], exec, s[24:25]
; %bb.111:                              ;   in Loop: Header=BB159_2 Depth=1
	v_lshlrev_b32_e32 v0, 3, v123
	ds_read_b64 v[29:30], v0 offset:8
; %bb.112:                              ;   in Loop: Header=BB159_2 Depth=1
	s_or_saveexec_b64 s[22:23], s[22:23]
	v_mov_b32_e32 v32, v28
	v_mov_b32_e32 v31, v27
	s_xor_b64 exec, exec, s[22:23]
	s_cbranch_execz .LBB159_114
; %bb.113:                              ;   in Loop: Header=BB159_2 Depth=1
	v_lshlrev_b32_e32 v0, 3, v122
	ds_read_b64 v[31:32], v0 offset:8
	s_waitcnt lgkmcnt(1)
	v_mov_b32_e32 v30, v26
	v_mov_b32_e32 v29, v25
.LBB159_114:                            ;   in Loop: Header=BB159_2 Depth=1
	s_or_b64 exec, exec, s[22:23]
	v_add_u32_e32 v33, 1, v123
	v_add_u32_e32 v0, 1, v122
	v_cndmask_b32_e64 v124, v33, v123, s[20:21]
	s_waitcnt lgkmcnt(0)
	v_cmp_lt_i64_e64 s[24:25], v[31:32], v[29:30]
	v_cndmask_b32_e64 v58, v122, v0, s[20:21]
	v_cmp_ge_i32_e64 s[26:27], v124, v74
	v_cmp_lt_i32_e64 s[22:23], v58, v75
	s_or_b64 s[24:25], s[26:27], s[24:25]
	s_and_b64 s[22:23], s[22:23], s[24:25]
	s_xor_b64 s[24:25], s[22:23], -1
                                        ; implicit-def: $vgpr33_vgpr34
	s_and_saveexec_b64 s[26:27], s[24:25]
	s_xor_b64 s[24:25], exec, s[26:27]
; %bb.115:                              ;   in Loop: Header=BB159_2 Depth=1
	v_lshlrev_b32_e32 v0, 3, v124
	ds_read_b64 v[33:34], v0 offset:8
; %bb.116:                              ;   in Loop: Header=BB159_2 Depth=1
	s_or_saveexec_b64 s[24:25], s[24:25]
	v_mov_b32_e32 v36, v32
	v_mov_b32_e32 v35, v31
	s_xor_b64 exec, exec, s[24:25]
	s_cbranch_execz .LBB159_118
; %bb.117:                              ;   in Loop: Header=BB159_2 Depth=1
	v_lshlrev_b32_e32 v0, 3, v58
	ds_read_b64 v[35:36], v0 offset:8
	s_waitcnt lgkmcnt(1)
	v_mov_b32_e32 v34, v30
	v_mov_b32_e32 v33, v29
.LBB159_118:                            ;   in Loop: Header=BB159_2 Depth=1
	s_or_b64 exec, exec, s[24:25]
	v_add_u32_e32 v37, 1, v124
	v_add_u32_e32 v0, 1, v58
	v_cndmask_b32_e64 v64, v37, v124, s[22:23]
	s_waitcnt lgkmcnt(0)
	v_cmp_lt_i64_e64 s[26:27], v[35:36], v[33:34]
	v_cndmask_b32_e64 v0, v58, v0, s[22:23]
	v_cmp_ge_i32_e64 s[28:29], v64, v74
	v_cmp_lt_i32_e64 s[24:25], v0, v75
	s_or_b64 s[26:27], s[28:29], s[26:27]
	s_and_b64 s[24:25], s[24:25], s[26:27]
	s_xor_b64 s[26:27], s[24:25], -1
                                        ; implicit-def: $vgpr37_vgpr38
	s_and_saveexec_b64 s[28:29], s[26:27]
	s_xor_b64 s[26:27], exec, s[28:29]
; %bb.119:                              ;   in Loop: Header=BB159_2 Depth=1
	v_lshlrev_b32_e32 v37, 3, v64
	ds_read_b64 v[37:38], v37 offset:8
; %bb.120:                              ;   in Loop: Header=BB159_2 Depth=1
	s_or_saveexec_b64 s[26:27], s[26:27]
	v_mov_b32_e32 v40, v36
	v_mov_b32_e32 v39, v35
	s_xor_b64 exec, exec, s[26:27]
	s_cbranch_execz .LBB159_122
; %bb.121:                              ;   in Loop: Header=BB159_2 Depth=1
	s_waitcnt lgkmcnt(0)
	v_lshlrev_b32_e32 v37, 3, v0
	ds_read_b64 v[39:40], v37 offset:8
	v_mov_b32_e32 v38, v34
	v_mov_b32_e32 v37, v33
.LBB159_122:                            ;   in Loop: Header=BB159_2 Depth=1
	s_or_b64 exec, exec, s[26:27]
	v_add_u32_e32 v42, 1, v64
	v_add_u32_e32 v41, 1, v0
	v_cndmask_b32_e64 v78, v42, v64, s[24:25]
	s_waitcnt lgkmcnt(0)
	v_cmp_lt_i64_e64 s[28:29], v[39:40], v[37:38]
	v_cndmask_b32_e64 v71, v0, v41, s[24:25]
	v_cmp_ge_i32_e64 s[30:31], v78, v74
	v_cmp_lt_i32_e64 s[26:27], v71, v75
	s_or_b64 s[28:29], s[30:31], s[28:29]
	s_and_b64 s[26:27], s[26:27], s[28:29]
	s_xor_b64 s[28:29], s[26:27], -1
                                        ; implicit-def: $vgpr41_vgpr42
	s_and_saveexec_b64 s[30:31], s[28:29]
	s_xor_b64 s[28:29], exec, s[30:31]
; %bb.123:                              ;   in Loop: Header=BB159_2 Depth=1
	v_lshlrev_b32_e32 v41, 3, v78
	ds_read_b64 v[41:42], v41 offset:8
; %bb.124:                              ;   in Loop: Header=BB159_2 Depth=1
	s_or_saveexec_b64 s[28:29], s[28:29]
	v_mov_b32_e32 v46, v40
	v_mov_b32_e32 v45, v39
	s_xor_b64 exec, exec, s[28:29]
	s_cbranch_execz .LBB159_126
; %bb.125:                              ;   in Loop: Header=BB159_2 Depth=1
	s_waitcnt lgkmcnt(0)
	v_lshlrev_b32_e32 v41, 3, v71
	ds_read_b64 v[45:46], v41 offset:8
	v_mov_b32_e32 v42, v38
	v_mov_b32_e32 v41, v37
.LBB159_126:                            ;   in Loop: Header=BB159_2 Depth=1
	s_or_b64 exec, exec, s[28:29]
	v_add_u32_e32 v44, 1, v78
	v_add_u32_e32 v43, 1, v71
	v_cndmask_b32_e64 v92, v44, v78, s[26:27]
	s_waitcnt lgkmcnt(0)
	v_cmp_lt_i64_e64 s[30:31], v[45:46], v[41:42]
	v_cndmask_b32_e64 v85, v71, v43, s[26:27]
	v_cmp_ge_i32_e64 s[34:35], v92, v74
	v_cmp_lt_i32_e64 s[28:29], v85, v75
	s_or_b64 s[30:31], s[34:35], s[30:31]
	s_and_b64 s[28:29], s[28:29], s[30:31]
	s_xor_b64 s[30:31], s[28:29], -1
                                        ; implicit-def: $vgpr43_vgpr44
	s_and_saveexec_b64 s[34:35], s[30:31]
	s_xor_b64 s[30:31], exec, s[34:35]
; %bb.127:                              ;   in Loop: Header=BB159_2 Depth=1
	v_lshlrev_b32_e32 v43, 3, v92
	ds_read_b64 v[43:44], v43 offset:8
; %bb.128:                              ;   in Loop: Header=BB159_2 Depth=1
	s_or_saveexec_b64 s[30:31], s[30:31]
	v_mov_b32_e32 v48, v46
	v_mov_b32_e32 v47, v45
	s_xor_b64 exec, exec, s[30:31]
	s_cbranch_execz .LBB159_130
; %bb.129:                              ;   in Loop: Header=BB159_2 Depth=1
	s_waitcnt lgkmcnt(0)
	v_lshlrev_b32_e32 v43, 3, v85
	ds_read_b64 v[47:48], v43 offset:8
	v_mov_b32_e32 v44, v42
	v_mov_b32_e32 v43, v41
.LBB159_130:                            ;   in Loop: Header=BB159_2 Depth=1
	s_or_b64 exec, exec, s[30:31]
	v_cndmask_b32_e64 v42, v42, v46, s[28:29]
	v_add_u32_e32 v46, 1, v92
	v_cndmask_b32_e64 v41, v41, v45, s[28:29]
	v_add_u32_e32 v45, 1, v85
	v_cndmask_b32_e64 v46, v46, v92, s[28:29]
	v_cndmask_b32_e64 v22, v22, v24, s[18:19]
	;; [unrolled: 1-line block ×4, first 2 shown]
	s_waitcnt lgkmcnt(0)
	v_cmp_lt_i64_e64 s[18:19], v[47:48], v[43:44]
	v_cndmask_b32_e64 v45, v85, v45, s[28:29]
	v_cndmask_b32_e64 v26, v26, v28, s[20:21]
	;; [unrolled: 1-line block ×4, first 2 shown]
	v_cmp_ge_i32_e64 s[20:21], v46, v74
	v_cndmask_b32_e64 v18, v18, v20, s[16:17]
	v_cndmask_b32_e64 v17, v17, v19, s[16:17]
	;; [unrolled: 1-line block ×3, first 2 shown]
	v_cmp_lt_i32_e64 s[16:17], v45, v75
	s_or_b64 s[18:19], s[20:21], s[18:19]
	v_cndmask_b32_e64 v29, v29, v31, s[22:23]
	v_cndmask_b32_e64 v31, v124, v58, s[22:23]
	s_and_b64 s[16:17], s[16:17], s[18:19]
	v_cndmask_b32_e64 v85, v92, v85, s[28:29]
	v_cndmask_b32_e64 v37, v37, v39, s[26:27]
	;; [unrolled: 1-line block ×5, first 2 shown]
	s_barrier
	ds_write2_b64 v51, v[9:10], v[13:14] offset1:1
	ds_write2_b64 v51, v[1:2], v[5:6] offset0:2 offset1:3
	ds_write2_b64 v51, v[11:12], v[15:16] offset0:4 offset1:5
	;; [unrolled: 1-line block ×3, first 2 shown]
	v_lshlrev_b32_e32 v1, 3, v24
	v_lshlrev_b32_e32 v2, 3, v23
	;; [unrolled: 1-line block ×4, first 2 shown]
	s_waitcnt lgkmcnt(0)
	s_barrier
	ds_read_b64 v[9:10], v1
	ds_read_b64 v[13:14], v2
	;; [unrolled: 1-line block ×4, first 2 shown]
	v_lshlrev_b32_e32 v0, 3, v0
	v_lshlrev_b32_e32 v3, 3, v39
	;; [unrolled: 1-line block ×4, first 2 shown]
	ds_read_b64 v[11:12], v0
	ds_read_b64 v[15:16], v3
	;; [unrolled: 1-line block ×4, first 2 shown]
	v_mov_b32_e32 v0, v84
	v_cndmask_b32_e64 v38, v38, v40, s[26:27]
	v_cndmask_b32_e64 v34, v34, v36, s[24:25]
	;; [unrolled: 1-line block ×6, first 2 shown]
	s_waitcnt lgkmcnt(0)
	s_barrier
	ds_write2_b64 v51, v[17:18], v[21:22] offset1:1
	ds_write2_b64 v51, v[25:26], v[29:30] offset0:2 offset1:3
	ds_write2_b64 v51, v[33:34], v[37:38] offset0:4 offset1:5
	ds_write2_b64 v51, v[41:42], v[19:20] offset0:6 offset1:7
	s_waitcnt lgkmcnt(0)
	s_barrier
	s_and_saveexec_b64 s[18:19], s[6:7]
	s_cbranch_execz .LBB159_134
; %bb.131:                              ;   in Loop: Header=BB159_2 Depth=1
	buffer_load_dword v17, off, s[96:99], 0 offset:16 ; 4-byte Folded Reload
	s_mov_b64 s[20:21], 0
	v_mov_b32_e32 v0, v84
.LBB159_132:                            ;   Parent Loop BB159_2 Depth=1
                                        ; =>  This Inner Loop Header: Depth=2
	s_waitcnt vmcnt(0)
	v_sub_u32_e32 v18, v17, v0
	v_lshrrev_b32_e32 v18, 1, v18
	v_add_u32_e32 v22, v18, v0
	v_not_b32_e32 v19, v22
	v_lshl_add_u32 v18, v22, 3, v83
	v_lshl_add_u32 v20, v19, 3, v116
	ds_read_b64 v[18:19], v18
	ds_read_b64 v[20:21], v20
	v_add_u32_e32 v23, 1, v22
	s_waitcnt lgkmcnt(0)
	v_cmp_lt_i64_e64 s[16:17], v[20:21], v[18:19]
	v_cndmask_b32_e64 v17, v17, v22, s[16:17]
	v_cndmask_b32_e64 v0, v23, v0, s[16:17]
	v_cmp_ge_i32_e64 s[16:17], v0, v17
	s_or_b64 s[20:21], s[16:17], s[20:21]
	s_andn2_b64 exec, exec, s[20:21]
	s_cbranch_execnz .LBB159_132
; %bb.133:                              ;   in Loop: Header=BB159_2 Depth=1
	s_or_b64 exec, exec, s[20:21]
.LBB159_134:                            ;   in Loop: Header=BB159_2 Depth=1
	s_or_b64 exec, exec, s[18:19]
	v_sub_u32_e32 v49, v86, v0
	v_lshl_add_u32 v23, v0, 3, v83
	v_lshlrev_b32_e32 v25, 3, v49
	ds_read_b64 v[17:18], v23
	ds_read_b64 v[19:20], v25
	v_add_u32_e32 v50, v0, v80
	v_cmp_le_i32_e64 s[20:21], v81, v50
	v_cmp_gt_i32_e64 s[16:17], v82, v49
                                        ; implicit-def: $vgpr21_vgpr22
	s_waitcnt lgkmcnt(0)
	v_cmp_lt_i64_e64 s[18:19], v[19:20], v[17:18]
	s_or_b64 s[18:19], s[20:21], s[18:19]
	s_and_b64 s[16:17], s[16:17], s[18:19]
	s_xor_b64 s[18:19], s[16:17], -1
	s_and_saveexec_b64 s[20:21], s[18:19]
	s_xor_b64 s[18:19], exec, s[20:21]
; %bb.135:                              ;   in Loop: Header=BB159_2 Depth=1
	ds_read_b64 v[21:22], v23 offset:8
                                        ; implicit-def: $vgpr25
; %bb.136:                              ;   in Loop: Header=BB159_2 Depth=1
	s_or_saveexec_b64 s[18:19], s[18:19]
	v_mov_b32_e32 v24, v20
	v_mov_b32_e32 v23, v19
	s_xor_b64 exec, exec, s[18:19]
	s_cbranch_execz .LBB159_138
; %bb.137:                              ;   in Loop: Header=BB159_2 Depth=1
	ds_read_b64 v[23:24], v25 offset:8
	s_waitcnt lgkmcnt(1)
	v_mov_b32_e32 v22, v18
	v_mov_b32_e32 v21, v17
.LBB159_138:                            ;   in Loop: Header=BB159_2 Depth=1
	s_or_b64 exec, exec, s[18:19]
	v_add_u32_e32 v25, 1, v50
	v_add_u32_e32 v0, 1, v49
	v_cndmask_b32_e64 v121, v25, v50, s[16:17]
	s_waitcnt lgkmcnt(0)
	v_cmp_lt_i64_e64 s[20:21], v[23:24], v[21:22]
	v_cndmask_b32_e64 v120, v49, v0, s[16:17]
	v_cmp_ge_i32_e64 s[22:23], v121, v81
	v_cmp_lt_i32_e64 s[18:19], v120, v82
	s_or_b64 s[20:21], s[22:23], s[20:21]
	s_and_b64 s[18:19], s[18:19], s[20:21]
	s_xor_b64 s[20:21], s[18:19], -1
                                        ; implicit-def: $vgpr25_vgpr26
	s_and_saveexec_b64 s[22:23], s[20:21]
	s_xor_b64 s[20:21], exec, s[22:23]
; %bb.139:                              ;   in Loop: Header=BB159_2 Depth=1
	v_lshlrev_b32_e32 v0, 3, v121
	ds_read_b64 v[25:26], v0 offset:8
; %bb.140:                              ;   in Loop: Header=BB159_2 Depth=1
	s_or_saveexec_b64 s[20:21], s[20:21]
	v_mov_b32_e32 v28, v24
	v_mov_b32_e32 v27, v23
	s_xor_b64 exec, exec, s[20:21]
	s_cbranch_execz .LBB159_142
; %bb.141:                              ;   in Loop: Header=BB159_2 Depth=1
	v_lshlrev_b32_e32 v0, 3, v120
	ds_read_b64 v[27:28], v0 offset:8
	s_waitcnt lgkmcnt(1)
	v_mov_b32_e32 v26, v22
	v_mov_b32_e32 v25, v21
.LBB159_142:                            ;   in Loop: Header=BB159_2 Depth=1
	s_or_b64 exec, exec, s[20:21]
	v_add_u32_e32 v29, 1, v121
	v_add_u32_e32 v0, 1, v120
	v_cndmask_b32_e64 v123, v29, v121, s[18:19]
	s_waitcnt lgkmcnt(0)
	v_cmp_lt_i64_e64 s[22:23], v[27:28], v[25:26]
	v_cndmask_b32_e64 v122, v120, v0, s[18:19]
	v_cmp_ge_i32_e64 s[24:25], v123, v81
	v_cmp_lt_i32_e64 s[20:21], v122, v82
	s_or_b64 s[22:23], s[24:25], s[22:23]
	s_and_b64 s[20:21], s[20:21], s[22:23]
	s_xor_b64 s[22:23], s[20:21], -1
                                        ; implicit-def: $vgpr29_vgpr30
	s_and_saveexec_b64 s[24:25], s[22:23]
	s_xor_b64 s[22:23], exec, s[24:25]
; %bb.143:                              ;   in Loop: Header=BB159_2 Depth=1
	v_lshlrev_b32_e32 v0, 3, v123
	ds_read_b64 v[29:30], v0 offset:8
; %bb.144:                              ;   in Loop: Header=BB159_2 Depth=1
	s_or_saveexec_b64 s[22:23], s[22:23]
	v_mov_b32_e32 v32, v28
	v_mov_b32_e32 v31, v27
	s_xor_b64 exec, exec, s[22:23]
	s_cbranch_execz .LBB159_146
; %bb.145:                              ;   in Loop: Header=BB159_2 Depth=1
	v_lshlrev_b32_e32 v0, 3, v122
	ds_read_b64 v[31:32], v0 offset:8
	s_waitcnt lgkmcnt(1)
	v_mov_b32_e32 v30, v26
	v_mov_b32_e32 v29, v25
.LBB159_146:                            ;   in Loop: Header=BB159_2 Depth=1
	s_or_b64 exec, exec, s[22:23]
	v_add_u32_e32 v33, 1, v123
	v_add_u32_e32 v0, 1, v122
	v_cndmask_b32_e64 v124, v33, v123, s[20:21]
	s_waitcnt lgkmcnt(0)
	v_cmp_lt_i64_e64 s[24:25], v[31:32], v[29:30]
	v_cndmask_b32_e64 v58, v122, v0, s[20:21]
	v_cmp_ge_i32_e64 s[26:27], v124, v81
	v_cmp_lt_i32_e64 s[22:23], v58, v82
	s_or_b64 s[24:25], s[26:27], s[24:25]
	s_and_b64 s[22:23], s[22:23], s[24:25]
	s_xor_b64 s[24:25], s[22:23], -1
                                        ; implicit-def: $vgpr33_vgpr34
	s_and_saveexec_b64 s[26:27], s[24:25]
	s_xor_b64 s[24:25], exec, s[26:27]
; %bb.147:                              ;   in Loop: Header=BB159_2 Depth=1
	v_lshlrev_b32_e32 v0, 3, v124
	ds_read_b64 v[33:34], v0 offset:8
; %bb.148:                              ;   in Loop: Header=BB159_2 Depth=1
	s_or_saveexec_b64 s[24:25], s[24:25]
	v_mov_b32_e32 v36, v32
	v_mov_b32_e32 v35, v31
	s_xor_b64 exec, exec, s[24:25]
	s_cbranch_execz .LBB159_150
; %bb.149:                              ;   in Loop: Header=BB159_2 Depth=1
	v_lshlrev_b32_e32 v0, 3, v58
	ds_read_b64 v[35:36], v0 offset:8
	s_waitcnt lgkmcnt(1)
	v_mov_b32_e32 v34, v30
	v_mov_b32_e32 v33, v29
.LBB159_150:                            ;   in Loop: Header=BB159_2 Depth=1
	s_or_b64 exec, exec, s[24:25]
	v_add_u32_e32 v37, 1, v124
	v_add_u32_e32 v0, 1, v58
	v_cndmask_b32_e64 v64, v37, v124, s[22:23]
	s_waitcnt lgkmcnt(0)
	v_cmp_lt_i64_e64 s[26:27], v[35:36], v[33:34]
	v_cndmask_b32_e64 v0, v58, v0, s[22:23]
	v_cmp_ge_i32_e64 s[28:29], v64, v81
	v_cmp_lt_i32_e64 s[24:25], v0, v82
	s_or_b64 s[26:27], s[28:29], s[26:27]
	s_and_b64 s[24:25], s[24:25], s[26:27]
	s_xor_b64 s[26:27], s[24:25], -1
                                        ; implicit-def: $vgpr37_vgpr38
	s_and_saveexec_b64 s[28:29], s[26:27]
	s_xor_b64 s[26:27], exec, s[28:29]
; %bb.151:                              ;   in Loop: Header=BB159_2 Depth=1
	v_lshlrev_b32_e32 v37, 3, v64
	ds_read_b64 v[37:38], v37 offset:8
; %bb.152:                              ;   in Loop: Header=BB159_2 Depth=1
	s_or_saveexec_b64 s[26:27], s[26:27]
	v_mov_b32_e32 v40, v36
	v_mov_b32_e32 v39, v35
	s_xor_b64 exec, exec, s[26:27]
	s_cbranch_execz .LBB159_154
; %bb.153:                              ;   in Loop: Header=BB159_2 Depth=1
	s_waitcnt lgkmcnt(0)
	v_lshlrev_b32_e32 v37, 3, v0
	ds_read_b64 v[39:40], v37 offset:8
	v_mov_b32_e32 v38, v34
	v_mov_b32_e32 v37, v33
.LBB159_154:                            ;   in Loop: Header=BB159_2 Depth=1
	s_or_b64 exec, exec, s[26:27]
	v_add_u32_e32 v42, 1, v64
	v_add_u32_e32 v41, 1, v0
	v_cndmask_b32_e64 v78, v42, v64, s[24:25]
	s_waitcnt lgkmcnt(0)
	v_cmp_lt_i64_e64 s[28:29], v[39:40], v[37:38]
	v_cndmask_b32_e64 v71, v0, v41, s[24:25]
	v_cmp_ge_i32_e64 s[30:31], v78, v81
	v_cmp_lt_i32_e64 s[26:27], v71, v82
	s_or_b64 s[28:29], s[30:31], s[28:29]
	s_and_b64 s[26:27], s[26:27], s[28:29]
	s_xor_b64 s[28:29], s[26:27], -1
                                        ; implicit-def: $vgpr41_vgpr42
	s_and_saveexec_b64 s[30:31], s[28:29]
	s_xor_b64 s[28:29], exec, s[30:31]
; %bb.155:                              ;   in Loop: Header=BB159_2 Depth=1
	v_lshlrev_b32_e32 v41, 3, v78
	ds_read_b64 v[41:42], v41 offset:8
; %bb.156:                              ;   in Loop: Header=BB159_2 Depth=1
	s_or_saveexec_b64 s[28:29], s[28:29]
	v_mov_b32_e32 v46, v40
	v_mov_b32_e32 v45, v39
	s_xor_b64 exec, exec, s[28:29]
	s_cbranch_execz .LBB159_158
; %bb.157:                              ;   in Loop: Header=BB159_2 Depth=1
	s_waitcnt lgkmcnt(0)
	v_lshlrev_b32_e32 v41, 3, v71
	ds_read_b64 v[45:46], v41 offset:8
	v_mov_b32_e32 v42, v38
	v_mov_b32_e32 v41, v37
.LBB159_158:                            ;   in Loop: Header=BB159_2 Depth=1
	s_or_b64 exec, exec, s[28:29]
	v_add_u32_e32 v44, 1, v78
	v_add_u32_e32 v43, 1, v71
	v_cndmask_b32_e64 v92, v44, v78, s[26:27]
	s_waitcnt lgkmcnt(0)
	v_cmp_lt_i64_e64 s[30:31], v[45:46], v[41:42]
	v_cndmask_b32_e64 v85, v71, v43, s[26:27]
	v_cmp_ge_i32_e64 s[34:35], v92, v81
	v_cmp_lt_i32_e64 s[28:29], v85, v82
	s_or_b64 s[30:31], s[34:35], s[30:31]
	s_and_b64 s[28:29], s[28:29], s[30:31]
	s_xor_b64 s[30:31], s[28:29], -1
                                        ; implicit-def: $vgpr43_vgpr44
	s_and_saveexec_b64 s[34:35], s[30:31]
	s_xor_b64 s[30:31], exec, s[34:35]
; %bb.159:                              ;   in Loop: Header=BB159_2 Depth=1
	v_lshlrev_b32_e32 v43, 3, v92
	ds_read_b64 v[43:44], v43 offset:8
; %bb.160:                              ;   in Loop: Header=BB159_2 Depth=1
	s_or_saveexec_b64 s[30:31], s[30:31]
	v_mov_b32_e32 v48, v46
	v_mov_b32_e32 v47, v45
	s_xor_b64 exec, exec, s[30:31]
	s_cbranch_execz .LBB159_162
; %bb.161:                              ;   in Loop: Header=BB159_2 Depth=1
	s_waitcnt lgkmcnt(0)
	v_lshlrev_b32_e32 v43, 3, v85
	ds_read_b64 v[47:48], v43 offset:8
	v_mov_b32_e32 v44, v42
	v_mov_b32_e32 v43, v41
.LBB159_162:                            ;   in Loop: Header=BB159_2 Depth=1
	s_or_b64 exec, exec, s[30:31]
	v_cndmask_b32_e64 v42, v42, v46, s[28:29]
	v_add_u32_e32 v46, 1, v92
	v_cndmask_b32_e64 v41, v41, v45, s[28:29]
	v_add_u32_e32 v45, 1, v85
	v_cndmask_b32_e64 v46, v46, v92, s[28:29]
	v_cndmask_b32_e64 v22, v22, v24, s[18:19]
	;; [unrolled: 1-line block ×4, first 2 shown]
	s_waitcnt lgkmcnt(0)
	v_cmp_lt_i64_e64 s[18:19], v[47:48], v[43:44]
	v_cndmask_b32_e64 v45, v85, v45, s[28:29]
	v_cndmask_b32_e64 v26, v26, v28, s[20:21]
	;; [unrolled: 1-line block ×4, first 2 shown]
	v_cmp_ge_i32_e64 s[20:21], v46, v81
	v_cndmask_b32_e64 v18, v18, v20, s[16:17]
	v_cndmask_b32_e64 v17, v17, v19, s[16:17]
	v_cndmask_b32_e64 v24, v50, v49, s[16:17]
	v_cmp_lt_i32_e64 s[16:17], v45, v82
	s_or_b64 s[18:19], s[20:21], s[18:19]
	v_cndmask_b32_e64 v29, v29, v31, s[22:23]
	v_cndmask_b32_e64 v31, v124, v58, s[22:23]
	s_and_b64 s[16:17], s[16:17], s[18:19]
	v_cndmask_b32_e64 v85, v92, v85, s[28:29]
	v_cndmask_b32_e64 v37, v37, v39, s[26:27]
	;; [unrolled: 1-line block ×5, first 2 shown]
	s_barrier
	ds_write2_b64 v51, v[9:10], v[13:14] offset1:1
	ds_write2_b64 v51, v[1:2], v[5:6] offset0:2 offset1:3
	ds_write2_b64 v51, v[11:12], v[15:16] offset0:4 offset1:5
	;; [unrolled: 1-line block ×3, first 2 shown]
	v_lshlrev_b32_e32 v1, 3, v24
	v_lshlrev_b32_e32 v2, 3, v23
	v_lshlrev_b32_e32 v3, 3, v27
	v_lshlrev_b32_e32 v4, 3, v31
	s_waitcnt lgkmcnt(0)
	s_barrier
	ds_read_b64 v[9:10], v1
	ds_read_b64 v[13:14], v2
	;; [unrolled: 1-line block ×4, first 2 shown]
	v_lshlrev_b32_e32 v0, 3, v0
	v_lshlrev_b32_e32 v3, 3, v39
	;; [unrolled: 1-line block ×4, first 2 shown]
	ds_read_b64 v[11:12], v0
	ds_read_b64 v[15:16], v3
	;; [unrolled: 1-line block ×4, first 2 shown]
	v_mov_b32_e32 v0, v91
	v_cndmask_b32_e64 v38, v38, v40, s[26:27]
	v_cndmask_b32_e64 v34, v34, v36, s[24:25]
	v_cndmask_b32_e64 v33, v33, v35, s[24:25]
	v_cndmask_b32_e64 v30, v30, v32, s[22:23]
	v_cndmask_b32_e64 v20, v44, v48, s[16:17]
	v_cndmask_b32_e64 v19, v43, v47, s[16:17]
	s_waitcnt lgkmcnt(0)
	s_barrier
	ds_write2_b64 v51, v[17:18], v[21:22] offset1:1
	ds_write2_b64 v51, v[25:26], v[29:30] offset0:2 offset1:3
	ds_write2_b64 v51, v[33:34], v[37:38] offset0:4 offset1:5
	;; [unrolled: 1-line block ×3, first 2 shown]
	s_waitcnt lgkmcnt(0)
	s_barrier
	s_and_saveexec_b64 s[18:19], s[8:9]
	s_cbranch_execz .LBB159_166
; %bb.163:                              ;   in Loop: Header=BB159_2 Depth=1
	buffer_load_dword v17, off, s[96:99], 0 offset:20 ; 4-byte Folded Reload
	s_mov_b64 s[20:21], 0
	v_mov_b32_e32 v0, v91
.LBB159_164:                            ;   Parent Loop BB159_2 Depth=1
                                        ; =>  This Inner Loop Header: Depth=2
	s_waitcnt vmcnt(0)
	v_sub_u32_e32 v18, v17, v0
	v_lshrrev_b32_e32 v18, 1, v18
	v_add_u32_e32 v22, v18, v0
	v_not_b32_e32 v19, v22
	v_lshl_add_u32 v18, v22, 3, v90
	v_lshl_add_u32 v20, v19, 3, v117
	ds_read_b64 v[18:19], v18
	ds_read_b64 v[20:21], v20
	v_add_u32_e32 v23, 1, v22
	s_waitcnt lgkmcnt(0)
	v_cmp_lt_i64_e64 s[16:17], v[20:21], v[18:19]
	v_cndmask_b32_e64 v17, v17, v22, s[16:17]
	v_cndmask_b32_e64 v0, v23, v0, s[16:17]
	v_cmp_ge_i32_e64 s[16:17], v0, v17
	s_or_b64 s[20:21], s[16:17], s[20:21]
	s_andn2_b64 exec, exec, s[20:21]
	s_cbranch_execnz .LBB159_164
; %bb.165:                              ;   in Loop: Header=BB159_2 Depth=1
	s_or_b64 exec, exec, s[20:21]
.LBB159_166:                            ;   in Loop: Header=BB159_2 Depth=1
	s_or_b64 exec, exec, s[18:19]
	v_sub_u32_e32 v49, v93, v0
	v_lshl_add_u32 v23, v0, 3, v90
	v_lshlrev_b32_e32 v25, 3, v49
	ds_read_b64 v[17:18], v23
	ds_read_b64 v[19:20], v25
	v_add_u32_e32 v50, v0, v87
	v_cmp_le_i32_e64 s[20:21], v88, v50
	v_cmp_gt_i32_e64 s[16:17], v89, v49
                                        ; implicit-def: $vgpr21_vgpr22
	s_waitcnt lgkmcnt(0)
	v_cmp_lt_i64_e64 s[18:19], v[19:20], v[17:18]
	s_or_b64 s[18:19], s[20:21], s[18:19]
	s_and_b64 s[16:17], s[16:17], s[18:19]
	s_xor_b64 s[18:19], s[16:17], -1
	s_and_saveexec_b64 s[20:21], s[18:19]
	s_xor_b64 s[18:19], exec, s[20:21]
; %bb.167:                              ;   in Loop: Header=BB159_2 Depth=1
	ds_read_b64 v[21:22], v23 offset:8
                                        ; implicit-def: $vgpr25
; %bb.168:                              ;   in Loop: Header=BB159_2 Depth=1
	s_or_saveexec_b64 s[18:19], s[18:19]
	v_mov_b32_e32 v24, v20
	v_mov_b32_e32 v23, v19
	s_xor_b64 exec, exec, s[18:19]
	s_cbranch_execz .LBB159_170
; %bb.169:                              ;   in Loop: Header=BB159_2 Depth=1
	ds_read_b64 v[23:24], v25 offset:8
	s_waitcnt lgkmcnt(1)
	v_mov_b32_e32 v22, v18
	v_mov_b32_e32 v21, v17
.LBB159_170:                            ;   in Loop: Header=BB159_2 Depth=1
	s_or_b64 exec, exec, s[18:19]
	v_add_u32_e32 v25, 1, v50
	v_add_u32_e32 v0, 1, v49
	v_cndmask_b32_e64 v121, v25, v50, s[16:17]
	s_waitcnt lgkmcnt(0)
	v_cmp_lt_i64_e64 s[20:21], v[23:24], v[21:22]
	v_cndmask_b32_e64 v120, v49, v0, s[16:17]
	v_cmp_ge_i32_e64 s[22:23], v121, v88
	v_cmp_lt_i32_e64 s[18:19], v120, v89
	s_or_b64 s[20:21], s[22:23], s[20:21]
	s_and_b64 s[18:19], s[18:19], s[20:21]
	s_xor_b64 s[20:21], s[18:19], -1
                                        ; implicit-def: $vgpr25_vgpr26
	s_and_saveexec_b64 s[22:23], s[20:21]
	s_xor_b64 s[20:21], exec, s[22:23]
; %bb.171:                              ;   in Loop: Header=BB159_2 Depth=1
	v_lshlrev_b32_e32 v0, 3, v121
	ds_read_b64 v[25:26], v0 offset:8
; %bb.172:                              ;   in Loop: Header=BB159_2 Depth=1
	s_or_saveexec_b64 s[20:21], s[20:21]
	v_mov_b32_e32 v28, v24
	v_mov_b32_e32 v27, v23
	s_xor_b64 exec, exec, s[20:21]
	s_cbranch_execz .LBB159_174
; %bb.173:                              ;   in Loop: Header=BB159_2 Depth=1
	v_lshlrev_b32_e32 v0, 3, v120
	ds_read_b64 v[27:28], v0 offset:8
	s_waitcnt lgkmcnt(1)
	v_mov_b32_e32 v26, v22
	v_mov_b32_e32 v25, v21
.LBB159_174:                            ;   in Loop: Header=BB159_2 Depth=1
	s_or_b64 exec, exec, s[20:21]
	v_add_u32_e32 v29, 1, v121
	v_add_u32_e32 v0, 1, v120
	v_cndmask_b32_e64 v123, v29, v121, s[18:19]
	s_waitcnt lgkmcnt(0)
	v_cmp_lt_i64_e64 s[22:23], v[27:28], v[25:26]
	v_cndmask_b32_e64 v122, v120, v0, s[18:19]
	v_cmp_ge_i32_e64 s[24:25], v123, v88
	v_cmp_lt_i32_e64 s[20:21], v122, v89
	s_or_b64 s[22:23], s[24:25], s[22:23]
	s_and_b64 s[20:21], s[20:21], s[22:23]
	s_xor_b64 s[22:23], s[20:21], -1
                                        ; implicit-def: $vgpr29_vgpr30
	s_and_saveexec_b64 s[24:25], s[22:23]
	s_xor_b64 s[22:23], exec, s[24:25]
; %bb.175:                              ;   in Loop: Header=BB159_2 Depth=1
	v_lshlrev_b32_e32 v0, 3, v123
	ds_read_b64 v[29:30], v0 offset:8
; %bb.176:                              ;   in Loop: Header=BB159_2 Depth=1
	s_or_saveexec_b64 s[22:23], s[22:23]
	v_mov_b32_e32 v32, v28
	v_mov_b32_e32 v31, v27
	s_xor_b64 exec, exec, s[22:23]
	s_cbranch_execz .LBB159_178
; %bb.177:                              ;   in Loop: Header=BB159_2 Depth=1
	v_lshlrev_b32_e32 v0, 3, v122
	ds_read_b64 v[31:32], v0 offset:8
	s_waitcnt lgkmcnt(1)
	v_mov_b32_e32 v30, v26
	v_mov_b32_e32 v29, v25
.LBB159_178:                            ;   in Loop: Header=BB159_2 Depth=1
	s_or_b64 exec, exec, s[22:23]
	v_add_u32_e32 v33, 1, v123
	v_add_u32_e32 v0, 1, v122
	v_cndmask_b32_e64 v124, v33, v123, s[20:21]
	s_waitcnt lgkmcnt(0)
	v_cmp_lt_i64_e64 s[24:25], v[31:32], v[29:30]
	v_cndmask_b32_e64 v58, v122, v0, s[20:21]
	v_cmp_ge_i32_e64 s[26:27], v124, v88
	v_cmp_lt_i32_e64 s[22:23], v58, v89
	s_or_b64 s[24:25], s[26:27], s[24:25]
	s_and_b64 s[22:23], s[22:23], s[24:25]
	s_xor_b64 s[24:25], s[22:23], -1
                                        ; implicit-def: $vgpr33_vgpr34
	s_and_saveexec_b64 s[26:27], s[24:25]
	s_xor_b64 s[24:25], exec, s[26:27]
; %bb.179:                              ;   in Loop: Header=BB159_2 Depth=1
	v_lshlrev_b32_e32 v0, 3, v124
	ds_read_b64 v[33:34], v0 offset:8
; %bb.180:                              ;   in Loop: Header=BB159_2 Depth=1
	s_or_saveexec_b64 s[24:25], s[24:25]
	v_mov_b32_e32 v36, v32
	v_mov_b32_e32 v35, v31
	s_xor_b64 exec, exec, s[24:25]
	s_cbranch_execz .LBB159_182
; %bb.181:                              ;   in Loop: Header=BB159_2 Depth=1
	v_lshlrev_b32_e32 v0, 3, v58
	ds_read_b64 v[35:36], v0 offset:8
	s_waitcnt lgkmcnt(1)
	v_mov_b32_e32 v34, v30
	v_mov_b32_e32 v33, v29
.LBB159_182:                            ;   in Loop: Header=BB159_2 Depth=1
	s_or_b64 exec, exec, s[24:25]
	v_add_u32_e32 v37, 1, v124
	v_add_u32_e32 v0, 1, v58
	v_cndmask_b32_e64 v64, v37, v124, s[22:23]
	s_waitcnt lgkmcnt(0)
	v_cmp_lt_i64_e64 s[26:27], v[35:36], v[33:34]
	v_cndmask_b32_e64 v0, v58, v0, s[22:23]
	v_cmp_ge_i32_e64 s[28:29], v64, v88
	v_cmp_lt_i32_e64 s[24:25], v0, v89
	s_or_b64 s[26:27], s[28:29], s[26:27]
	s_and_b64 s[24:25], s[24:25], s[26:27]
	s_xor_b64 s[26:27], s[24:25], -1
                                        ; implicit-def: $vgpr37_vgpr38
	s_and_saveexec_b64 s[28:29], s[26:27]
	s_xor_b64 s[26:27], exec, s[28:29]
; %bb.183:                              ;   in Loop: Header=BB159_2 Depth=1
	v_lshlrev_b32_e32 v37, 3, v64
	ds_read_b64 v[37:38], v37 offset:8
; %bb.184:                              ;   in Loop: Header=BB159_2 Depth=1
	s_or_saveexec_b64 s[26:27], s[26:27]
	v_mov_b32_e32 v40, v36
	v_mov_b32_e32 v39, v35
	s_xor_b64 exec, exec, s[26:27]
	s_cbranch_execz .LBB159_186
; %bb.185:                              ;   in Loop: Header=BB159_2 Depth=1
	s_waitcnt lgkmcnt(0)
	v_lshlrev_b32_e32 v37, 3, v0
	ds_read_b64 v[39:40], v37 offset:8
	v_mov_b32_e32 v38, v34
	v_mov_b32_e32 v37, v33
.LBB159_186:                            ;   in Loop: Header=BB159_2 Depth=1
	s_or_b64 exec, exec, s[26:27]
	v_add_u32_e32 v42, 1, v64
	v_add_u32_e32 v41, 1, v0
	v_cndmask_b32_e64 v78, v42, v64, s[24:25]
	s_waitcnt lgkmcnt(0)
	v_cmp_lt_i64_e64 s[28:29], v[39:40], v[37:38]
	v_cndmask_b32_e64 v71, v0, v41, s[24:25]
	v_cmp_ge_i32_e64 s[30:31], v78, v88
	v_cmp_lt_i32_e64 s[26:27], v71, v89
	s_or_b64 s[28:29], s[30:31], s[28:29]
	s_and_b64 s[26:27], s[26:27], s[28:29]
	s_xor_b64 s[28:29], s[26:27], -1
                                        ; implicit-def: $vgpr41_vgpr42
	s_and_saveexec_b64 s[30:31], s[28:29]
	s_xor_b64 s[28:29], exec, s[30:31]
; %bb.187:                              ;   in Loop: Header=BB159_2 Depth=1
	v_lshlrev_b32_e32 v41, 3, v78
	ds_read_b64 v[41:42], v41 offset:8
; %bb.188:                              ;   in Loop: Header=BB159_2 Depth=1
	s_or_saveexec_b64 s[28:29], s[28:29]
	v_mov_b32_e32 v46, v40
	v_mov_b32_e32 v45, v39
	s_xor_b64 exec, exec, s[28:29]
	s_cbranch_execz .LBB159_190
; %bb.189:                              ;   in Loop: Header=BB159_2 Depth=1
	s_waitcnt lgkmcnt(0)
	v_lshlrev_b32_e32 v41, 3, v71
	ds_read_b64 v[45:46], v41 offset:8
	v_mov_b32_e32 v42, v38
	v_mov_b32_e32 v41, v37
.LBB159_190:                            ;   in Loop: Header=BB159_2 Depth=1
	s_or_b64 exec, exec, s[28:29]
	v_add_u32_e32 v44, 1, v78
	v_add_u32_e32 v43, 1, v71
	v_cndmask_b32_e64 v92, v44, v78, s[26:27]
	s_waitcnt lgkmcnt(0)
	v_cmp_lt_i64_e64 s[30:31], v[45:46], v[41:42]
	v_cndmask_b32_e64 v85, v71, v43, s[26:27]
	v_cmp_ge_i32_e64 s[34:35], v92, v88
	v_cmp_lt_i32_e64 s[28:29], v85, v89
	s_or_b64 s[30:31], s[34:35], s[30:31]
	s_and_b64 s[28:29], s[28:29], s[30:31]
	s_xor_b64 s[30:31], s[28:29], -1
                                        ; implicit-def: $vgpr43_vgpr44
	s_and_saveexec_b64 s[34:35], s[30:31]
	s_xor_b64 s[30:31], exec, s[34:35]
; %bb.191:                              ;   in Loop: Header=BB159_2 Depth=1
	v_lshlrev_b32_e32 v43, 3, v92
	ds_read_b64 v[43:44], v43 offset:8
; %bb.192:                              ;   in Loop: Header=BB159_2 Depth=1
	s_or_saveexec_b64 s[30:31], s[30:31]
	v_mov_b32_e32 v48, v46
	v_mov_b32_e32 v47, v45
	s_xor_b64 exec, exec, s[30:31]
	s_cbranch_execz .LBB159_194
; %bb.193:                              ;   in Loop: Header=BB159_2 Depth=1
	s_waitcnt lgkmcnt(0)
	v_lshlrev_b32_e32 v43, 3, v85
	ds_read_b64 v[47:48], v43 offset:8
	v_mov_b32_e32 v44, v42
	v_mov_b32_e32 v43, v41
.LBB159_194:                            ;   in Loop: Header=BB159_2 Depth=1
	s_or_b64 exec, exec, s[30:31]
	v_cndmask_b32_e64 v42, v42, v46, s[28:29]
	v_add_u32_e32 v46, 1, v92
	v_cndmask_b32_e64 v41, v41, v45, s[28:29]
	v_add_u32_e32 v45, 1, v85
	v_cndmask_b32_e64 v46, v46, v92, s[28:29]
	v_cndmask_b32_e64 v22, v22, v24, s[18:19]
	;; [unrolled: 1-line block ×4, first 2 shown]
	s_waitcnt lgkmcnt(0)
	v_cmp_lt_i64_e64 s[18:19], v[47:48], v[43:44]
	v_cndmask_b32_e64 v45, v85, v45, s[28:29]
	v_cndmask_b32_e64 v26, v26, v28, s[20:21]
	;; [unrolled: 1-line block ×4, first 2 shown]
	v_cmp_ge_i32_e64 s[20:21], v46, v88
	v_cndmask_b32_e64 v18, v18, v20, s[16:17]
	v_cndmask_b32_e64 v17, v17, v19, s[16:17]
	;; [unrolled: 1-line block ×3, first 2 shown]
	v_cmp_lt_i32_e64 s[16:17], v45, v89
	s_or_b64 s[18:19], s[20:21], s[18:19]
	v_cndmask_b32_e64 v29, v29, v31, s[22:23]
	v_cndmask_b32_e64 v31, v124, v58, s[22:23]
	s_and_b64 s[16:17], s[16:17], s[18:19]
	v_cndmask_b32_e64 v85, v92, v85, s[28:29]
	v_cndmask_b32_e64 v37, v37, v39, s[26:27]
	;; [unrolled: 1-line block ×5, first 2 shown]
	s_barrier
	ds_write2_b64 v51, v[9:10], v[13:14] offset1:1
	ds_write2_b64 v51, v[1:2], v[5:6] offset0:2 offset1:3
	ds_write2_b64 v51, v[11:12], v[15:16] offset0:4 offset1:5
	;; [unrolled: 1-line block ×3, first 2 shown]
	v_lshlrev_b32_e32 v1, 3, v24
	v_lshlrev_b32_e32 v2, 3, v23
	;; [unrolled: 1-line block ×4, first 2 shown]
	s_waitcnt lgkmcnt(0)
	s_barrier
	ds_read_b64 v[9:10], v1
	ds_read_b64 v[13:14], v2
	;; [unrolled: 1-line block ×4, first 2 shown]
	v_lshlrev_b32_e32 v0, 3, v0
	v_lshlrev_b32_e32 v3, 3, v39
	;; [unrolled: 1-line block ×4, first 2 shown]
	ds_read_b64 v[11:12], v0
	ds_read_b64 v[15:16], v3
	;; [unrolled: 1-line block ×4, first 2 shown]
	v_mov_b32_e32 v0, v98
	v_cndmask_b32_e64 v38, v38, v40, s[26:27]
	v_cndmask_b32_e64 v34, v34, v36, s[24:25]
	;; [unrolled: 1-line block ×6, first 2 shown]
	s_waitcnt lgkmcnt(0)
	s_barrier
	ds_write2_b64 v51, v[17:18], v[21:22] offset1:1
	ds_write2_b64 v51, v[25:26], v[29:30] offset0:2 offset1:3
	ds_write2_b64 v51, v[33:34], v[37:38] offset0:4 offset1:5
	;; [unrolled: 1-line block ×3, first 2 shown]
	s_waitcnt lgkmcnt(0)
	s_barrier
	s_and_saveexec_b64 s[18:19], s[10:11]
	s_cbranch_execz .LBB159_198
; %bb.195:                              ;   in Loop: Header=BB159_2 Depth=1
	buffer_load_dword v17, off, s[96:99], 0 offset:24 ; 4-byte Folded Reload
	s_mov_b64 s[20:21], 0
	v_mov_b32_e32 v0, v98
.LBB159_196:                            ;   Parent Loop BB159_2 Depth=1
                                        ; =>  This Inner Loop Header: Depth=2
	s_waitcnt vmcnt(0)
	v_sub_u32_e32 v18, v17, v0
	v_lshrrev_b32_e32 v18, 1, v18
	v_add_u32_e32 v22, v18, v0
	v_not_b32_e32 v19, v22
	v_lshl_add_u32 v18, v22, 3, v97
	v_lshl_add_u32 v20, v19, 3, v118
	ds_read_b64 v[18:19], v18
	ds_read_b64 v[20:21], v20
	v_add_u32_e32 v23, 1, v22
	s_waitcnt lgkmcnt(0)
	v_cmp_lt_i64_e64 s[16:17], v[20:21], v[18:19]
	v_cndmask_b32_e64 v17, v17, v22, s[16:17]
	v_cndmask_b32_e64 v0, v23, v0, s[16:17]
	v_cmp_ge_i32_e64 s[16:17], v0, v17
	s_or_b64 s[20:21], s[16:17], s[20:21]
	s_andn2_b64 exec, exec, s[20:21]
	s_cbranch_execnz .LBB159_196
; %bb.197:                              ;   in Loop: Header=BB159_2 Depth=1
	s_or_b64 exec, exec, s[20:21]
.LBB159_198:                            ;   in Loop: Header=BB159_2 Depth=1
	s_or_b64 exec, exec, s[18:19]
	v_sub_u32_e32 v49, v100, v0
	v_lshl_add_u32 v23, v0, 3, v97
	v_lshlrev_b32_e32 v25, 3, v49
	ds_read_b64 v[17:18], v23
	ds_read_b64 v[19:20], v25
	v_add_u32_e32 v50, v0, v94
	v_cmp_le_i32_e64 s[20:21], v95, v50
	v_cmp_gt_i32_e64 s[16:17], v96, v49
                                        ; implicit-def: $vgpr21_vgpr22
	s_waitcnt lgkmcnt(0)
	v_cmp_lt_i64_e64 s[18:19], v[19:20], v[17:18]
	s_or_b64 s[18:19], s[20:21], s[18:19]
	s_and_b64 s[16:17], s[16:17], s[18:19]
	s_xor_b64 s[18:19], s[16:17], -1
	s_and_saveexec_b64 s[20:21], s[18:19]
	s_xor_b64 s[18:19], exec, s[20:21]
; %bb.199:                              ;   in Loop: Header=BB159_2 Depth=1
	ds_read_b64 v[21:22], v23 offset:8
                                        ; implicit-def: $vgpr25
; %bb.200:                              ;   in Loop: Header=BB159_2 Depth=1
	s_or_saveexec_b64 s[18:19], s[18:19]
	v_mov_b32_e32 v24, v20
	v_mov_b32_e32 v23, v19
	s_xor_b64 exec, exec, s[18:19]
	s_cbranch_execz .LBB159_202
; %bb.201:                              ;   in Loop: Header=BB159_2 Depth=1
	ds_read_b64 v[23:24], v25 offset:8
	s_waitcnt lgkmcnt(1)
	v_mov_b32_e32 v22, v18
	v_mov_b32_e32 v21, v17
.LBB159_202:                            ;   in Loop: Header=BB159_2 Depth=1
	s_or_b64 exec, exec, s[18:19]
	v_add_u32_e32 v25, 1, v50
	v_add_u32_e32 v0, 1, v49
	v_cndmask_b32_e64 v121, v25, v50, s[16:17]
	s_waitcnt lgkmcnt(0)
	v_cmp_lt_i64_e64 s[20:21], v[23:24], v[21:22]
	v_cndmask_b32_e64 v120, v49, v0, s[16:17]
	v_cmp_ge_i32_e64 s[22:23], v121, v95
	v_cmp_lt_i32_e64 s[18:19], v120, v96
	s_or_b64 s[20:21], s[22:23], s[20:21]
	s_and_b64 s[18:19], s[18:19], s[20:21]
	s_xor_b64 s[20:21], s[18:19], -1
                                        ; implicit-def: $vgpr25_vgpr26
	s_and_saveexec_b64 s[22:23], s[20:21]
	s_xor_b64 s[20:21], exec, s[22:23]
; %bb.203:                              ;   in Loop: Header=BB159_2 Depth=1
	v_lshlrev_b32_e32 v0, 3, v121
	ds_read_b64 v[25:26], v0 offset:8
; %bb.204:                              ;   in Loop: Header=BB159_2 Depth=1
	s_or_saveexec_b64 s[20:21], s[20:21]
	v_mov_b32_e32 v28, v24
	v_mov_b32_e32 v27, v23
	s_xor_b64 exec, exec, s[20:21]
	s_cbranch_execz .LBB159_206
; %bb.205:                              ;   in Loop: Header=BB159_2 Depth=1
	v_lshlrev_b32_e32 v0, 3, v120
	ds_read_b64 v[27:28], v0 offset:8
	s_waitcnt lgkmcnt(1)
	v_mov_b32_e32 v26, v22
	v_mov_b32_e32 v25, v21
.LBB159_206:                            ;   in Loop: Header=BB159_2 Depth=1
	s_or_b64 exec, exec, s[20:21]
	v_add_u32_e32 v29, 1, v121
	v_add_u32_e32 v0, 1, v120
	v_cndmask_b32_e64 v123, v29, v121, s[18:19]
	s_waitcnt lgkmcnt(0)
	v_cmp_lt_i64_e64 s[22:23], v[27:28], v[25:26]
	v_cndmask_b32_e64 v122, v120, v0, s[18:19]
	v_cmp_ge_i32_e64 s[24:25], v123, v95
	v_cmp_lt_i32_e64 s[20:21], v122, v96
	s_or_b64 s[22:23], s[24:25], s[22:23]
	s_and_b64 s[20:21], s[20:21], s[22:23]
	s_xor_b64 s[22:23], s[20:21], -1
                                        ; implicit-def: $vgpr29_vgpr30
	s_and_saveexec_b64 s[24:25], s[22:23]
	s_xor_b64 s[22:23], exec, s[24:25]
; %bb.207:                              ;   in Loop: Header=BB159_2 Depth=1
	v_lshlrev_b32_e32 v0, 3, v123
	ds_read_b64 v[29:30], v0 offset:8
; %bb.208:                              ;   in Loop: Header=BB159_2 Depth=1
	s_or_saveexec_b64 s[22:23], s[22:23]
	v_mov_b32_e32 v32, v28
	v_mov_b32_e32 v31, v27
	s_xor_b64 exec, exec, s[22:23]
	s_cbranch_execz .LBB159_210
; %bb.209:                              ;   in Loop: Header=BB159_2 Depth=1
	v_lshlrev_b32_e32 v0, 3, v122
	ds_read_b64 v[31:32], v0 offset:8
	s_waitcnt lgkmcnt(1)
	v_mov_b32_e32 v30, v26
	v_mov_b32_e32 v29, v25
.LBB159_210:                            ;   in Loop: Header=BB159_2 Depth=1
	s_or_b64 exec, exec, s[22:23]
	v_add_u32_e32 v33, 1, v123
	v_add_u32_e32 v0, 1, v122
	v_cndmask_b32_e64 v124, v33, v123, s[20:21]
	s_waitcnt lgkmcnt(0)
	v_cmp_lt_i64_e64 s[24:25], v[31:32], v[29:30]
	v_cndmask_b32_e64 v58, v122, v0, s[20:21]
	v_cmp_ge_i32_e64 s[26:27], v124, v95
	v_cmp_lt_i32_e64 s[22:23], v58, v96
	s_or_b64 s[24:25], s[26:27], s[24:25]
	s_and_b64 s[22:23], s[22:23], s[24:25]
	s_xor_b64 s[24:25], s[22:23], -1
                                        ; implicit-def: $vgpr33_vgpr34
	s_and_saveexec_b64 s[26:27], s[24:25]
	s_xor_b64 s[24:25], exec, s[26:27]
; %bb.211:                              ;   in Loop: Header=BB159_2 Depth=1
	v_lshlrev_b32_e32 v0, 3, v124
	ds_read_b64 v[33:34], v0 offset:8
; %bb.212:                              ;   in Loop: Header=BB159_2 Depth=1
	s_or_saveexec_b64 s[24:25], s[24:25]
	v_mov_b32_e32 v36, v32
	v_mov_b32_e32 v35, v31
	s_xor_b64 exec, exec, s[24:25]
	s_cbranch_execz .LBB159_214
; %bb.213:                              ;   in Loop: Header=BB159_2 Depth=1
	v_lshlrev_b32_e32 v0, 3, v58
	ds_read_b64 v[35:36], v0 offset:8
	s_waitcnt lgkmcnt(1)
	v_mov_b32_e32 v34, v30
	v_mov_b32_e32 v33, v29
.LBB159_214:                            ;   in Loop: Header=BB159_2 Depth=1
	s_or_b64 exec, exec, s[24:25]
	v_add_u32_e32 v37, 1, v124
	v_add_u32_e32 v0, 1, v58
	v_cndmask_b32_e64 v64, v37, v124, s[22:23]
	s_waitcnt lgkmcnt(0)
	v_cmp_lt_i64_e64 s[26:27], v[35:36], v[33:34]
	v_cndmask_b32_e64 v0, v58, v0, s[22:23]
	v_cmp_ge_i32_e64 s[28:29], v64, v95
	v_cmp_lt_i32_e64 s[24:25], v0, v96
	s_or_b64 s[26:27], s[28:29], s[26:27]
	s_and_b64 s[24:25], s[24:25], s[26:27]
	s_xor_b64 s[26:27], s[24:25], -1
                                        ; implicit-def: $vgpr37_vgpr38
	s_and_saveexec_b64 s[28:29], s[26:27]
	s_xor_b64 s[26:27], exec, s[28:29]
; %bb.215:                              ;   in Loop: Header=BB159_2 Depth=1
	v_lshlrev_b32_e32 v37, 3, v64
	ds_read_b64 v[37:38], v37 offset:8
; %bb.216:                              ;   in Loop: Header=BB159_2 Depth=1
	s_or_saveexec_b64 s[26:27], s[26:27]
	v_mov_b32_e32 v40, v36
	v_mov_b32_e32 v39, v35
	s_xor_b64 exec, exec, s[26:27]
	s_cbranch_execz .LBB159_218
; %bb.217:                              ;   in Loop: Header=BB159_2 Depth=1
	s_waitcnt lgkmcnt(0)
	v_lshlrev_b32_e32 v37, 3, v0
	ds_read_b64 v[39:40], v37 offset:8
	v_mov_b32_e32 v38, v34
	v_mov_b32_e32 v37, v33
.LBB159_218:                            ;   in Loop: Header=BB159_2 Depth=1
	s_or_b64 exec, exec, s[26:27]
	v_add_u32_e32 v42, 1, v64
	v_add_u32_e32 v41, 1, v0
	v_cndmask_b32_e64 v78, v42, v64, s[24:25]
	s_waitcnt lgkmcnt(0)
	v_cmp_lt_i64_e64 s[28:29], v[39:40], v[37:38]
	v_cndmask_b32_e64 v71, v0, v41, s[24:25]
	v_cmp_ge_i32_e64 s[30:31], v78, v95
	v_cmp_lt_i32_e64 s[26:27], v71, v96
	s_or_b64 s[28:29], s[30:31], s[28:29]
	s_and_b64 s[26:27], s[26:27], s[28:29]
	s_xor_b64 s[28:29], s[26:27], -1
                                        ; implicit-def: $vgpr41_vgpr42
	s_and_saveexec_b64 s[30:31], s[28:29]
	s_xor_b64 s[28:29], exec, s[30:31]
; %bb.219:                              ;   in Loop: Header=BB159_2 Depth=1
	v_lshlrev_b32_e32 v41, 3, v78
	ds_read_b64 v[41:42], v41 offset:8
; %bb.220:                              ;   in Loop: Header=BB159_2 Depth=1
	s_or_saveexec_b64 s[28:29], s[28:29]
	v_mov_b32_e32 v46, v40
	v_mov_b32_e32 v45, v39
	s_xor_b64 exec, exec, s[28:29]
	s_cbranch_execz .LBB159_222
; %bb.221:                              ;   in Loop: Header=BB159_2 Depth=1
	s_waitcnt lgkmcnt(0)
	v_lshlrev_b32_e32 v41, 3, v71
	ds_read_b64 v[45:46], v41 offset:8
	v_mov_b32_e32 v42, v38
	v_mov_b32_e32 v41, v37
.LBB159_222:                            ;   in Loop: Header=BB159_2 Depth=1
	s_or_b64 exec, exec, s[28:29]
	v_add_u32_e32 v44, 1, v78
	v_add_u32_e32 v43, 1, v71
	v_cndmask_b32_e64 v92, v44, v78, s[26:27]
	s_waitcnt lgkmcnt(0)
	v_cmp_lt_i64_e64 s[30:31], v[45:46], v[41:42]
	v_cndmask_b32_e64 v85, v71, v43, s[26:27]
	v_cmp_ge_i32_e64 s[34:35], v92, v95
	v_cmp_lt_i32_e64 s[28:29], v85, v96
	s_or_b64 s[30:31], s[34:35], s[30:31]
	s_and_b64 s[28:29], s[28:29], s[30:31]
	s_xor_b64 s[30:31], s[28:29], -1
                                        ; implicit-def: $vgpr43_vgpr44
	s_and_saveexec_b64 s[34:35], s[30:31]
	s_xor_b64 s[30:31], exec, s[34:35]
; %bb.223:                              ;   in Loop: Header=BB159_2 Depth=1
	v_lshlrev_b32_e32 v43, 3, v92
	ds_read_b64 v[43:44], v43 offset:8
; %bb.224:                              ;   in Loop: Header=BB159_2 Depth=1
	s_or_saveexec_b64 s[30:31], s[30:31]
	v_mov_b32_e32 v48, v46
	v_mov_b32_e32 v47, v45
	s_xor_b64 exec, exec, s[30:31]
	s_cbranch_execz .LBB159_226
; %bb.225:                              ;   in Loop: Header=BB159_2 Depth=1
	s_waitcnt lgkmcnt(0)
	v_lshlrev_b32_e32 v43, 3, v85
	ds_read_b64 v[47:48], v43 offset:8
	v_mov_b32_e32 v44, v42
	v_mov_b32_e32 v43, v41
.LBB159_226:                            ;   in Loop: Header=BB159_2 Depth=1
	s_or_b64 exec, exec, s[30:31]
	v_cndmask_b32_e64 v42, v42, v46, s[28:29]
	v_add_u32_e32 v46, 1, v92
	v_cndmask_b32_e64 v41, v41, v45, s[28:29]
	v_add_u32_e32 v45, 1, v85
	v_cndmask_b32_e64 v46, v46, v92, s[28:29]
	v_cndmask_b32_e64 v22, v22, v24, s[18:19]
	;; [unrolled: 1-line block ×4, first 2 shown]
	s_waitcnt lgkmcnt(0)
	v_cmp_lt_i64_e64 s[18:19], v[47:48], v[43:44]
	v_cndmask_b32_e64 v45, v85, v45, s[28:29]
	v_cndmask_b32_e64 v26, v26, v28, s[20:21]
	v_cndmask_b32_e64 v25, v25, v27, s[20:21]
	v_cndmask_b32_e64 v27, v123, v122, s[20:21]
	v_cmp_ge_i32_e64 s[20:21], v46, v95
	v_cndmask_b32_e64 v18, v18, v20, s[16:17]
	v_cndmask_b32_e64 v17, v17, v19, s[16:17]
	;; [unrolled: 1-line block ×3, first 2 shown]
	v_cmp_lt_i32_e64 s[16:17], v45, v96
	s_or_b64 s[18:19], s[20:21], s[18:19]
	v_cndmask_b32_e64 v29, v29, v31, s[22:23]
	v_cndmask_b32_e64 v31, v124, v58, s[22:23]
	s_and_b64 s[16:17], s[16:17], s[18:19]
	v_cndmask_b32_e64 v85, v92, v85, s[28:29]
	v_cndmask_b32_e64 v37, v37, v39, s[26:27]
	;; [unrolled: 1-line block ×5, first 2 shown]
	s_barrier
	ds_write2_b64 v51, v[9:10], v[13:14] offset1:1
	ds_write2_b64 v51, v[1:2], v[5:6] offset0:2 offset1:3
	ds_write2_b64 v51, v[11:12], v[15:16] offset0:4 offset1:5
	;; [unrolled: 1-line block ×3, first 2 shown]
	v_lshlrev_b32_e32 v1, 3, v24
	v_lshlrev_b32_e32 v2, 3, v23
	;; [unrolled: 1-line block ×4, first 2 shown]
	s_waitcnt lgkmcnt(0)
	s_barrier
	ds_read_b64 v[9:10], v1
	ds_read_b64 v[13:14], v2
	;; [unrolled: 1-line block ×4, first 2 shown]
	v_lshlrev_b32_e32 v0, 3, v0
	v_lshlrev_b32_e32 v3, 3, v39
	;; [unrolled: 1-line block ×4, first 2 shown]
	ds_read_b64 v[11:12], v0
	ds_read_b64 v[15:16], v3
	;; [unrolled: 1-line block ×4, first 2 shown]
	v_mov_b32_e32 v0, v106
	v_cndmask_b32_e64 v38, v38, v40, s[26:27]
	v_cndmask_b32_e64 v34, v34, v36, s[24:25]
	;; [unrolled: 1-line block ×6, first 2 shown]
	s_waitcnt lgkmcnt(0)
	s_barrier
	ds_write2_b64 v51, v[17:18], v[21:22] offset1:1
	ds_write2_b64 v51, v[25:26], v[29:30] offset0:2 offset1:3
	ds_write2_b64 v51, v[33:34], v[37:38] offset0:4 offset1:5
	;; [unrolled: 1-line block ×3, first 2 shown]
	s_waitcnt lgkmcnt(0)
	s_barrier
	s_and_saveexec_b64 s[18:19], s[12:13]
	s_cbranch_execz .LBB159_230
; %bb.227:                              ;   in Loop: Header=BB159_2 Depth=1
	s_mov_b64 s[20:21], 0
	v_mov_b32_e32 v0, v106
	v_mov_b32_e32 v17, v107
.LBB159_228:                            ;   Parent Loop BB159_2 Depth=1
                                        ; =>  This Inner Loop Header: Depth=2
	v_sub_u32_e32 v18, v17, v0
	v_lshrrev_b32_e32 v18, 1, v18
	v_add_u32_e32 v22, v18, v0
	v_not_b32_e32 v19, v22
	v_lshl_add_u32 v18, v22, 3, v105
	v_lshl_add_u32 v20, v19, 3, v119
	ds_read_b64 v[18:19], v18
	ds_read_b64 v[20:21], v20
	v_add_u32_e32 v23, 1, v22
	s_waitcnt lgkmcnt(0)
	v_cmp_lt_i64_e64 s[16:17], v[20:21], v[18:19]
	v_cndmask_b32_e64 v17, v17, v22, s[16:17]
	v_cndmask_b32_e64 v0, v23, v0, s[16:17]
	v_cmp_ge_i32_e64 s[16:17], v0, v17
	s_or_b64 s[20:21], s[16:17], s[20:21]
	s_andn2_b64 exec, exec, s[20:21]
	s_cbranch_execnz .LBB159_228
; %bb.229:                              ;   in Loop: Header=BB159_2 Depth=1
	s_or_b64 exec, exec, s[20:21]
.LBB159_230:                            ;   in Loop: Header=BB159_2 Depth=1
	s_or_b64 exec, exec, s[18:19]
	v_sub_u32_e32 v49, v108, v0
	v_lshl_add_u32 v23, v0, 3, v105
	v_lshlrev_b32_e32 v25, 3, v49
	ds_read_b64 v[17:18], v23
	ds_read_b64 v[19:20], v25
	v_add_u32_e32 v50, v0, v102
	v_cmp_le_i32_e64 s[20:21], v103, v50
	v_cmp_gt_i32_e64 s[16:17], v104, v49
                                        ; implicit-def: $vgpr21_vgpr22
	s_waitcnt lgkmcnt(0)
	v_cmp_lt_i64_e64 s[18:19], v[19:20], v[17:18]
	s_or_b64 s[18:19], s[20:21], s[18:19]
	s_and_b64 s[16:17], s[16:17], s[18:19]
	s_xor_b64 s[18:19], s[16:17], -1
	s_and_saveexec_b64 s[20:21], s[18:19]
	s_xor_b64 s[18:19], exec, s[20:21]
; %bb.231:                              ;   in Loop: Header=BB159_2 Depth=1
	ds_read_b64 v[21:22], v23 offset:8
                                        ; implicit-def: $vgpr25
; %bb.232:                              ;   in Loop: Header=BB159_2 Depth=1
	s_or_saveexec_b64 s[18:19], s[18:19]
	v_mov_b32_e32 v24, v20
	v_mov_b32_e32 v23, v19
	s_xor_b64 exec, exec, s[18:19]
	s_cbranch_execz .LBB159_234
; %bb.233:                              ;   in Loop: Header=BB159_2 Depth=1
	ds_read_b64 v[23:24], v25 offset:8
	s_waitcnt lgkmcnt(1)
	v_mov_b32_e32 v22, v18
	v_mov_b32_e32 v21, v17
.LBB159_234:                            ;   in Loop: Header=BB159_2 Depth=1
	s_or_b64 exec, exec, s[18:19]
	v_add_u32_e32 v25, 1, v50
	v_add_u32_e32 v0, 1, v49
	v_cndmask_b32_e64 v121, v25, v50, s[16:17]
	s_waitcnt lgkmcnt(0)
	v_cmp_lt_i64_e64 s[20:21], v[23:24], v[21:22]
	v_cndmask_b32_e64 v120, v49, v0, s[16:17]
	v_cmp_ge_i32_e64 s[22:23], v121, v103
	v_cmp_lt_i32_e64 s[18:19], v120, v104
	s_or_b64 s[20:21], s[22:23], s[20:21]
	s_and_b64 s[18:19], s[18:19], s[20:21]
	s_xor_b64 s[20:21], s[18:19], -1
                                        ; implicit-def: $vgpr25_vgpr26
	s_and_saveexec_b64 s[22:23], s[20:21]
	s_xor_b64 s[20:21], exec, s[22:23]
; %bb.235:                              ;   in Loop: Header=BB159_2 Depth=1
	v_lshlrev_b32_e32 v0, 3, v121
	ds_read_b64 v[25:26], v0 offset:8
; %bb.236:                              ;   in Loop: Header=BB159_2 Depth=1
	s_or_saveexec_b64 s[20:21], s[20:21]
	v_mov_b32_e32 v28, v24
	v_mov_b32_e32 v27, v23
	s_xor_b64 exec, exec, s[20:21]
	s_cbranch_execz .LBB159_238
; %bb.237:                              ;   in Loop: Header=BB159_2 Depth=1
	v_lshlrev_b32_e32 v0, 3, v120
	ds_read_b64 v[27:28], v0 offset:8
	s_waitcnt lgkmcnt(1)
	v_mov_b32_e32 v26, v22
	v_mov_b32_e32 v25, v21
.LBB159_238:                            ;   in Loop: Header=BB159_2 Depth=1
	s_or_b64 exec, exec, s[20:21]
	v_add_u32_e32 v29, 1, v121
	v_add_u32_e32 v0, 1, v120
	v_cndmask_b32_e64 v123, v29, v121, s[18:19]
	s_waitcnt lgkmcnt(0)
	v_cmp_lt_i64_e64 s[22:23], v[27:28], v[25:26]
	v_cndmask_b32_e64 v122, v120, v0, s[18:19]
	v_cmp_ge_i32_e64 s[24:25], v123, v103
	v_cmp_lt_i32_e64 s[20:21], v122, v104
	s_or_b64 s[22:23], s[24:25], s[22:23]
	s_and_b64 s[20:21], s[20:21], s[22:23]
	s_xor_b64 s[22:23], s[20:21], -1
                                        ; implicit-def: $vgpr29_vgpr30
	s_and_saveexec_b64 s[24:25], s[22:23]
	s_xor_b64 s[22:23], exec, s[24:25]
; %bb.239:                              ;   in Loop: Header=BB159_2 Depth=1
	v_lshlrev_b32_e32 v0, 3, v123
	ds_read_b64 v[29:30], v0 offset:8
; %bb.240:                              ;   in Loop: Header=BB159_2 Depth=1
	s_or_saveexec_b64 s[22:23], s[22:23]
	v_mov_b32_e32 v32, v28
	v_mov_b32_e32 v31, v27
	s_xor_b64 exec, exec, s[22:23]
	s_cbranch_execz .LBB159_242
; %bb.241:                              ;   in Loop: Header=BB159_2 Depth=1
	v_lshlrev_b32_e32 v0, 3, v122
	ds_read_b64 v[31:32], v0 offset:8
	s_waitcnt lgkmcnt(1)
	v_mov_b32_e32 v30, v26
	v_mov_b32_e32 v29, v25
.LBB159_242:                            ;   in Loop: Header=BB159_2 Depth=1
	s_or_b64 exec, exec, s[22:23]
	v_add_u32_e32 v33, 1, v123
	v_add_u32_e32 v0, 1, v122
	v_cndmask_b32_e64 v124, v33, v123, s[20:21]
	s_waitcnt lgkmcnt(0)
	v_cmp_lt_i64_e64 s[24:25], v[31:32], v[29:30]
	v_cndmask_b32_e64 v58, v122, v0, s[20:21]
	v_cmp_ge_i32_e64 s[26:27], v124, v103
	v_cmp_lt_i32_e64 s[22:23], v58, v104
	s_or_b64 s[24:25], s[26:27], s[24:25]
	s_and_b64 s[22:23], s[22:23], s[24:25]
	s_xor_b64 s[24:25], s[22:23], -1
                                        ; implicit-def: $vgpr33_vgpr34
	s_and_saveexec_b64 s[26:27], s[24:25]
	s_xor_b64 s[24:25], exec, s[26:27]
; %bb.243:                              ;   in Loop: Header=BB159_2 Depth=1
	v_lshlrev_b32_e32 v0, 3, v124
	ds_read_b64 v[33:34], v0 offset:8
; %bb.244:                              ;   in Loop: Header=BB159_2 Depth=1
	s_or_saveexec_b64 s[24:25], s[24:25]
	v_mov_b32_e32 v36, v32
	v_mov_b32_e32 v35, v31
	s_xor_b64 exec, exec, s[24:25]
	s_cbranch_execz .LBB159_246
; %bb.245:                              ;   in Loop: Header=BB159_2 Depth=1
	v_lshlrev_b32_e32 v0, 3, v58
	ds_read_b64 v[35:36], v0 offset:8
	s_waitcnt lgkmcnt(1)
	v_mov_b32_e32 v34, v30
	v_mov_b32_e32 v33, v29
.LBB159_246:                            ;   in Loop: Header=BB159_2 Depth=1
	s_or_b64 exec, exec, s[24:25]
	v_add_u32_e32 v37, 1, v124
	v_add_u32_e32 v0, 1, v58
	v_cndmask_b32_e64 v64, v37, v124, s[22:23]
	s_waitcnt lgkmcnt(0)
	v_cmp_lt_i64_e64 s[26:27], v[35:36], v[33:34]
	v_cndmask_b32_e64 v0, v58, v0, s[22:23]
	v_cmp_ge_i32_e64 s[28:29], v64, v103
	v_cmp_lt_i32_e64 s[24:25], v0, v104
	s_or_b64 s[26:27], s[28:29], s[26:27]
	s_and_b64 s[24:25], s[24:25], s[26:27]
	s_xor_b64 s[26:27], s[24:25], -1
                                        ; implicit-def: $vgpr37_vgpr38
	s_and_saveexec_b64 s[28:29], s[26:27]
	s_xor_b64 s[26:27], exec, s[28:29]
; %bb.247:                              ;   in Loop: Header=BB159_2 Depth=1
	v_lshlrev_b32_e32 v37, 3, v64
	ds_read_b64 v[37:38], v37 offset:8
; %bb.248:                              ;   in Loop: Header=BB159_2 Depth=1
	s_or_saveexec_b64 s[26:27], s[26:27]
	v_mov_b32_e32 v40, v36
	v_mov_b32_e32 v39, v35
	s_xor_b64 exec, exec, s[26:27]
	s_cbranch_execz .LBB159_250
; %bb.249:                              ;   in Loop: Header=BB159_2 Depth=1
	s_waitcnt lgkmcnt(0)
	v_lshlrev_b32_e32 v37, 3, v0
	ds_read_b64 v[39:40], v37 offset:8
	v_mov_b32_e32 v38, v34
	v_mov_b32_e32 v37, v33
.LBB159_250:                            ;   in Loop: Header=BB159_2 Depth=1
	s_or_b64 exec, exec, s[26:27]
	v_add_u32_e32 v42, 1, v64
	v_add_u32_e32 v41, 1, v0
	v_cndmask_b32_e64 v78, v42, v64, s[24:25]
	s_waitcnt lgkmcnt(0)
	v_cmp_lt_i64_e64 s[28:29], v[39:40], v[37:38]
	v_cndmask_b32_e64 v71, v0, v41, s[24:25]
	v_cmp_ge_i32_e64 s[30:31], v78, v103
	v_cmp_lt_i32_e64 s[26:27], v71, v104
	s_or_b64 s[28:29], s[30:31], s[28:29]
	s_and_b64 s[26:27], s[26:27], s[28:29]
	s_xor_b64 s[28:29], s[26:27], -1
                                        ; implicit-def: $vgpr41_vgpr42
	s_and_saveexec_b64 s[30:31], s[28:29]
	s_xor_b64 s[28:29], exec, s[30:31]
; %bb.251:                              ;   in Loop: Header=BB159_2 Depth=1
	v_lshlrev_b32_e32 v41, 3, v78
	ds_read_b64 v[41:42], v41 offset:8
; %bb.252:                              ;   in Loop: Header=BB159_2 Depth=1
	s_or_saveexec_b64 s[28:29], s[28:29]
	v_mov_b32_e32 v46, v40
	v_mov_b32_e32 v45, v39
	s_xor_b64 exec, exec, s[28:29]
	s_cbranch_execz .LBB159_254
; %bb.253:                              ;   in Loop: Header=BB159_2 Depth=1
	s_waitcnt lgkmcnt(0)
	v_lshlrev_b32_e32 v41, 3, v71
	ds_read_b64 v[45:46], v41 offset:8
	v_mov_b32_e32 v42, v38
	v_mov_b32_e32 v41, v37
.LBB159_254:                            ;   in Loop: Header=BB159_2 Depth=1
	s_or_b64 exec, exec, s[28:29]
	v_add_u32_e32 v44, 1, v78
	v_add_u32_e32 v43, 1, v71
	v_cndmask_b32_e64 v92, v44, v78, s[26:27]
	s_waitcnt lgkmcnt(0)
	v_cmp_lt_i64_e64 s[30:31], v[45:46], v[41:42]
	v_cndmask_b32_e64 v85, v71, v43, s[26:27]
	v_cmp_ge_i32_e64 s[34:35], v92, v103
	v_cmp_lt_i32_e64 s[28:29], v85, v104
	s_or_b64 s[30:31], s[34:35], s[30:31]
	s_and_b64 s[28:29], s[28:29], s[30:31]
	s_xor_b64 s[30:31], s[28:29], -1
                                        ; implicit-def: $vgpr43_vgpr44
	s_and_saveexec_b64 s[34:35], s[30:31]
	s_xor_b64 s[30:31], exec, s[34:35]
; %bb.255:                              ;   in Loop: Header=BB159_2 Depth=1
	v_lshlrev_b32_e32 v43, 3, v92
	ds_read_b64 v[43:44], v43 offset:8
; %bb.256:                              ;   in Loop: Header=BB159_2 Depth=1
	s_or_saveexec_b64 s[30:31], s[30:31]
	v_mov_b32_e32 v48, v46
	v_mov_b32_e32 v47, v45
	s_xor_b64 exec, exec, s[30:31]
	s_cbranch_execz .LBB159_258
; %bb.257:                              ;   in Loop: Header=BB159_2 Depth=1
	s_waitcnt lgkmcnt(0)
	v_lshlrev_b32_e32 v43, 3, v85
	ds_read_b64 v[47:48], v43 offset:8
	v_mov_b32_e32 v44, v42
	v_mov_b32_e32 v43, v41
.LBB159_258:                            ;   in Loop: Header=BB159_2 Depth=1
	s_or_b64 exec, exec, s[30:31]
	v_cndmask_b32_e64 v42, v42, v46, s[28:29]
	v_add_u32_e32 v46, 1, v92
	v_cndmask_b32_e64 v41, v41, v45, s[28:29]
	v_add_u32_e32 v45, 1, v85
	v_cndmask_b32_e64 v46, v46, v92, s[28:29]
	v_cndmask_b32_e64 v22, v22, v24, s[18:19]
	;; [unrolled: 1-line block ×4, first 2 shown]
	s_waitcnt lgkmcnt(0)
	v_cmp_lt_i64_e64 s[18:19], v[47:48], v[43:44]
	v_cndmask_b32_e64 v45, v85, v45, s[28:29]
	v_cndmask_b32_e64 v26, v26, v28, s[20:21]
	;; [unrolled: 1-line block ×4, first 2 shown]
	v_cmp_ge_i32_e64 s[20:21], v46, v103
	v_cndmask_b32_e64 v18, v18, v20, s[16:17]
	v_cndmask_b32_e64 v17, v17, v19, s[16:17]
	;; [unrolled: 1-line block ×3, first 2 shown]
	v_cmp_lt_i32_e64 s[16:17], v45, v104
	s_or_b64 s[18:19], s[20:21], s[18:19]
	v_cndmask_b32_e64 v29, v29, v31, s[22:23]
	v_cndmask_b32_e64 v31, v124, v58, s[22:23]
	s_and_b64 s[16:17], s[16:17], s[18:19]
	v_cndmask_b32_e64 v85, v92, v85, s[28:29]
	v_cndmask_b32_e64 v37, v37, v39, s[26:27]
	;; [unrolled: 1-line block ×5, first 2 shown]
	s_barrier
	ds_write2_b64 v51, v[9:10], v[13:14] offset1:1
	ds_write2_b64 v51, v[1:2], v[5:6] offset0:2 offset1:3
	ds_write2_b64 v51, v[11:12], v[15:16] offset0:4 offset1:5
	;; [unrolled: 1-line block ×3, first 2 shown]
	v_lshlrev_b32_e32 v1, 3, v24
	v_lshlrev_b32_e32 v2, 3, v23
	;; [unrolled: 1-line block ×4, first 2 shown]
	s_waitcnt lgkmcnt(0)
	s_barrier
	ds_read_b64 v[9:10], v1
	ds_read_b64 v[13:14], v2
	;; [unrolled: 1-line block ×4, first 2 shown]
	v_lshlrev_b32_e32 v0, 3, v0
	v_lshlrev_b32_e32 v3, 3, v39
	;; [unrolled: 1-line block ×4, first 2 shown]
	ds_read_b64 v[11:12], v0
	ds_read_b64 v[15:16], v3
	;; [unrolled: 1-line block ×4, first 2 shown]
	v_mov_b32_e32 v120, v109
	v_cndmask_b32_e64 v38, v38, v40, s[26:27]
	v_cndmask_b32_e64 v34, v34, v36, s[24:25]
	;; [unrolled: 1-line block ×6, first 2 shown]
	s_waitcnt lgkmcnt(0)
	s_barrier
	ds_write2_b64 v51, v[17:18], v[21:22] offset1:1
	ds_write2_b64 v51, v[25:26], v[29:30] offset0:2 offset1:3
	ds_write2_b64 v51, v[33:34], v[37:38] offset0:4 offset1:5
	ds_write2_b64 v51, v[41:42], v[19:20] offset0:6 offset1:7
	s_waitcnt lgkmcnt(0)
	s_barrier
	s_and_saveexec_b64 s[18:19], s[14:15]
	s_cbranch_execz .LBB159_262
; %bb.259:                              ;   in Loop: Header=BB159_2 Depth=1
	s_mov_b64 s[20:21], 0
	v_mov_b32_e32 v120, v109
	v_mov_b32_e32 v0, v110
.LBB159_260:                            ;   Parent Loop BB159_2 Depth=1
                                        ; =>  This Inner Loop Header: Depth=2
	v_sub_u32_e32 v17, v0, v120
	v_lshrrev_b32_e32 v17, 1, v17
	v_add_u32_e32 v21, v17, v120
	v_add_u32_e32 v18, 0x4000, v51
	v_not_b32_e32 v19, v21
	v_lshlrev_b32_e32 v17, 3, v21
	v_lshl_add_u32 v19, v19, 3, v18
	ds_read_b64 v[17:18], v17
	ds_read_b64 v[19:20], v19
	v_add_u32_e32 v22, 1, v21
	s_waitcnt lgkmcnt(0)
	v_cmp_lt_i64_e64 s[16:17], v[19:20], v[17:18]
	v_cndmask_b32_e64 v0, v0, v21, s[16:17]
	v_cndmask_b32_e64 v120, v22, v120, s[16:17]
	v_cmp_ge_i32_e64 s[16:17], v120, v0
	s_or_b64 s[20:21], s[16:17], s[20:21]
	s_andn2_b64 exec, exec, s[20:21]
	s_cbranch_execnz .LBB159_260
; %bb.261:                              ;   in Loop: Header=BB159_2 Depth=1
	s_or_b64 exec, exec, s[20:21]
.LBB159_262:                            ;   in Loop: Header=BB159_2 Depth=1
	s_or_b64 exec, exec, s[18:19]
	v_sub_u32_e32 v121, v111, v120
	v_lshlrev_b32_e32 v23, 3, v120
	v_lshlrev_b32_e32 v0, 3, v121
	ds_read_b64 v[17:18], v23
	ds_read_b64 v[19:20], v0
	v_cmp_le_i32_e64 s[20:21], v101, v120
	v_cmp_gt_i32_e64 s[16:17], s33, v121
                                        ; implicit-def: $vgpr21_vgpr22
	s_waitcnt lgkmcnt(0)
	v_cmp_lt_i64_e64 s[18:19], v[19:20], v[17:18]
	s_or_b64 s[18:19], s[20:21], s[18:19]
	s_and_b64 s[16:17], s[16:17], s[18:19]
	s_xor_b64 s[18:19], s[16:17], -1
	s_and_saveexec_b64 s[20:21], s[18:19]
	s_xor_b64 s[18:19], exec, s[20:21]
; %bb.263:                              ;   in Loop: Header=BB159_2 Depth=1
	ds_read_b64 v[21:22], v23 offset:8
                                        ; implicit-def: $vgpr0
; %bb.264:                              ;   in Loop: Header=BB159_2 Depth=1
	s_or_saveexec_b64 s[18:19], s[18:19]
	v_mov_b32_e32 v24, v20
	v_mov_b32_e32 v23, v19
	s_xor_b64 exec, exec, s[18:19]
	s_cbranch_execz .LBB159_266
; %bb.265:                              ;   in Loop: Header=BB159_2 Depth=1
	ds_read_b64 v[23:24], v0 offset:8
	s_waitcnt lgkmcnt(1)
	v_mov_b32_e32 v22, v18
	v_mov_b32_e32 v21, v17
.LBB159_266:                            ;   in Loop: Header=BB159_2 Depth=1
	s_or_b64 exec, exec, s[18:19]
	v_add_u32_e32 v25, 1, v120
	v_add_u32_e32 v0, 1, v121
	v_cndmask_b32_e64 v123, v25, v120, s[16:17]
	s_waitcnt lgkmcnt(0)
	v_cmp_lt_i64_e64 s[20:21], v[23:24], v[21:22]
	v_cndmask_b32_e64 v122, v121, v0, s[16:17]
	v_cmp_ge_i32_e64 s[22:23], v123, v101
	v_cmp_gt_i32_e64 s[18:19], s33, v122
	s_or_b64 s[20:21], s[22:23], s[20:21]
	s_and_b64 s[18:19], s[18:19], s[20:21]
	s_xor_b64 s[20:21], s[18:19], -1
                                        ; implicit-def: $vgpr27_vgpr28
	s_and_saveexec_b64 s[22:23], s[20:21]
	s_xor_b64 s[20:21], exec, s[22:23]
; %bb.267:                              ;   in Loop: Header=BB159_2 Depth=1
	v_lshlrev_b32_e32 v0, 3, v123
	ds_read_b64 v[27:28], v0 offset:8
; %bb.268:                              ;   in Loop: Header=BB159_2 Depth=1
	s_or_saveexec_b64 s[20:21], s[20:21]
	v_mov_b32_e32 v30, v24
	v_mov_b32_e32 v29, v23
	s_xor_b64 exec, exec, s[20:21]
	s_cbranch_execz .LBB159_270
; %bb.269:                              ;   in Loop: Header=BB159_2 Depth=1
	v_lshlrev_b32_e32 v0, 3, v122
	ds_read_b64 v[29:30], v0 offset:8
	s_waitcnt lgkmcnt(1)
	v_mov_b32_e32 v28, v22
	v_mov_b32_e32 v27, v21
.LBB159_270:                            ;   in Loop: Header=BB159_2 Depth=1
	s_or_b64 exec, exec, s[20:21]
	v_add_u32_e32 v25, 1, v123
	v_add_u32_e32 v0, 1, v122
	v_cndmask_b32_e64 v125, v25, v123, s[18:19]
	s_waitcnt lgkmcnt(0)
	v_cmp_lt_i64_e64 s[22:23], v[29:30], v[27:28]
	v_cndmask_b32_e64 v124, v122, v0, s[18:19]
	v_cmp_ge_i32_e64 s[24:25], v125, v101
	v_cmp_gt_i32_e64 s[20:21], s33, v124
	s_or_b64 s[22:23], s[24:25], s[22:23]
	s_and_b64 s[20:21], s[20:21], s[22:23]
	s_xor_b64 s[22:23], s[20:21], -1
                                        ; implicit-def: $vgpr31_vgpr32
	s_and_saveexec_b64 s[24:25], s[22:23]
	s_xor_b64 s[22:23], exec, s[24:25]
; %bb.271:                              ;   in Loop: Header=BB159_2 Depth=1
	v_lshlrev_b32_e32 v0, 3, v125
	ds_read_b64 v[31:32], v0 offset:8
; %bb.272:                              ;   in Loop: Header=BB159_2 Depth=1
	s_or_saveexec_b64 s[22:23], s[22:23]
	v_mov_b32_e32 v34, v30
	v_mov_b32_e32 v33, v29
	s_xor_b64 exec, exec, s[22:23]
	s_cbranch_execz .LBB159_274
; %bb.273:                              ;   in Loop: Header=BB159_2 Depth=1
	v_lshlrev_b32_e32 v0, 3, v124
	ds_read_b64 v[33:34], v0 offset:8
	s_waitcnt lgkmcnt(1)
	v_mov_b32_e32 v32, v28
	v_mov_b32_e32 v31, v27
.LBB159_274:                            ;   in Loop: Header=BB159_2 Depth=1
	s_or_b64 exec, exec, s[22:23]
	v_add_u32_e32 v25, 1, v125
	v_add_u32_e32 v0, 1, v124
	v_cndmask_b32_e64 v58, v25, v125, s[20:21]
	s_waitcnt lgkmcnt(0)
	v_cmp_lt_i64_e64 s[24:25], v[33:34], v[31:32]
	v_cndmask_b32_e64 v126, v124, v0, s[20:21]
	v_cmp_ge_i32_e64 s[26:27], v58, v101
	v_cmp_gt_i32_e64 s[22:23], s33, v126
	s_or_b64 s[24:25], s[26:27], s[24:25]
	s_and_b64 s[22:23], s[22:23], s[24:25]
	s_xor_b64 s[24:25], s[22:23], -1
                                        ; implicit-def: $vgpr35_vgpr36
	s_and_saveexec_b64 s[26:27], s[24:25]
	s_xor_b64 s[24:25], exec, s[26:27]
; %bb.275:                              ;   in Loop: Header=BB159_2 Depth=1
	v_lshlrev_b32_e32 v0, 3, v58
	ds_read_b64 v[35:36], v0 offset:8
; %bb.276:                              ;   in Loop: Header=BB159_2 Depth=1
	s_or_saveexec_b64 s[24:25], s[24:25]
	v_mov_b32_e32 v40, v34
	v_mov_b32_e32 v39, v33
	s_xor_b64 exec, exec, s[24:25]
	s_cbranch_execz .LBB159_278
; %bb.277:                              ;   in Loop: Header=BB159_2 Depth=1
	v_lshlrev_b32_e32 v0, 3, v126
	ds_read_b64 v[39:40], v0 offset:8
	s_waitcnt lgkmcnt(1)
	v_mov_b32_e32 v36, v32
	v_mov_b32_e32 v35, v31
.LBB159_278:                            ;   in Loop: Header=BB159_2 Depth=1
	s_or_b64 exec, exec, s[24:25]
	v_add_u32_e32 v25, 1, v58
	v_add_u32_e32 v0, 1, v126
	v_cndmask_b32_e64 v64, v25, v58, s[22:23]
	s_waitcnt lgkmcnt(0)
	v_cmp_lt_i64_e64 s[26:27], v[39:40], v[35:36]
	v_cndmask_b32_e64 v0, v126, v0, s[22:23]
	v_cmp_ge_i32_e64 s[28:29], v64, v101
	v_cmp_gt_i32_e64 s[24:25], s33, v0
	s_or_b64 s[26:27], s[28:29], s[26:27]
	s_and_b64 s[24:25], s[24:25], s[26:27]
	s_xor_b64 s[26:27], s[24:25], -1
                                        ; implicit-def: $vgpr43_vgpr44
	s_and_saveexec_b64 s[28:29], s[26:27]
	s_xor_b64 s[26:27], exec, s[28:29]
; %bb.279:                              ;   in Loop: Header=BB159_2 Depth=1
	v_lshlrev_b32_e32 v25, 3, v64
	ds_read_b64 v[43:44], v25 offset:8
; %bb.280:                              ;   in Loop: Header=BB159_2 Depth=1
	s_or_saveexec_b64 s[26:27], s[26:27]
	v_mov_b32_e32 v48, v40
	v_mov_b32_e32 v47, v39
	s_xor_b64 exec, exec, s[26:27]
	s_cbranch_execz .LBB159_282
; %bb.281:                              ;   in Loop: Header=BB159_2 Depth=1
	v_lshlrev_b32_e32 v25, 3, v0
	ds_read_b64 v[47:48], v25 offset:8
	s_waitcnt lgkmcnt(1)
	v_mov_b32_e32 v44, v36
	v_mov_b32_e32 v43, v35
.LBB159_282:                            ;   in Loop: Header=BB159_2 Depth=1
	s_or_b64 exec, exec, s[26:27]
	v_add_u32_e32 v26, 1, v64
	v_add_u32_e32 v25, 1, v0
	v_cndmask_b32_e64 v78, v26, v64, s[24:25]
	s_waitcnt lgkmcnt(0)
	v_cmp_lt_i64_e64 s[28:29], v[47:48], v[43:44]
	v_cndmask_b32_e64 v71, v0, v25, s[24:25]
	v_cmp_ge_i32_e64 s[30:31], v78, v101
	v_cmp_gt_i32_e64 s[26:27], s33, v71
	s_or_b64 s[28:29], s[30:31], s[28:29]
	s_and_b64 s[28:29], s[26:27], s[28:29]
	s_xor_b64 s[26:27], s[28:29], -1
                                        ; implicit-def: $vgpr37_vgpr38
	s_and_saveexec_b64 s[30:31], s[26:27]
	s_xor_b64 s[26:27], exec, s[30:31]
; %bb.283:                              ;   in Loop: Header=BB159_2 Depth=1
	v_lshlrev_b32_e32 v25, 3, v78
	ds_read_b64 v[37:38], v25 offset:8
; %bb.284:                              ;   in Loop: Header=BB159_2 Depth=1
	s_or_saveexec_b64 s[26:27], s[26:27]
	v_mov_b32_e32 v41, v47
	v_mov_b32_e32 v42, v48
	s_xor_b64 exec, exec, s[26:27]
	s_cbranch_execz .LBB159_286
; %bb.285:                              ;   in Loop: Header=BB159_2 Depth=1
	v_lshlrev_b32_e32 v25, 3, v71
	ds_read_b64 v[41:42], v25 offset:8
	s_waitcnt lgkmcnt(1)
	v_mov_b32_e32 v37, v43
	v_mov_b32_e32 v38, v44
.LBB159_286:                            ;   in Loop: Header=BB159_2 Depth=1
	s_or_b64 exec, exec, s[26:27]
	v_add_u32_e32 v25, 1, v71
	v_add_u32_e32 v26, 1, v78
	v_cndmask_b32_e64 v85, v71, v25, s[28:29]
	v_cndmask_b32_e64 v25, v26, v78, s[28:29]
	s_waitcnt lgkmcnt(0)
	v_cmp_lt_i64_e64 s[30:31], v[41:42], v[37:38]
	v_cmp_ge_i32_e64 s[34:35], v25, v101
	v_cmp_gt_i32_e64 s[26:27], s33, v85
	s_or_b64 s[30:31], s[34:35], s[30:31]
	s_and_b64 s[26:27], s[26:27], s[30:31]
	s_xor_b64 s[30:31], s[26:27], -1
                                        ; implicit-def: $vgpr45_vgpr46
                                        ; implicit-def: $vgpr99
	s_and_saveexec_b64 s[34:35], s[30:31]
	s_xor_b64 s[30:31], exec, s[34:35]
; %bb.287:                              ;   in Loop: Header=BB159_2 Depth=1
	v_lshlrev_b32_e32 v26, 3, v25
	ds_read_b64 v[45:46], v26 offset:8
	v_add_u32_e32 v99, 1, v25
; %bb.288:                              ;   in Loop: Header=BB159_2 Depth=1
	s_or_saveexec_b64 s[30:31], s[30:31]
	v_mov_b32_e32 v50, v42
	v_mov_b32_e32 v92, v25
	;; [unrolled: 1-line block ×3, first 2 shown]
	s_xor_b64 exec, exec, s[30:31]
	s_cbranch_execz .LBB159_1
; %bb.289:                              ;   in Loop: Header=BB159_2 Depth=1
	s_waitcnt lgkmcnt(0)
	v_lshlrev_b32_e32 v45, 3, v85
	ds_read_b64 v[49:50], v45 offset:8
	v_add_u32_e32 v26, 1, v85
	v_mov_b32_e32 v46, v38
	v_mov_b32_e32 v92, v85
	;; [unrolled: 1-line block ×5, first 2 shown]
	s_branch .LBB159_1
.LBB159_290:
	s_waitcnt lgkmcnt(7)
	v_add_co_u32_e32 v15, vcc, v17, v15
	v_addc_co_u32_e32 v16, vcc, v18, v16, vcc
	s_waitcnt lgkmcnt(6)
	v_add_co_u32_e32 v13, vcc, v25, v13
	v_addc_co_u32_e32 v14, vcc, v26, v14, vcc
	;; [unrolled: 3-line block ×8, first 2 shown]
	buffer_load_dword v2, off, s[96:99], 0 offset:28 ; 4-byte Folded Reload
	v_readlane_b32 s0, v127, 0
	v_readlane_b32 s1, v127, 1
	;; [unrolled: 1-line block ×6, first 2 shown]
	s_add_u32 s0, s2, s0
	s_addc_u32 s1, s3, s1
	v_mov_b32_e32 v17, s1
	s_waitcnt vmcnt(0)
	v_lshlrev_b32_e32 v2, 3, v2
	v_add_co_u32_e32 v18, vcc, s0, v2
	v_addc_co_u32_e32 v17, vcc, 0, v17, vcc
	global_store_dwordx2 v2, v[15:16], s[0:1]
	s_movk_i32 s0, 0x2000
	v_add_co_u32_e32 v15, vcc, s0, v18
	v_addc_co_u32_e32 v16, vcc, 0, v17, vcc
	s_movk_i32 s0, 0x4000
	global_store_dwordx2 v[15:16], v[13:14], off offset:-4096
	global_store_dwordx2 v[15:16], v[7:8], off
	v_add_co_u32_e32 v7, vcc, s0, v18
	v_addc_co_u32_e32 v8, vcc, 0, v17, vcc
	s_movk_i32 s0, 0x5000
	global_store_dwordx2 v[7:8], v[5:6], off offset:-4096
	global_store_dwordx2 v[7:8], v[11:12], off
	v_add_co_u32_e32 v5, vcc, s0, v18
	v_addc_co_u32_e32 v6, vcc, 0, v17, vcc
	global_store_dwordx2 v[5:6], v[9:10], off
	v_add_co_u32_e32 v5, vcc, 0x6000, v18
	v_addc_co_u32_e32 v6, vcc, 0, v17, vcc
	v_add_co_u32_e32 v2, vcc, 0x7000, v18
	global_store_dwordx2 v[5:6], v[3:4], off
	v_addc_co_u32_e32 v3, vcc, 0, v17, vcc
	global_store_dwordx2 v[2:3], v[0:1], off
	s_endpgm
	.section	.rodata,"a",@progbits
	.p2align	6, 0x0
	.amdhsa_kernel _Z17sort_pairs_kernelIxLj512ELj8EN10test_utils4lessELj10EEvPKT_PS2_T2_
		.amdhsa_group_segment_fixed_size 32776
		.amdhsa_private_segment_fixed_size 36
		.amdhsa_kernarg_size 20
		.amdhsa_user_sgpr_count 6
		.amdhsa_user_sgpr_private_segment_buffer 1
		.amdhsa_user_sgpr_dispatch_ptr 0
		.amdhsa_user_sgpr_queue_ptr 0
		.amdhsa_user_sgpr_kernarg_segment_ptr 1
		.amdhsa_user_sgpr_dispatch_id 0
		.amdhsa_user_sgpr_flat_scratch_init 0
		.amdhsa_user_sgpr_private_segment_size 0
		.amdhsa_uses_dynamic_stack 0
		.amdhsa_system_sgpr_private_segment_wavefront_offset 1
		.amdhsa_system_sgpr_workgroup_id_x 1
		.amdhsa_system_sgpr_workgroup_id_y 0
		.amdhsa_system_sgpr_workgroup_id_z 0
		.amdhsa_system_sgpr_workgroup_info 0
		.amdhsa_system_vgpr_workitem_id 0
		.amdhsa_next_free_vgpr 128
		.amdhsa_next_free_sgpr 100
		.amdhsa_reserve_vcc 1
		.amdhsa_reserve_flat_scratch 0
		.amdhsa_float_round_mode_32 0
		.amdhsa_float_round_mode_16_64 0
		.amdhsa_float_denorm_mode_32 3
		.amdhsa_float_denorm_mode_16_64 3
		.amdhsa_dx10_clamp 1
		.amdhsa_ieee_mode 1
		.amdhsa_fp16_overflow 0
		.amdhsa_exception_fp_ieee_invalid_op 0
		.amdhsa_exception_fp_denorm_src 0
		.amdhsa_exception_fp_ieee_div_zero 0
		.amdhsa_exception_fp_ieee_overflow 0
		.amdhsa_exception_fp_ieee_underflow 0
		.amdhsa_exception_fp_ieee_inexact 0
		.amdhsa_exception_int_div_zero 0
	.end_amdhsa_kernel
	.section	.text._Z17sort_pairs_kernelIxLj512ELj8EN10test_utils4lessELj10EEvPKT_PS2_T2_,"axG",@progbits,_Z17sort_pairs_kernelIxLj512ELj8EN10test_utils4lessELj10EEvPKT_PS2_T2_,comdat
.Lfunc_end159:
	.size	_Z17sort_pairs_kernelIxLj512ELj8EN10test_utils4lessELj10EEvPKT_PS2_T2_, .Lfunc_end159-_Z17sort_pairs_kernelIxLj512ELj8EN10test_utils4lessELj10EEvPKT_PS2_T2_
                                        ; -- End function
	.set _Z17sort_pairs_kernelIxLj512ELj8EN10test_utils4lessELj10EEvPKT_PS2_T2_.num_vgpr, 128
	.set _Z17sort_pairs_kernelIxLj512ELj8EN10test_utils4lessELj10EEvPKT_PS2_T2_.num_agpr, 0
	.set _Z17sort_pairs_kernelIxLj512ELj8EN10test_utils4lessELj10EEvPKT_PS2_T2_.numbered_sgpr, 100
	.set _Z17sort_pairs_kernelIxLj512ELj8EN10test_utils4lessELj10EEvPKT_PS2_T2_.num_named_barrier, 0
	.set _Z17sort_pairs_kernelIxLj512ELj8EN10test_utils4lessELj10EEvPKT_PS2_T2_.private_seg_size, 36
	.set _Z17sort_pairs_kernelIxLj512ELj8EN10test_utils4lessELj10EEvPKT_PS2_T2_.uses_vcc, 1
	.set _Z17sort_pairs_kernelIxLj512ELj8EN10test_utils4lessELj10EEvPKT_PS2_T2_.uses_flat_scratch, 0
	.set _Z17sort_pairs_kernelIxLj512ELj8EN10test_utils4lessELj10EEvPKT_PS2_T2_.has_dyn_sized_stack, 0
	.set _Z17sort_pairs_kernelIxLj512ELj8EN10test_utils4lessELj10EEvPKT_PS2_T2_.has_recursion, 0
	.set _Z17sort_pairs_kernelIxLj512ELj8EN10test_utils4lessELj10EEvPKT_PS2_T2_.has_indirect_call, 0
	.section	.AMDGPU.csdata,"",@progbits
; Kernel info:
; codeLenInByte = 17068
; TotalNumSgprs: 104
; NumVgprs: 128
; ScratchSize: 36
; MemoryBound: 0
; FloatMode: 240
; IeeeMode: 1
; LDSByteSize: 32776 bytes/workgroup (compile time only)
; SGPRBlocks: 12
; VGPRBlocks: 31
; NumSGPRsForWavesPerEU: 104
; NumVGPRsForWavesPerEU: 128
; Occupancy: 2
; WaveLimiterHint : 1
; COMPUTE_PGM_RSRC2:SCRATCH_EN: 1
; COMPUTE_PGM_RSRC2:USER_SGPR: 6
; COMPUTE_PGM_RSRC2:TRAP_HANDLER: 0
; COMPUTE_PGM_RSRC2:TGID_X_EN: 1
; COMPUTE_PGM_RSRC2:TGID_Y_EN: 0
; COMPUTE_PGM_RSRC2:TGID_Z_EN: 0
; COMPUTE_PGM_RSRC2:TIDIG_COMP_CNT: 0
	.section	.AMDGPU.gpr_maximums,"",@progbits
	.set amdgpu.max_num_vgpr, 0
	.set amdgpu.max_num_agpr, 0
	.set amdgpu.max_num_sgpr, 0
	.section	.AMDGPU.csdata,"",@progbits
	.type	__hip_cuid_e3400117789e5d93,@object ; @__hip_cuid_e3400117789e5d93
	.section	.bss,"aw",@nobits
	.globl	__hip_cuid_e3400117789e5d93
__hip_cuid_e3400117789e5d93:
	.byte	0                               ; 0x0
	.size	__hip_cuid_e3400117789e5d93, 1

	.ident	"AMD clang version 22.0.0git (https://github.com/RadeonOpenCompute/llvm-project roc-7.2.4 26084 f58b06dce1f9c15707c5f808fd002e18c2accf7e)"
	.section	".note.GNU-stack","",@progbits
	.addrsig
	.addrsig_sym __hip_cuid_e3400117789e5d93
	.amdgpu_metadata
---
amdhsa.kernels:
  - .args:
      - .address_space:  global
        .offset:         0
        .size:           8
        .value_kind:     global_buffer
      - .address_space:  global
        .offset:         8
        .size:           8
        .value_kind:     global_buffer
      - .offset:         16
        .size:           1
        .value_kind:     by_value
    .group_segment_fixed_size: 260
    .kernarg_segment_align: 8
    .kernarg_segment_size: 20
    .language:       OpenCL C
    .language_version:
      - 2
      - 0
    .max_flat_workgroup_size: 64
    .name:           _Z16sort_keys_kernelIiLj64ELj1EN10test_utils4lessELj10EEvPKT_PS2_T2_
    .private_segment_fixed_size: 0
    .sgpr_count:     28
    .sgpr_spill_count: 0
    .symbol:         _Z16sort_keys_kernelIiLj64ELj1EN10test_utils4lessELj10EEvPKT_PS2_T2_.kd
    .uniform_work_group_size: 1
    .uses_dynamic_stack: false
    .vgpr_count:     47
    .vgpr_spill_count: 0
    .wavefront_size: 64
  - .args:
      - .address_space:  global
        .offset:         0
        .size:           8
        .value_kind:     global_buffer
      - .address_space:  global
        .offset:         8
        .size:           8
        .value_kind:     global_buffer
      - .offset:         16
        .size:           1
        .value_kind:     by_value
    .group_segment_fixed_size: 260
    .kernarg_segment_align: 8
    .kernarg_segment_size: 20
    .language:       OpenCL C
    .language_version:
      - 2
      - 0
    .max_flat_workgroup_size: 64
    .name:           _Z17sort_pairs_kernelIiLj64ELj1EN10test_utils4lessELj10EEvPKT_PS2_T2_
    .private_segment_fixed_size: 0
    .sgpr_count:     28
    .sgpr_spill_count: 0
    .symbol:         _Z17sort_pairs_kernelIiLj64ELj1EN10test_utils4lessELj10EEvPKT_PS2_T2_.kd
    .uniform_work_group_size: 1
    .uses_dynamic_stack: false
    .vgpr_count:     54
    .vgpr_spill_count: 0
    .wavefront_size: 64
  - .args:
      - .address_space:  global
        .offset:         0
        .size:           8
        .value_kind:     global_buffer
      - .address_space:  global
        .offset:         8
        .size:           8
        .value_kind:     global_buffer
      - .offset:         16
        .size:           1
        .value_kind:     by_value
    .group_segment_fixed_size: 516
    .kernarg_segment_align: 8
    .kernarg_segment_size: 20
    .language:       OpenCL C
    .language_version:
      - 2
      - 0
    .max_flat_workgroup_size: 64
    .name:           _Z16sort_keys_kernelIiLj64ELj2EN10test_utils4lessELj10EEvPKT_PS2_T2_
    .private_segment_fixed_size: 0
    .sgpr_count:     28
    .sgpr_spill_count: 0
    .symbol:         _Z16sort_keys_kernelIiLj64ELj2EN10test_utils4lessELj10EEvPKT_PS2_T2_.kd
    .uniform_work_group_size: 1
    .uses_dynamic_stack: false
    .vgpr_count:     53
    .vgpr_spill_count: 0
    .wavefront_size: 64
  - .args:
      - .address_space:  global
        .offset:         0
        .size:           8
        .value_kind:     global_buffer
      - .address_space:  global
        .offset:         8
        .size:           8
        .value_kind:     global_buffer
      - .offset:         16
        .size:           1
        .value_kind:     by_value
    .group_segment_fixed_size: 516
    .kernarg_segment_align: 8
    .kernarg_segment_size: 20
    .language:       OpenCL C
    .language_version:
      - 2
      - 0
    .max_flat_workgroup_size: 64
    .name:           _Z17sort_pairs_kernelIiLj64ELj2EN10test_utils4lessELj10EEvPKT_PS2_T2_
    .private_segment_fixed_size: 0
    .sgpr_count:     28
    .sgpr_spill_count: 0
    .symbol:         _Z17sort_pairs_kernelIiLj64ELj2EN10test_utils4lessELj10EEvPKT_PS2_T2_.kd
    .uniform_work_group_size: 1
    .uses_dynamic_stack: false
    .vgpr_count:     57
    .vgpr_spill_count: 0
    .wavefront_size: 64
  - .args:
      - .address_space:  global
        .offset:         0
        .size:           8
        .value_kind:     global_buffer
      - .address_space:  global
        .offset:         8
        .size:           8
        .value_kind:     global_buffer
      - .offset:         16
        .size:           1
        .value_kind:     by_value
    .group_segment_fixed_size: 772
    .kernarg_segment_align: 8
    .kernarg_segment_size: 20
    .language:       OpenCL C
    .language_version:
      - 2
      - 0
    .max_flat_workgroup_size: 64
    .name:           _Z16sort_keys_kernelIiLj64ELj3EN10test_utils4lessELj10EEvPKT_PS2_T2_
    .private_segment_fixed_size: 0
    .sgpr_count:     28
    .sgpr_spill_count: 0
    .symbol:         _Z16sort_keys_kernelIiLj64ELj3EN10test_utils4lessELj10EEvPKT_PS2_T2_.kd
    .uniform_work_group_size: 1
    .uses_dynamic_stack: false
    .vgpr_count:     62
    .vgpr_spill_count: 0
    .wavefront_size: 64
  - .args:
      - .address_space:  global
        .offset:         0
        .size:           8
        .value_kind:     global_buffer
      - .address_space:  global
        .offset:         8
        .size:           8
        .value_kind:     global_buffer
      - .offset:         16
        .size:           1
        .value_kind:     by_value
    .group_segment_fixed_size: 772
    .kernarg_segment_align: 8
    .kernarg_segment_size: 20
    .language:       OpenCL C
    .language_version:
      - 2
      - 0
    .max_flat_workgroup_size: 64
    .name:           _Z17sort_pairs_kernelIiLj64ELj3EN10test_utils4lessELj10EEvPKT_PS2_T2_
    .private_segment_fixed_size: 0
    .sgpr_count:     36
    .sgpr_spill_count: 0
    .symbol:         _Z17sort_pairs_kernelIiLj64ELj3EN10test_utils4lessELj10EEvPKT_PS2_T2_.kd
    .uniform_work_group_size: 1
    .uses_dynamic_stack: false
    .vgpr_count:     68
    .vgpr_spill_count: 0
    .wavefront_size: 64
  - .args:
      - .address_space:  global
        .offset:         0
        .size:           8
        .value_kind:     global_buffer
      - .address_space:  global
        .offset:         8
        .size:           8
        .value_kind:     global_buffer
      - .offset:         16
        .size:           1
        .value_kind:     by_value
    .group_segment_fixed_size: 1028
    .kernarg_segment_align: 8
    .kernarg_segment_size: 20
    .language:       OpenCL C
    .language_version:
      - 2
      - 0
    .max_flat_workgroup_size: 64
    .name:           _Z16sort_keys_kernelIiLj64ELj4EN10test_utils4lessELj10EEvPKT_PS2_T2_
    .private_segment_fixed_size: 0
    .sgpr_count:     32
    .sgpr_spill_count: 0
    .symbol:         _Z16sort_keys_kernelIiLj64ELj4EN10test_utils4lessELj10EEvPKT_PS2_T2_.kd
    .uniform_work_group_size: 1
    .uses_dynamic_stack: false
    .vgpr_count:     58
    .vgpr_spill_count: 0
    .wavefront_size: 64
  - .args:
      - .address_space:  global
        .offset:         0
        .size:           8
        .value_kind:     global_buffer
      - .address_space:  global
        .offset:         8
        .size:           8
        .value_kind:     global_buffer
      - .offset:         16
        .size:           1
        .value_kind:     by_value
    .group_segment_fixed_size: 1028
    .kernarg_segment_align: 8
    .kernarg_segment_size: 20
    .language:       OpenCL C
    .language_version:
      - 2
      - 0
    .max_flat_workgroup_size: 64
    .name:           _Z17sort_pairs_kernelIiLj64ELj4EN10test_utils4lessELj10EEvPKT_PS2_T2_
    .private_segment_fixed_size: 0
    .sgpr_count:     46
    .sgpr_spill_count: 0
    .symbol:         _Z17sort_pairs_kernelIiLj64ELj4EN10test_utils4lessELj10EEvPKT_PS2_T2_.kd
    .uniform_work_group_size: 1
    .uses_dynamic_stack: false
    .vgpr_count:     67
    .vgpr_spill_count: 0
    .wavefront_size: 64
  - .args:
      - .address_space:  global
        .offset:         0
        .size:           8
        .value_kind:     global_buffer
      - .address_space:  global
        .offset:         8
        .size:           8
        .value_kind:     global_buffer
      - .offset:         16
        .size:           1
        .value_kind:     by_value
    .group_segment_fixed_size: 2052
    .kernarg_segment_align: 8
    .kernarg_segment_size: 20
    .language:       OpenCL C
    .language_version:
      - 2
      - 0
    .max_flat_workgroup_size: 64
    .name:           _Z16sort_keys_kernelIiLj64ELj8EN10test_utils4lessELj10EEvPKT_PS2_T2_
    .private_segment_fixed_size: 0
    .sgpr_count:     42
    .sgpr_spill_count: 0
    .symbol:         _Z16sort_keys_kernelIiLj64ELj8EN10test_utils4lessELj10EEvPKT_PS2_T2_.kd
    .uniform_work_group_size: 1
    .uses_dynamic_stack: false
    .vgpr_count:     67
    .vgpr_spill_count: 0
    .wavefront_size: 64
  - .args:
      - .address_space:  global
        .offset:         0
        .size:           8
        .value_kind:     global_buffer
      - .address_space:  global
        .offset:         8
        .size:           8
        .value_kind:     global_buffer
      - .offset:         16
        .size:           1
        .value_kind:     by_value
    .group_segment_fixed_size: 2052
    .kernarg_segment_align: 8
    .kernarg_segment_size: 20
    .language:       OpenCL C
    .language_version:
      - 2
      - 0
    .max_flat_workgroup_size: 64
    .name:           _Z17sort_pairs_kernelIiLj64ELj8EN10test_utils4lessELj10EEvPKT_PS2_T2_
    .private_segment_fixed_size: 0
    .sgpr_count:     96
    .sgpr_spill_count: 0
    .symbol:         _Z17sort_pairs_kernelIiLj64ELj8EN10test_utils4lessELj10EEvPKT_PS2_T2_.kd
    .uniform_work_group_size: 1
    .uses_dynamic_stack: false
    .vgpr_count:     87
    .vgpr_spill_count: 0
    .wavefront_size: 64
  - .args:
      - .address_space:  global
        .offset:         0
        .size:           8
        .value_kind:     global_buffer
      - .address_space:  global
        .offset:         8
        .size:           8
        .value_kind:     global_buffer
      - .offset:         16
        .size:           1
        .value_kind:     by_value
    .group_segment_fixed_size: 516
    .kernarg_segment_align: 8
    .kernarg_segment_size: 20
    .language:       OpenCL C
    .language_version:
      - 2
      - 0
    .max_flat_workgroup_size: 128
    .name:           _Z16sort_keys_kernelIiLj128ELj1EN10test_utils4lessELj10EEvPKT_PS2_T2_
    .private_segment_fixed_size: 0
    .sgpr_count:     28
    .sgpr_spill_count: 0
    .symbol:         _Z16sort_keys_kernelIiLj128ELj1EN10test_utils4lessELj10EEvPKT_PS2_T2_.kd
    .uniform_work_group_size: 1
    .uses_dynamic_stack: false
    .vgpr_count:     54
    .vgpr_spill_count: 0
    .wavefront_size: 64
  - .args:
      - .address_space:  global
        .offset:         0
        .size:           8
        .value_kind:     global_buffer
      - .address_space:  global
        .offset:         8
        .size:           8
        .value_kind:     global_buffer
      - .offset:         16
        .size:           1
        .value_kind:     by_value
    .group_segment_fixed_size: 516
    .kernarg_segment_align: 8
    .kernarg_segment_size: 20
    .language:       OpenCL C
    .language_version:
      - 2
      - 0
    .max_flat_workgroup_size: 128
    .name:           _Z17sort_pairs_kernelIiLj128ELj1EN10test_utils4lessELj10EEvPKT_PS2_T2_
    .private_segment_fixed_size: 0
    .sgpr_count:     28
    .sgpr_spill_count: 0
    .symbol:         _Z17sort_pairs_kernelIiLj128ELj1EN10test_utils4lessELj10EEvPKT_PS2_T2_.kd
    .uniform_work_group_size: 1
    .uses_dynamic_stack: false
    .vgpr_count:     60
    .vgpr_spill_count: 0
    .wavefront_size: 64
  - .args:
      - .address_space:  global
        .offset:         0
        .size:           8
        .value_kind:     global_buffer
      - .address_space:  global
        .offset:         8
        .size:           8
        .value_kind:     global_buffer
      - .offset:         16
        .size:           1
        .value_kind:     by_value
    .group_segment_fixed_size: 1028
    .kernarg_segment_align: 8
    .kernarg_segment_size: 20
    .language:       OpenCL C
    .language_version:
      - 2
      - 0
    .max_flat_workgroup_size: 128
    .name:           _Z16sort_keys_kernelIiLj128ELj2EN10test_utils4lessELj10EEvPKT_PS2_T2_
    .private_segment_fixed_size: 0
    .sgpr_count:     28
    .sgpr_spill_count: 0
    .symbol:         _Z16sort_keys_kernelIiLj128ELj2EN10test_utils4lessELj10EEvPKT_PS2_T2_.kd
    .uniform_work_group_size: 1
    .uses_dynamic_stack: false
    .vgpr_count:     62
    .vgpr_spill_count: 0
    .wavefront_size: 64
  - .args:
      - .address_space:  global
        .offset:         0
        .size:           8
        .value_kind:     global_buffer
      - .address_space:  global
        .offset:         8
        .size:           8
        .value_kind:     global_buffer
      - .offset:         16
        .size:           1
        .value_kind:     by_value
    .group_segment_fixed_size: 1028
    .kernarg_segment_align: 8
    .kernarg_segment_size: 20
    .language:       OpenCL C
    .language_version:
      - 2
      - 0
    .max_flat_workgroup_size: 128
    .name:           _Z17sort_pairs_kernelIiLj128ELj2EN10test_utils4lessELj10EEvPKT_PS2_T2_
    .private_segment_fixed_size: 0
    .sgpr_count:     32
    .sgpr_spill_count: 0
    .symbol:         _Z17sort_pairs_kernelIiLj128ELj2EN10test_utils4lessELj10EEvPKT_PS2_T2_.kd
    .uniform_work_group_size: 1
    .uses_dynamic_stack: false
    .vgpr_count:     66
    .vgpr_spill_count: 0
    .wavefront_size: 64
  - .args:
      - .address_space:  global
        .offset:         0
        .size:           8
        .value_kind:     global_buffer
      - .address_space:  global
        .offset:         8
        .size:           8
        .value_kind:     global_buffer
      - .offset:         16
        .size:           1
        .value_kind:     by_value
    .group_segment_fixed_size: 1540
    .kernarg_segment_align: 8
    .kernarg_segment_size: 20
    .language:       OpenCL C
    .language_version:
      - 2
      - 0
    .max_flat_workgroup_size: 128
    .name:           _Z16sort_keys_kernelIiLj128ELj3EN10test_utils4lessELj10EEvPKT_PS2_T2_
    .private_segment_fixed_size: 0
    .sgpr_count:     32
    .sgpr_spill_count: 0
    .symbol:         _Z16sort_keys_kernelIiLj128ELj3EN10test_utils4lessELj10EEvPKT_PS2_T2_.kd
    .uniform_work_group_size: 1
    .uses_dynamic_stack: false
    .vgpr_count:     71
    .vgpr_spill_count: 0
    .wavefront_size: 64
  - .args:
      - .address_space:  global
        .offset:         0
        .size:           8
        .value_kind:     global_buffer
      - .address_space:  global
        .offset:         8
        .size:           8
        .value_kind:     global_buffer
      - .offset:         16
        .size:           1
        .value_kind:     by_value
    .group_segment_fixed_size: 1540
    .kernarg_segment_align: 8
    .kernarg_segment_size: 20
    .language:       OpenCL C
    .language_version:
      - 2
      - 0
    .max_flat_workgroup_size: 128
    .name:           _Z17sort_pairs_kernelIiLj128ELj3EN10test_utils4lessELj10EEvPKT_PS2_T2_
    .private_segment_fixed_size: 0
    .sgpr_count:     36
    .sgpr_spill_count: 0
    .symbol:         _Z17sort_pairs_kernelIiLj128ELj3EN10test_utils4lessELj10EEvPKT_PS2_T2_.kd
    .uniform_work_group_size: 1
    .uses_dynamic_stack: false
    .vgpr_count:     77
    .vgpr_spill_count: 0
    .wavefront_size: 64
  - .args:
      - .address_space:  global
        .offset:         0
        .size:           8
        .value_kind:     global_buffer
      - .address_space:  global
        .offset:         8
        .size:           8
        .value_kind:     global_buffer
      - .offset:         16
        .size:           1
        .value_kind:     by_value
    .group_segment_fixed_size: 2052
    .kernarg_segment_align: 8
    .kernarg_segment_size: 20
    .language:       OpenCL C
    .language_version:
      - 2
      - 0
    .max_flat_workgroup_size: 128
    .name:           _Z16sort_keys_kernelIiLj128ELj4EN10test_utils4lessELj10EEvPKT_PS2_T2_
    .private_segment_fixed_size: 0
    .sgpr_count:     32
    .sgpr_spill_count: 0
    .symbol:         _Z16sort_keys_kernelIiLj128ELj4EN10test_utils4lessELj10EEvPKT_PS2_T2_.kd
    .uniform_work_group_size: 1
    .uses_dynamic_stack: false
    .vgpr_count:     66
    .vgpr_spill_count: 0
    .wavefront_size: 64
  - .args:
      - .address_space:  global
        .offset:         0
        .size:           8
        .value_kind:     global_buffer
      - .address_space:  global
        .offset:         8
        .size:           8
        .value_kind:     global_buffer
      - .offset:         16
        .size:           1
        .value_kind:     by_value
    .group_segment_fixed_size: 2052
    .kernarg_segment_align: 8
    .kernarg_segment_size: 20
    .language:       OpenCL C
    .language_version:
      - 2
      - 0
    .max_flat_workgroup_size: 128
    .name:           _Z17sort_pairs_kernelIiLj128ELj4EN10test_utils4lessELj10EEvPKT_PS2_T2_
    .private_segment_fixed_size: 0
    .sgpr_count:     48
    .sgpr_spill_count: 0
    .symbol:         _Z17sort_pairs_kernelIiLj128ELj4EN10test_utils4lessELj10EEvPKT_PS2_T2_.kd
    .uniform_work_group_size: 1
    .uses_dynamic_stack: false
    .vgpr_count:     75
    .vgpr_spill_count: 0
    .wavefront_size: 64
  - .args:
      - .address_space:  global
        .offset:         0
        .size:           8
        .value_kind:     global_buffer
      - .address_space:  global
        .offset:         8
        .size:           8
        .value_kind:     global_buffer
      - .offset:         16
        .size:           1
        .value_kind:     by_value
    .group_segment_fixed_size: 4100
    .kernarg_segment_align: 8
    .kernarg_segment_size: 20
    .language:       OpenCL C
    .language_version:
      - 2
      - 0
    .max_flat_workgroup_size: 128
    .name:           _Z16sort_keys_kernelIiLj128ELj8EN10test_utils4lessELj10EEvPKT_PS2_T2_
    .private_segment_fixed_size: 0
    .sgpr_count:     42
    .sgpr_spill_count: 0
    .symbol:         _Z16sort_keys_kernelIiLj128ELj8EN10test_utils4lessELj10EEvPKT_PS2_T2_.kd
    .uniform_work_group_size: 1
    .uses_dynamic_stack: false
    .vgpr_count:     75
    .vgpr_spill_count: 0
    .wavefront_size: 64
  - .args:
      - .address_space:  global
        .offset:         0
        .size:           8
        .value_kind:     global_buffer
      - .address_space:  global
        .offset:         8
        .size:           8
        .value_kind:     global_buffer
      - .offset:         16
        .size:           1
        .value_kind:     by_value
    .group_segment_fixed_size: 4100
    .kernarg_segment_align: 8
    .kernarg_segment_size: 20
    .language:       OpenCL C
    .language_version:
      - 2
      - 0
    .max_flat_workgroup_size: 128
    .name:           _Z17sort_pairs_kernelIiLj128ELj8EN10test_utils4lessELj10EEvPKT_PS2_T2_
    .private_segment_fixed_size: 0
    .sgpr_count:     100
    .sgpr_spill_count: 0
    .symbol:         _Z17sort_pairs_kernelIiLj128ELj8EN10test_utils4lessELj10EEvPKT_PS2_T2_.kd
    .uniform_work_group_size: 1
    .uses_dynamic_stack: false
    .vgpr_count:     95
    .vgpr_spill_count: 0
    .wavefront_size: 64
  - .args:
      - .address_space:  global
        .offset:         0
        .size:           8
        .value_kind:     global_buffer
      - .address_space:  global
        .offset:         8
        .size:           8
        .value_kind:     global_buffer
      - .offset:         16
        .size:           1
        .value_kind:     by_value
    .group_segment_fixed_size: 1028
    .kernarg_segment_align: 8
    .kernarg_segment_size: 20
    .language:       OpenCL C
    .language_version:
      - 2
      - 0
    .max_flat_workgroup_size: 256
    .name:           _Z16sort_keys_kernelIiLj256ELj1EN10test_utils4lessELj10EEvPKT_PS2_T2_
    .private_segment_fixed_size: 0
    .sgpr_count:     32
    .sgpr_spill_count: 0
    .symbol:         _Z16sort_keys_kernelIiLj256ELj1EN10test_utils4lessELj10EEvPKT_PS2_T2_.kd
    .uniform_work_group_size: 1
    .uses_dynamic_stack: false
    .vgpr_count:     62
    .vgpr_spill_count: 0
    .wavefront_size: 64
  - .args:
      - .address_space:  global
        .offset:         0
        .size:           8
        .value_kind:     global_buffer
      - .address_space:  global
        .offset:         8
        .size:           8
        .value_kind:     global_buffer
      - .offset:         16
        .size:           1
        .value_kind:     by_value
    .group_segment_fixed_size: 1028
    .kernarg_segment_align: 8
    .kernarg_segment_size: 20
    .language:       OpenCL C
    .language_version:
      - 2
      - 0
    .max_flat_workgroup_size: 256
    .name:           _Z17sort_pairs_kernelIiLj256ELj1EN10test_utils4lessELj10EEvPKT_PS2_T2_
    .private_segment_fixed_size: 0
    .sgpr_count:     32
    .sgpr_spill_count: 0
    .symbol:         _Z17sort_pairs_kernelIiLj256ELj1EN10test_utils4lessELj10EEvPKT_PS2_T2_.kd
    .uniform_work_group_size: 1
    .uses_dynamic_stack: false
    .vgpr_count:     69
    .vgpr_spill_count: 0
    .wavefront_size: 64
  - .args:
      - .address_space:  global
        .offset:         0
        .size:           8
        .value_kind:     global_buffer
      - .address_space:  global
        .offset:         8
        .size:           8
        .value_kind:     global_buffer
      - .offset:         16
        .size:           1
        .value_kind:     by_value
    .group_segment_fixed_size: 2052
    .kernarg_segment_align: 8
    .kernarg_segment_size: 20
    .language:       OpenCL C
    .language_version:
      - 2
      - 0
    .max_flat_workgroup_size: 256
    .name:           _Z16sort_keys_kernelIiLj256ELj2EN10test_utils4lessELj10EEvPKT_PS2_T2_
    .private_segment_fixed_size: 0
    .sgpr_count:     32
    .sgpr_spill_count: 0
    .symbol:         _Z16sort_keys_kernelIiLj256ELj2EN10test_utils4lessELj10EEvPKT_PS2_T2_.kd
    .uniform_work_group_size: 1
    .uses_dynamic_stack: false
    .vgpr_count:     70
    .vgpr_spill_count: 0
    .wavefront_size: 64
  - .args:
      - .address_space:  global
        .offset:         0
        .size:           8
        .value_kind:     global_buffer
      - .address_space:  global
        .offset:         8
        .size:           8
        .value_kind:     global_buffer
      - .offset:         16
        .size:           1
        .value_kind:     by_value
    .group_segment_fixed_size: 2052
    .kernarg_segment_align: 8
    .kernarg_segment_size: 20
    .language:       OpenCL C
    .language_version:
      - 2
      - 0
    .max_flat_workgroup_size: 256
    .name:           _Z17sort_pairs_kernelIiLj256ELj2EN10test_utils4lessELj10EEvPKT_PS2_T2_
    .private_segment_fixed_size: 0
    .sgpr_count:     32
    .sgpr_spill_count: 0
    .symbol:         _Z17sort_pairs_kernelIiLj256ELj2EN10test_utils4lessELj10EEvPKT_PS2_T2_.kd
    .uniform_work_group_size: 1
    .uses_dynamic_stack: false
    .vgpr_count:     74
    .vgpr_spill_count: 0
    .wavefront_size: 64
  - .args:
      - .address_space:  global
        .offset:         0
        .size:           8
        .value_kind:     global_buffer
      - .address_space:  global
        .offset:         8
        .size:           8
        .value_kind:     global_buffer
      - .offset:         16
        .size:           1
        .value_kind:     by_value
    .group_segment_fixed_size: 3076
    .kernarg_segment_align: 8
    .kernarg_segment_size: 20
    .language:       OpenCL C
    .language_version:
      - 2
      - 0
    .max_flat_workgroup_size: 256
    .name:           _Z16sort_keys_kernelIiLj256ELj3EN10test_utils4lessELj10EEvPKT_PS2_T2_
    .private_segment_fixed_size: 0
    .sgpr_count:     32
    .sgpr_spill_count: 0
    .symbol:         _Z16sort_keys_kernelIiLj256ELj3EN10test_utils4lessELj10EEvPKT_PS2_T2_.kd
    .uniform_work_group_size: 1
    .uses_dynamic_stack: false
    .vgpr_count:     80
    .vgpr_spill_count: 0
    .wavefront_size: 64
  - .args:
      - .address_space:  global
        .offset:         0
        .size:           8
        .value_kind:     global_buffer
      - .address_space:  global
        .offset:         8
        .size:           8
        .value_kind:     global_buffer
      - .offset:         16
        .size:           1
        .value_kind:     by_value
    .group_segment_fixed_size: 3076
    .kernarg_segment_align: 8
    .kernarg_segment_size: 20
    .language:       OpenCL C
    .language_version:
      - 2
      - 0
    .max_flat_workgroup_size: 256
    .name:           _Z17sort_pairs_kernelIiLj256ELj3EN10test_utils4lessELj10EEvPKT_PS2_T2_
    .private_segment_fixed_size: 0
    .sgpr_count:     42
    .sgpr_spill_count: 0
    .symbol:         _Z17sort_pairs_kernelIiLj256ELj3EN10test_utils4lessELj10EEvPKT_PS2_T2_.kd
    .uniform_work_group_size: 1
    .uses_dynamic_stack: false
    .vgpr_count:     84
    .vgpr_spill_count: 0
    .wavefront_size: 64
  - .args:
      - .address_space:  global
        .offset:         0
        .size:           8
        .value_kind:     global_buffer
      - .address_space:  global
        .offset:         8
        .size:           8
        .value_kind:     global_buffer
      - .offset:         16
        .size:           1
        .value_kind:     by_value
    .group_segment_fixed_size: 4100
    .kernarg_segment_align: 8
    .kernarg_segment_size: 20
    .language:       OpenCL C
    .language_version:
      - 2
      - 0
    .max_flat_workgroup_size: 256
    .name:           _Z16sort_keys_kernelIiLj256ELj4EN10test_utils4lessELj10EEvPKT_PS2_T2_
    .private_segment_fixed_size: 0
    .sgpr_count:     36
    .sgpr_spill_count: 0
    .symbol:         _Z16sort_keys_kernelIiLj256ELj4EN10test_utils4lessELj10EEvPKT_PS2_T2_.kd
    .uniform_work_group_size: 1
    .uses_dynamic_stack: false
    .vgpr_count:     74
    .vgpr_spill_count: 0
    .wavefront_size: 64
  - .args:
      - .address_space:  global
        .offset:         0
        .size:           8
        .value_kind:     global_buffer
      - .address_space:  global
        .offset:         8
        .size:           8
        .value_kind:     global_buffer
      - .offset:         16
        .size:           1
        .value_kind:     by_value
    .group_segment_fixed_size: 4100
    .kernarg_segment_align: 8
    .kernarg_segment_size: 20
    .language:       OpenCL C
    .language_version:
      - 2
      - 0
    .max_flat_workgroup_size: 256
    .name:           _Z17sort_pairs_kernelIiLj256ELj4EN10test_utils4lessELj10EEvPKT_PS2_T2_
    .private_segment_fixed_size: 0
    .sgpr_count:     48
    .sgpr_spill_count: 0
    .symbol:         _Z17sort_pairs_kernelIiLj256ELj4EN10test_utils4lessELj10EEvPKT_PS2_T2_.kd
    .uniform_work_group_size: 1
    .uses_dynamic_stack: false
    .vgpr_count:     83
    .vgpr_spill_count: 0
    .wavefront_size: 64
  - .args:
      - .address_space:  global
        .offset:         0
        .size:           8
        .value_kind:     global_buffer
      - .address_space:  global
        .offset:         8
        .size:           8
        .value_kind:     global_buffer
      - .offset:         16
        .size:           1
        .value_kind:     by_value
    .group_segment_fixed_size: 8196
    .kernarg_segment_align: 8
    .kernarg_segment_size: 20
    .language:       OpenCL C
    .language_version:
      - 2
      - 0
    .max_flat_workgroup_size: 256
    .name:           _Z16sort_keys_kernelIiLj256ELj8EN10test_utils4lessELj10EEvPKT_PS2_T2_
    .private_segment_fixed_size: 0
    .sgpr_count:     46
    .sgpr_spill_count: 0
    .symbol:         _Z16sort_keys_kernelIiLj256ELj8EN10test_utils4lessELj10EEvPKT_PS2_T2_.kd
    .uniform_work_group_size: 1
    .uses_dynamic_stack: false
    .vgpr_count:     83
    .vgpr_spill_count: 0
    .wavefront_size: 64
  - .args:
      - .address_space:  global
        .offset:         0
        .size:           8
        .value_kind:     global_buffer
      - .address_space:  global
        .offset:         8
        .size:           8
        .value_kind:     global_buffer
      - .offset:         16
        .size:           1
        .value_kind:     by_value
    .group_segment_fixed_size: 8196
    .kernarg_segment_align: 8
    .kernarg_segment_size: 20
    .language:       OpenCL C
    .language_version:
      - 2
      - 0
    .max_flat_workgroup_size: 256
    .name:           _Z17sort_pairs_kernelIiLj256ELj8EN10test_utils4lessELj10EEvPKT_PS2_T2_
    .private_segment_fixed_size: 0
    .sgpr_count:     100
    .sgpr_spill_count: 4
    .symbol:         _Z17sort_pairs_kernelIiLj256ELj8EN10test_utils4lessELj10EEvPKT_PS2_T2_.kd
    .uniform_work_group_size: 1
    .uses_dynamic_stack: false
    .vgpr_count:     104
    .vgpr_spill_count: 0
    .wavefront_size: 64
  - .args:
      - .address_space:  global
        .offset:         0
        .size:           8
        .value_kind:     global_buffer
      - .address_space:  global
        .offset:         8
        .size:           8
        .value_kind:     global_buffer
      - .offset:         16
        .size:           1
        .value_kind:     by_value
    .group_segment_fixed_size: 2052
    .kernarg_segment_align: 8
    .kernarg_segment_size: 20
    .language:       OpenCL C
    .language_version:
      - 2
      - 0
    .max_flat_workgroup_size: 512
    .name:           _Z16sort_keys_kernelIiLj512ELj1EN10test_utils4lessELj10EEvPKT_PS2_T2_
    .private_segment_fixed_size: 0
    .sgpr_count:     32
    .sgpr_spill_count: 0
    .symbol:         _Z16sort_keys_kernelIiLj512ELj1EN10test_utils4lessELj10EEvPKT_PS2_T2_.kd
    .uniform_work_group_size: 1
    .uses_dynamic_stack: false
    .vgpr_count:     69
    .vgpr_spill_count: 0
    .wavefront_size: 64
  - .args:
      - .address_space:  global
        .offset:         0
        .size:           8
        .value_kind:     global_buffer
      - .address_space:  global
        .offset:         8
        .size:           8
        .value_kind:     global_buffer
      - .offset:         16
        .size:           1
        .value_kind:     by_value
    .group_segment_fixed_size: 2052
    .kernarg_segment_align: 8
    .kernarg_segment_size: 20
    .language:       OpenCL C
    .language_version:
      - 2
      - 0
    .max_flat_workgroup_size: 512
    .name:           _Z17sort_pairs_kernelIiLj512ELj1EN10test_utils4lessELj10EEvPKT_PS2_T2_
    .private_segment_fixed_size: 0
    .sgpr_count:     32
    .sgpr_spill_count: 0
    .symbol:         _Z17sort_pairs_kernelIiLj512ELj1EN10test_utils4lessELj10EEvPKT_PS2_T2_.kd
    .uniform_work_group_size: 1
    .uses_dynamic_stack: false
    .vgpr_count:     77
    .vgpr_spill_count: 0
    .wavefront_size: 64
  - .args:
      - .address_space:  global
        .offset:         0
        .size:           8
        .value_kind:     global_buffer
      - .address_space:  global
        .offset:         8
        .size:           8
        .value_kind:     global_buffer
      - .offset:         16
        .size:           1
        .value_kind:     by_value
    .group_segment_fixed_size: 4100
    .kernarg_segment_align: 8
    .kernarg_segment_size: 20
    .language:       OpenCL C
    .language_version:
      - 2
      - 0
    .max_flat_workgroup_size: 512
    .name:           _Z16sort_keys_kernelIiLj512ELj2EN10test_utils4lessELj10EEvPKT_PS2_T2_
    .private_segment_fixed_size: 0
    .sgpr_count:     32
    .sgpr_spill_count: 0
    .symbol:         _Z16sort_keys_kernelIiLj512ELj2EN10test_utils4lessELj10EEvPKT_PS2_T2_.kd
    .uniform_work_group_size: 1
    .uses_dynamic_stack: false
    .vgpr_count:     78
    .vgpr_spill_count: 0
    .wavefront_size: 64
  - .args:
      - .address_space:  global
        .offset:         0
        .size:           8
        .value_kind:     global_buffer
      - .address_space:  global
        .offset:         8
        .size:           8
        .value_kind:     global_buffer
      - .offset:         16
        .size:           1
        .value_kind:     by_value
    .group_segment_fixed_size: 4100
    .kernarg_segment_align: 8
    .kernarg_segment_size: 20
    .language:       OpenCL C
    .language_version:
      - 2
      - 0
    .max_flat_workgroup_size: 512
    .name:           _Z17sort_pairs_kernelIiLj512ELj2EN10test_utils4lessELj10EEvPKT_PS2_T2_
    .private_segment_fixed_size: 0
    .sgpr_count:     36
    .sgpr_spill_count: 0
    .symbol:         _Z17sort_pairs_kernelIiLj512ELj2EN10test_utils4lessELj10EEvPKT_PS2_T2_.kd
    .uniform_work_group_size: 1
    .uses_dynamic_stack: false
    .vgpr_count:     82
    .vgpr_spill_count: 0
    .wavefront_size: 64
  - .args:
      - .address_space:  global
        .offset:         0
        .size:           8
        .value_kind:     global_buffer
      - .address_space:  global
        .offset:         8
        .size:           8
        .value_kind:     global_buffer
      - .offset:         16
        .size:           1
        .value_kind:     by_value
    .group_segment_fixed_size: 6148
    .kernarg_segment_align: 8
    .kernarg_segment_size: 20
    .language:       OpenCL C
    .language_version:
      - 2
      - 0
    .max_flat_workgroup_size: 512
    .name:           _Z16sort_keys_kernelIiLj512ELj3EN10test_utils4lessELj10EEvPKT_PS2_T2_
    .private_segment_fixed_size: 0
    .sgpr_count:     36
    .sgpr_spill_count: 0
    .symbol:         _Z16sort_keys_kernelIiLj512ELj3EN10test_utils4lessELj10EEvPKT_PS2_T2_.kd
    .uniform_work_group_size: 1
    .uses_dynamic_stack: false
    .vgpr_count:     89
    .vgpr_spill_count: 0
    .wavefront_size: 64
  - .args:
      - .address_space:  global
        .offset:         0
        .size:           8
        .value_kind:     global_buffer
      - .address_space:  global
        .offset:         8
        .size:           8
        .value_kind:     global_buffer
      - .offset:         16
        .size:           1
        .value_kind:     by_value
    .group_segment_fixed_size: 6148
    .kernarg_segment_align: 8
    .kernarg_segment_size: 20
    .language:       OpenCL C
    .language_version:
      - 2
      - 0
    .max_flat_workgroup_size: 512
    .name:           _Z17sort_pairs_kernelIiLj512ELj3EN10test_utils4lessELj10EEvPKT_PS2_T2_
    .private_segment_fixed_size: 0
    .sgpr_count:     42
    .sgpr_spill_count: 0
    .symbol:         _Z17sort_pairs_kernelIiLj512ELj3EN10test_utils4lessELj10EEvPKT_PS2_T2_.kd
    .uniform_work_group_size: 1
    .uses_dynamic_stack: false
    .vgpr_count:     95
    .vgpr_spill_count: 0
    .wavefront_size: 64
  - .args:
      - .address_space:  global
        .offset:         0
        .size:           8
        .value_kind:     global_buffer
      - .address_space:  global
        .offset:         8
        .size:           8
        .value_kind:     global_buffer
      - .offset:         16
        .size:           1
        .value_kind:     by_value
    .group_segment_fixed_size: 8196
    .kernarg_segment_align: 8
    .kernarg_segment_size: 20
    .language:       OpenCL C
    .language_version:
      - 2
      - 0
    .max_flat_workgroup_size: 512
    .name:           _Z16sort_keys_kernelIiLj512ELj4EN10test_utils4lessELj10EEvPKT_PS2_T2_
    .private_segment_fixed_size: 0
    .sgpr_count:     36
    .sgpr_spill_count: 0
    .symbol:         _Z16sort_keys_kernelIiLj512ELj4EN10test_utils4lessELj10EEvPKT_PS2_T2_.kd
    .uniform_work_group_size: 1
    .uses_dynamic_stack: false
    .vgpr_count:     82
    .vgpr_spill_count: 0
    .wavefront_size: 64
  - .args:
      - .address_space:  global
        .offset:         0
        .size:           8
        .value_kind:     global_buffer
      - .address_space:  global
        .offset:         8
        .size:           8
        .value_kind:     global_buffer
      - .offset:         16
        .size:           1
        .value_kind:     by_value
    .group_segment_fixed_size: 8196
    .kernarg_segment_align: 8
    .kernarg_segment_size: 20
    .language:       OpenCL C
    .language_version:
      - 2
      - 0
    .max_flat_workgroup_size: 512
    .name:           _Z17sort_pairs_kernelIiLj512ELj4EN10test_utils4lessELj10EEvPKT_PS2_T2_
    .private_segment_fixed_size: 0
    .sgpr_count:     52
    .sgpr_spill_count: 0
    .symbol:         _Z17sort_pairs_kernelIiLj512ELj4EN10test_utils4lessELj10EEvPKT_PS2_T2_.kd
    .uniform_work_group_size: 1
    .uses_dynamic_stack: false
    .vgpr_count:     91
    .vgpr_spill_count: 0
    .wavefront_size: 64
  - .args:
      - .address_space:  global
        .offset:         0
        .size:           8
        .value_kind:     global_buffer
      - .address_space:  global
        .offset:         8
        .size:           8
        .value_kind:     global_buffer
      - .offset:         16
        .size:           1
        .value_kind:     by_value
    .group_segment_fixed_size: 16388
    .kernarg_segment_align: 8
    .kernarg_segment_size: 20
    .language:       OpenCL C
    .language_version:
      - 2
      - 0
    .max_flat_workgroup_size: 512
    .name:           _Z16sort_keys_kernelIiLj512ELj8EN10test_utils4lessELj10EEvPKT_PS2_T2_
    .private_segment_fixed_size: 0
    .sgpr_count:     48
    .sgpr_spill_count: 0
    .symbol:         _Z16sort_keys_kernelIiLj512ELj8EN10test_utils4lessELj10EEvPKT_PS2_T2_.kd
    .uniform_work_group_size: 1
    .uses_dynamic_stack: false
    .vgpr_count:     91
    .vgpr_spill_count: 0
    .wavefront_size: 64
  - .args:
      - .address_space:  global
        .offset:         0
        .size:           8
        .value_kind:     global_buffer
      - .address_space:  global
        .offset:         8
        .size:           8
        .value_kind:     global_buffer
      - .offset:         16
        .size:           1
        .value_kind:     by_value
    .group_segment_fixed_size: 16388
    .kernarg_segment_align: 8
    .kernarg_segment_size: 20
    .language:       OpenCL C
    .language_version:
      - 2
      - 0
    .max_flat_workgroup_size: 512
    .name:           _Z17sort_pairs_kernelIiLj512ELj8EN10test_utils4lessELj10EEvPKT_PS2_T2_
    .private_segment_fixed_size: 0
    .sgpr_count:     100
    .sgpr_spill_count: 6
    .symbol:         _Z17sort_pairs_kernelIiLj512ELj8EN10test_utils4lessELj10EEvPKT_PS2_T2_.kd
    .uniform_work_group_size: 1
    .uses_dynamic_stack: false
    .vgpr_count:     112
    .vgpr_spill_count: 0
    .wavefront_size: 64
  - .args:
      - .address_space:  global
        .offset:         0
        .size:           8
        .value_kind:     global_buffer
      - .address_space:  global
        .offset:         8
        .size:           8
        .value_kind:     global_buffer
      - .offset:         16
        .size:           1
        .value_kind:     by_value
    .group_segment_fixed_size: 65
    .kernarg_segment_align: 8
    .kernarg_segment_size: 20
    .language:       OpenCL C
    .language_version:
      - 2
      - 0
    .max_flat_workgroup_size: 64
    .name:           _Z16sort_keys_kernelIaLj64ELj1EN10test_utils4lessELj10EEvPKT_PS2_T2_
    .private_segment_fixed_size: 0
    .sgpr_count:     24
    .sgpr_spill_count: 0
    .symbol:         _Z16sort_keys_kernelIaLj64ELj1EN10test_utils4lessELj10EEvPKT_PS2_T2_.kd
    .uniform_work_group_size: 1
    .uses_dynamic_stack: false
    .vgpr_count:     40
    .vgpr_spill_count: 0
    .wavefront_size: 64
  - .args:
      - .address_space:  global
        .offset:         0
        .size:           8
        .value_kind:     global_buffer
      - .address_space:  global
        .offset:         8
        .size:           8
        .value_kind:     global_buffer
      - .offset:         16
        .size:           1
        .value_kind:     by_value
    .group_segment_fixed_size: 65
    .kernarg_segment_align: 8
    .kernarg_segment_size: 20
    .language:       OpenCL C
    .language_version:
      - 2
      - 0
    .max_flat_workgroup_size: 64
    .name:           _Z17sort_pairs_kernelIaLj64ELj1EN10test_utils4lessELj10EEvPKT_PS2_T2_
    .private_segment_fixed_size: 0
    .sgpr_count:     24
    .sgpr_spill_count: 0
    .symbol:         _Z17sort_pairs_kernelIaLj64ELj1EN10test_utils4lessELj10EEvPKT_PS2_T2_.kd
    .uniform_work_group_size: 1
    .uses_dynamic_stack: false
    .vgpr_count:     40
    .vgpr_spill_count: 0
    .wavefront_size: 64
  - .args:
      - .address_space:  global
        .offset:         0
        .size:           8
        .value_kind:     global_buffer
      - .address_space:  global
        .offset:         8
        .size:           8
        .value_kind:     global_buffer
      - .offset:         16
        .size:           1
        .value_kind:     by_value
    .group_segment_fixed_size: 129
    .kernarg_segment_align: 8
    .kernarg_segment_size: 20
    .language:       OpenCL C
    .language_version:
      - 2
      - 0
    .max_flat_workgroup_size: 64
    .name:           _Z16sort_keys_kernelIaLj64ELj2EN10test_utils4lessELj10EEvPKT_PS2_T2_
    .private_segment_fixed_size: 0
    .sgpr_count:     26
    .sgpr_spill_count: 0
    .symbol:         _Z16sort_keys_kernelIaLj64ELj2EN10test_utils4lessELj10EEvPKT_PS2_T2_.kd
    .uniform_work_group_size: 1
    .uses_dynamic_stack: false
    .vgpr_count:     42
    .vgpr_spill_count: 0
    .wavefront_size: 64
  - .args:
      - .address_space:  global
        .offset:         0
        .size:           8
        .value_kind:     global_buffer
      - .address_space:  global
        .offset:         8
        .size:           8
        .value_kind:     global_buffer
      - .offset:         16
        .size:           1
        .value_kind:     by_value
    .group_segment_fixed_size: 129
    .kernarg_segment_align: 8
    .kernarg_segment_size: 20
    .language:       OpenCL C
    .language_version:
      - 2
      - 0
    .max_flat_workgroup_size: 64
    .name:           _Z17sort_pairs_kernelIaLj64ELj2EN10test_utils4lessELj10EEvPKT_PS2_T2_
    .private_segment_fixed_size: 0
    .sgpr_count:     28
    .sgpr_spill_count: 0
    .symbol:         _Z17sort_pairs_kernelIaLj64ELj2EN10test_utils4lessELj10EEvPKT_PS2_T2_.kd
    .uniform_work_group_size: 1
    .uses_dynamic_stack: false
    .vgpr_count:     46
    .vgpr_spill_count: 0
    .wavefront_size: 64
  - .args:
      - .address_space:  global
        .offset:         0
        .size:           8
        .value_kind:     global_buffer
      - .address_space:  global
        .offset:         8
        .size:           8
        .value_kind:     global_buffer
      - .offset:         16
        .size:           1
        .value_kind:     by_value
    .group_segment_fixed_size: 193
    .kernarg_segment_align: 8
    .kernarg_segment_size: 20
    .language:       OpenCL C
    .language_version:
      - 2
      - 0
    .max_flat_workgroup_size: 64
    .name:           _Z16sort_keys_kernelIaLj64ELj3EN10test_utils4lessELj10EEvPKT_PS2_T2_
    .private_segment_fixed_size: 0
    .sgpr_count:     30
    .sgpr_spill_count: 0
    .symbol:         _Z16sort_keys_kernelIaLj64ELj3EN10test_utils4lessELj10EEvPKT_PS2_T2_.kd
    .uniform_work_group_size: 1
    .uses_dynamic_stack: false
    .vgpr_count:     50
    .vgpr_spill_count: 0
    .wavefront_size: 64
  - .args:
      - .address_space:  global
        .offset:         0
        .size:           8
        .value_kind:     global_buffer
      - .address_space:  global
        .offset:         8
        .size:           8
        .value_kind:     global_buffer
      - .offset:         16
        .size:           1
        .value_kind:     by_value
    .group_segment_fixed_size: 193
    .kernarg_segment_align: 8
    .kernarg_segment_size: 20
    .language:       OpenCL C
    .language_version:
      - 2
      - 0
    .max_flat_workgroup_size: 64
    .name:           _Z17sort_pairs_kernelIaLj64ELj3EN10test_utils4lessELj10EEvPKT_PS2_T2_
    .private_segment_fixed_size: 0
    .sgpr_count:     40
    .sgpr_spill_count: 0
    .symbol:         _Z17sort_pairs_kernelIaLj64ELj3EN10test_utils4lessELj10EEvPKT_PS2_T2_.kd
    .uniform_work_group_size: 1
    .uses_dynamic_stack: false
    .vgpr_count:     56
    .vgpr_spill_count: 0
    .wavefront_size: 64
  - .args:
      - .address_space:  global
        .offset:         0
        .size:           8
        .value_kind:     global_buffer
      - .address_space:  global
        .offset:         8
        .size:           8
        .value_kind:     global_buffer
      - .offset:         16
        .size:           1
        .value_kind:     by_value
    .group_segment_fixed_size: 257
    .kernarg_segment_align: 8
    .kernarg_segment_size: 20
    .language:       OpenCL C
    .language_version:
      - 2
      - 0
    .max_flat_workgroup_size: 64
    .name:           _Z16sort_keys_kernelIaLj64ELj4EN10test_utils4lessELj10EEvPKT_PS2_T2_
    .private_segment_fixed_size: 0
    .sgpr_count:     34
    .sgpr_spill_count: 0
    .symbol:         _Z16sort_keys_kernelIaLj64ELj4EN10test_utils4lessELj10EEvPKT_PS2_T2_.kd
    .uniform_work_group_size: 1
    .uses_dynamic_stack: false
    .vgpr_count:     48
    .vgpr_spill_count: 0
    .wavefront_size: 64
  - .args:
      - .address_space:  global
        .offset:         0
        .size:           8
        .value_kind:     global_buffer
      - .address_space:  global
        .offset:         8
        .size:           8
        .value_kind:     global_buffer
      - .offset:         16
        .size:           1
        .value_kind:     by_value
    .group_segment_fixed_size: 257
    .kernarg_segment_align: 8
    .kernarg_segment_size: 20
    .language:       OpenCL C
    .language_version:
      - 2
      - 0
    .max_flat_workgroup_size: 64
    .name:           _Z17sort_pairs_kernelIaLj64ELj4EN10test_utils4lessELj10EEvPKT_PS2_T2_
    .private_segment_fixed_size: 0
    .sgpr_count:     48
    .sgpr_spill_count: 0
    .symbol:         _Z17sort_pairs_kernelIaLj64ELj4EN10test_utils4lessELj10EEvPKT_PS2_T2_.kd
    .uniform_work_group_size: 1
    .uses_dynamic_stack: false
    .vgpr_count:     56
    .vgpr_spill_count: 0
    .wavefront_size: 64
  - .args:
      - .address_space:  global
        .offset:         0
        .size:           8
        .value_kind:     global_buffer
      - .address_space:  global
        .offset:         8
        .size:           8
        .value_kind:     global_buffer
      - .offset:         16
        .size:           1
        .value_kind:     by_value
    .group_segment_fixed_size: 513
    .kernarg_segment_align: 8
    .kernarg_segment_size: 20
    .language:       OpenCL C
    .language_version:
      - 2
      - 0
    .max_flat_workgroup_size: 64
    .name:           _Z16sort_keys_kernelIaLj64ELj8EN10test_utils4lessELj10EEvPKT_PS2_T2_
    .private_segment_fixed_size: 0
    .sgpr_count:     48
    .sgpr_spill_count: 0
    .symbol:         _Z16sort_keys_kernelIaLj64ELj8EN10test_utils4lessELj10EEvPKT_PS2_T2_.kd
    .uniform_work_group_size: 1
    .uses_dynamic_stack: false
    .vgpr_count:     55
    .vgpr_spill_count: 0
    .wavefront_size: 64
  - .args:
      - .address_space:  global
        .offset:         0
        .size:           8
        .value_kind:     global_buffer
      - .address_space:  global
        .offset:         8
        .size:           8
        .value_kind:     global_buffer
      - .offset:         16
        .size:           1
        .value_kind:     by_value
    .group_segment_fixed_size: 513
    .kernarg_segment_align: 8
    .kernarg_segment_size: 20
    .language:       OpenCL C
    .language_version:
      - 2
      - 0
    .max_flat_workgroup_size: 64
    .name:           _Z17sort_pairs_kernelIaLj64ELj8EN10test_utils4lessELj10EEvPKT_PS2_T2_
    .private_segment_fixed_size: 0
    .sgpr_count:     100
    .sgpr_spill_count: 7
    .symbol:         _Z17sort_pairs_kernelIaLj64ELj8EN10test_utils4lessELj10EEvPKT_PS2_T2_.kd
    .uniform_work_group_size: 1
    .uses_dynamic_stack: false
    .vgpr_count:     77
    .vgpr_spill_count: 0
    .wavefront_size: 64
  - .args:
      - .address_space:  global
        .offset:         0
        .size:           8
        .value_kind:     global_buffer
      - .address_space:  global
        .offset:         8
        .size:           8
        .value_kind:     global_buffer
      - .offset:         16
        .size:           1
        .value_kind:     by_value
    .group_segment_fixed_size: 129
    .kernarg_segment_align: 8
    .kernarg_segment_size: 20
    .language:       OpenCL C
    .language_version:
      - 2
      - 0
    .max_flat_workgroup_size: 128
    .name:           _Z16sort_keys_kernelIaLj128ELj1EN10test_utils4lessELj10EEvPKT_PS2_T2_
    .private_segment_fixed_size: 0
    .sgpr_count:     27
    .sgpr_spill_count: 0
    .symbol:         _Z16sort_keys_kernelIaLj128ELj1EN10test_utils4lessELj10EEvPKT_PS2_T2_.kd
    .uniform_work_group_size: 1
    .uses_dynamic_stack: false
    .vgpr_count:     46
    .vgpr_spill_count: 0
    .wavefront_size: 64
  - .args:
      - .address_space:  global
        .offset:         0
        .size:           8
        .value_kind:     global_buffer
      - .address_space:  global
        .offset:         8
        .size:           8
        .value_kind:     global_buffer
      - .offset:         16
        .size:           1
        .value_kind:     by_value
    .group_segment_fixed_size: 129
    .kernarg_segment_align: 8
    .kernarg_segment_size: 20
    .language:       OpenCL C
    .language_version:
      - 2
      - 0
    .max_flat_workgroup_size: 128
    .name:           _Z17sort_pairs_kernelIaLj128ELj1EN10test_utils4lessELj10EEvPKT_PS2_T2_
    .private_segment_fixed_size: 0
    .sgpr_count:     27
    .sgpr_spill_count: 0
    .symbol:         _Z17sort_pairs_kernelIaLj128ELj1EN10test_utils4lessELj10EEvPKT_PS2_T2_.kd
    .uniform_work_group_size: 1
    .uses_dynamic_stack: false
    .vgpr_count:     48
    .vgpr_spill_count: 0
    .wavefront_size: 64
  - .args:
      - .address_space:  global
        .offset:         0
        .size:           8
        .value_kind:     global_buffer
      - .address_space:  global
        .offset:         8
        .size:           8
        .value_kind:     global_buffer
      - .offset:         16
        .size:           1
        .value_kind:     by_value
    .group_segment_fixed_size: 257
    .kernarg_segment_align: 8
    .kernarg_segment_size: 20
    .language:       OpenCL C
    .language_version:
      - 2
      - 0
    .max_flat_workgroup_size: 128
    .name:           _Z16sort_keys_kernelIaLj128ELj2EN10test_utils4lessELj10EEvPKT_PS2_T2_
    .private_segment_fixed_size: 0
    .sgpr_count:     28
    .sgpr_spill_count: 0
    .symbol:         _Z16sort_keys_kernelIaLj128ELj2EN10test_utils4lessELj10EEvPKT_PS2_T2_.kd
    .uniform_work_group_size: 1
    .uses_dynamic_stack: false
    .vgpr_count:     49
    .vgpr_spill_count: 0
    .wavefront_size: 64
  - .args:
      - .address_space:  global
        .offset:         0
        .size:           8
        .value_kind:     global_buffer
      - .address_space:  global
        .offset:         8
        .size:           8
        .value_kind:     global_buffer
      - .offset:         16
        .size:           1
        .value_kind:     by_value
    .group_segment_fixed_size: 257
    .kernarg_segment_align: 8
    .kernarg_segment_size: 20
    .language:       OpenCL C
    .language_version:
      - 2
      - 0
    .max_flat_workgroup_size: 128
    .name:           _Z17sort_pairs_kernelIaLj128ELj2EN10test_utils4lessELj10EEvPKT_PS2_T2_
    .private_segment_fixed_size: 0
    .sgpr_count:     30
    .sgpr_spill_count: 0
    .symbol:         _Z17sort_pairs_kernelIaLj128ELj2EN10test_utils4lessELj10EEvPKT_PS2_T2_.kd
    .uniform_work_group_size: 1
    .uses_dynamic_stack: false
    .vgpr_count:     52
    .vgpr_spill_count: 0
    .wavefront_size: 64
  - .args:
      - .address_space:  global
        .offset:         0
        .size:           8
        .value_kind:     global_buffer
      - .address_space:  global
        .offset:         8
        .size:           8
        .value_kind:     global_buffer
      - .offset:         16
        .size:           1
        .value_kind:     by_value
    .group_segment_fixed_size: 385
    .kernarg_segment_align: 8
    .kernarg_segment_size: 20
    .language:       OpenCL C
    .language_version:
      - 2
      - 0
    .max_flat_workgroup_size: 128
    .name:           _Z16sort_keys_kernelIaLj128ELj3EN10test_utils4lessELj10EEvPKT_PS2_T2_
    .private_segment_fixed_size: 0
    .sgpr_count:     32
    .sgpr_spill_count: 0
    .symbol:         _Z16sort_keys_kernelIaLj128ELj3EN10test_utils4lessELj10EEvPKT_PS2_T2_.kd
    .uniform_work_group_size: 1
    .uses_dynamic_stack: false
    .vgpr_count:     57
    .vgpr_spill_count: 0
    .wavefront_size: 64
  - .args:
      - .address_space:  global
        .offset:         0
        .size:           8
        .value_kind:     global_buffer
      - .address_space:  global
        .offset:         8
        .size:           8
        .value_kind:     global_buffer
      - .offset:         16
        .size:           1
        .value_kind:     by_value
    .group_segment_fixed_size: 385
    .kernarg_segment_align: 8
    .kernarg_segment_size: 20
    .language:       OpenCL C
    .language_version:
      - 2
      - 0
    .max_flat_workgroup_size: 128
    .name:           _Z17sort_pairs_kernelIaLj128ELj3EN10test_utils4lessELj10EEvPKT_PS2_T2_
    .private_segment_fixed_size: 0
    .sgpr_count:     42
    .sgpr_spill_count: 0
    .symbol:         _Z17sort_pairs_kernelIaLj128ELj3EN10test_utils4lessELj10EEvPKT_PS2_T2_.kd
    .uniform_work_group_size: 1
    .uses_dynamic_stack: false
    .vgpr_count:     63
    .vgpr_spill_count: 0
    .wavefront_size: 64
  - .args:
      - .address_space:  global
        .offset:         0
        .size:           8
        .value_kind:     global_buffer
      - .address_space:  global
        .offset:         8
        .size:           8
        .value_kind:     global_buffer
      - .offset:         16
        .size:           1
        .value_kind:     by_value
    .group_segment_fixed_size: 513
    .kernarg_segment_align: 8
    .kernarg_segment_size: 20
    .language:       OpenCL C
    .language_version:
      - 2
      - 0
    .max_flat_workgroup_size: 128
    .name:           _Z16sort_keys_kernelIaLj128ELj4EN10test_utils4lessELj10EEvPKT_PS2_T2_
    .private_segment_fixed_size: 0
    .sgpr_count:     36
    .sgpr_spill_count: 0
    .symbol:         _Z16sort_keys_kernelIaLj128ELj4EN10test_utils4lessELj10EEvPKT_PS2_T2_.kd
    .uniform_work_group_size: 1
    .uses_dynamic_stack: false
    .vgpr_count:     55
    .vgpr_spill_count: 0
    .wavefront_size: 64
  - .args:
      - .address_space:  global
        .offset:         0
        .size:           8
        .value_kind:     global_buffer
      - .address_space:  global
        .offset:         8
        .size:           8
        .value_kind:     global_buffer
      - .offset:         16
        .size:           1
        .value_kind:     by_value
    .group_segment_fixed_size: 513
    .kernarg_segment_align: 8
    .kernarg_segment_size: 20
    .language:       OpenCL C
    .language_version:
      - 2
      - 0
    .max_flat_workgroup_size: 128
    .name:           _Z17sort_pairs_kernelIaLj128ELj4EN10test_utils4lessELj10EEvPKT_PS2_T2_
    .private_segment_fixed_size: 0
    .sgpr_count:     50
    .sgpr_spill_count: 0
    .symbol:         _Z17sort_pairs_kernelIaLj128ELj4EN10test_utils4lessELj10EEvPKT_PS2_T2_.kd
    .uniform_work_group_size: 1
    .uses_dynamic_stack: false
    .vgpr_count:     62
    .vgpr_spill_count: 0
    .wavefront_size: 64
  - .args:
      - .address_space:  global
        .offset:         0
        .size:           8
        .value_kind:     global_buffer
      - .address_space:  global
        .offset:         8
        .size:           8
        .value_kind:     global_buffer
      - .offset:         16
        .size:           1
        .value_kind:     by_value
    .group_segment_fixed_size: 1025
    .kernarg_segment_align: 8
    .kernarg_segment_size: 20
    .language:       OpenCL C
    .language_version:
      - 2
      - 0
    .max_flat_workgroup_size: 128
    .name:           _Z16sort_keys_kernelIaLj128ELj8EN10test_utils4lessELj10EEvPKT_PS2_T2_
    .private_segment_fixed_size: 0
    .sgpr_count:     50
    .sgpr_spill_count: 0
    .symbol:         _Z16sort_keys_kernelIaLj128ELj8EN10test_utils4lessELj10EEvPKT_PS2_T2_.kd
    .uniform_work_group_size: 1
    .uses_dynamic_stack: false
    .vgpr_count:     61
    .vgpr_spill_count: 0
    .wavefront_size: 64
  - .args:
      - .address_space:  global
        .offset:         0
        .size:           8
        .value_kind:     global_buffer
      - .address_space:  global
        .offset:         8
        .size:           8
        .value_kind:     global_buffer
      - .offset:         16
        .size:           1
        .value_kind:     by_value
    .group_segment_fixed_size: 1025
    .kernarg_segment_align: 8
    .kernarg_segment_size: 20
    .language:       OpenCL C
    .language_version:
      - 2
      - 0
    .max_flat_workgroup_size: 128
    .name:           _Z17sort_pairs_kernelIaLj128ELj8EN10test_utils4lessELj10EEvPKT_PS2_T2_
    .private_segment_fixed_size: 0
    .sgpr_count:     100
    .sgpr_spill_count: 7
    .symbol:         _Z17sort_pairs_kernelIaLj128ELj8EN10test_utils4lessELj10EEvPKT_PS2_T2_.kd
    .uniform_work_group_size: 1
    .uses_dynamic_stack: false
    .vgpr_count:     83
    .vgpr_spill_count: 0
    .wavefront_size: 64
  - .args:
      - .address_space:  global
        .offset:         0
        .size:           8
        .value_kind:     global_buffer
      - .address_space:  global
        .offset:         8
        .size:           8
        .value_kind:     global_buffer
      - .offset:         16
        .size:           1
        .value_kind:     by_value
    .group_segment_fixed_size: 257
    .kernarg_segment_align: 8
    .kernarg_segment_size: 20
    .language:       OpenCL C
    .language_version:
      - 2
      - 0
    .max_flat_workgroup_size: 256
    .name:           _Z16sort_keys_kernelIaLj256ELj1EN10test_utils4lessELj10EEvPKT_PS2_T2_
    .private_segment_fixed_size: 0
    .sgpr_count:     29
    .sgpr_spill_count: 0
    .symbol:         _Z16sort_keys_kernelIaLj256ELj1EN10test_utils4lessELj10EEvPKT_PS2_T2_.kd
    .uniform_work_group_size: 1
    .uses_dynamic_stack: false
    .vgpr_count:     53
    .vgpr_spill_count: 0
    .wavefront_size: 64
  - .args:
      - .address_space:  global
        .offset:         0
        .size:           8
        .value_kind:     global_buffer
      - .address_space:  global
        .offset:         8
        .size:           8
        .value_kind:     global_buffer
      - .offset:         16
        .size:           1
        .value_kind:     by_value
    .group_segment_fixed_size: 257
    .kernarg_segment_align: 8
    .kernarg_segment_size: 20
    .language:       OpenCL C
    .language_version:
      - 2
      - 0
    .max_flat_workgroup_size: 256
    .name:           _Z17sort_pairs_kernelIaLj256ELj1EN10test_utils4lessELj10EEvPKT_PS2_T2_
    .private_segment_fixed_size: 0
    .sgpr_count:     29
    .sgpr_spill_count: 0
    .symbol:         _Z17sort_pairs_kernelIaLj256ELj1EN10test_utils4lessELj10EEvPKT_PS2_T2_.kd
    .uniform_work_group_size: 1
    .uses_dynamic_stack: false
    .vgpr_count:     53
    .vgpr_spill_count: 0
    .wavefront_size: 64
  - .args:
      - .address_space:  global
        .offset:         0
        .size:           8
        .value_kind:     global_buffer
      - .address_space:  global
        .offset:         8
        .size:           8
        .value_kind:     global_buffer
      - .offset:         16
        .size:           1
        .value_kind:     by_value
    .group_segment_fixed_size: 513
    .kernarg_segment_align: 8
    .kernarg_segment_size: 20
    .language:       OpenCL C
    .language_version:
      - 2
      - 0
    .max_flat_workgroup_size: 256
    .name:           _Z16sort_keys_kernelIaLj256ELj2EN10test_utils4lessELj10EEvPKT_PS2_T2_
    .private_segment_fixed_size: 0
    .sgpr_count:     30
    .sgpr_spill_count: 0
    .symbol:         _Z16sort_keys_kernelIaLj256ELj2EN10test_utils4lessELj10EEvPKT_PS2_T2_.kd
    .uniform_work_group_size: 1
    .uses_dynamic_stack: false
    .vgpr_count:     55
    .vgpr_spill_count: 0
    .wavefront_size: 64
  - .args:
      - .address_space:  global
        .offset:         0
        .size:           8
        .value_kind:     global_buffer
      - .address_space:  global
        .offset:         8
        .size:           8
        .value_kind:     global_buffer
      - .offset:         16
        .size:           1
        .value_kind:     by_value
    .group_segment_fixed_size: 513
    .kernarg_segment_align: 8
    .kernarg_segment_size: 20
    .language:       OpenCL C
    .language_version:
      - 2
      - 0
    .max_flat_workgroup_size: 256
    .name:           _Z17sort_pairs_kernelIaLj256ELj2EN10test_utils4lessELj10EEvPKT_PS2_T2_
    .private_segment_fixed_size: 0
    .sgpr_count:     32
    .sgpr_spill_count: 0
    .symbol:         _Z17sort_pairs_kernelIaLj256ELj2EN10test_utils4lessELj10EEvPKT_PS2_T2_.kd
    .uniform_work_group_size: 1
    .uses_dynamic_stack: false
    .vgpr_count:     58
    .vgpr_spill_count: 0
    .wavefront_size: 64
  - .args:
      - .address_space:  global
        .offset:         0
        .size:           8
        .value_kind:     global_buffer
      - .address_space:  global
        .offset:         8
        .size:           8
        .value_kind:     global_buffer
      - .offset:         16
        .size:           1
        .value_kind:     by_value
    .group_segment_fixed_size: 769
    .kernarg_segment_align: 8
    .kernarg_segment_size: 20
    .language:       OpenCL C
    .language_version:
      - 2
      - 0
    .max_flat_workgroup_size: 256
    .name:           _Z16sort_keys_kernelIaLj256ELj3EN10test_utils4lessELj10EEvPKT_PS2_T2_
    .private_segment_fixed_size: 0
    .sgpr_count:     34
    .sgpr_spill_count: 0
    .symbol:         _Z16sort_keys_kernelIaLj256ELj3EN10test_utils4lessELj10EEvPKT_PS2_T2_.kd
    .uniform_work_group_size: 1
    .uses_dynamic_stack: false
    .vgpr_count:     63
    .vgpr_spill_count: 0
    .wavefront_size: 64
  - .args:
      - .address_space:  global
        .offset:         0
        .size:           8
        .value_kind:     global_buffer
      - .address_space:  global
        .offset:         8
        .size:           8
        .value_kind:     global_buffer
      - .offset:         16
        .size:           1
        .value_kind:     by_value
    .group_segment_fixed_size: 769
    .kernarg_segment_align: 8
    .kernarg_segment_size: 20
    .language:       OpenCL C
    .language_version:
      - 2
      - 0
    .max_flat_workgroup_size: 256
    .name:           _Z17sort_pairs_kernelIaLj256ELj3EN10test_utils4lessELj10EEvPKT_PS2_T2_
    .private_segment_fixed_size: 0
    .sgpr_count:     44
    .sgpr_spill_count: 0
    .symbol:         _Z17sort_pairs_kernelIaLj256ELj3EN10test_utils4lessELj10EEvPKT_PS2_T2_.kd
    .uniform_work_group_size: 1
    .uses_dynamic_stack: false
    .vgpr_count:     70
    .vgpr_spill_count: 0
    .wavefront_size: 64
  - .args:
      - .address_space:  global
        .offset:         0
        .size:           8
        .value_kind:     global_buffer
      - .address_space:  global
        .offset:         8
        .size:           8
        .value_kind:     global_buffer
      - .offset:         16
        .size:           1
        .value_kind:     by_value
    .group_segment_fixed_size: 1025
    .kernarg_segment_align: 8
    .kernarg_segment_size: 20
    .language:       OpenCL C
    .language_version:
      - 2
      - 0
    .max_flat_workgroup_size: 256
    .name:           _Z16sort_keys_kernelIaLj256ELj4EN10test_utils4lessELj10EEvPKT_PS2_T2_
    .private_segment_fixed_size: 0
    .sgpr_count:     40
    .sgpr_spill_count: 0
    .symbol:         _Z16sort_keys_kernelIaLj256ELj4EN10test_utils4lessELj10EEvPKT_PS2_T2_.kd
    .uniform_work_group_size: 1
    .uses_dynamic_stack: false
    .vgpr_count:     59
    .vgpr_spill_count: 0
    .wavefront_size: 64
  - .args:
      - .address_space:  global
        .offset:         0
        .size:           8
        .value_kind:     global_buffer
      - .address_space:  global
        .offset:         8
        .size:           8
        .value_kind:     global_buffer
      - .offset:         16
        .size:           1
        .value_kind:     by_value
    .group_segment_fixed_size: 1025
    .kernarg_segment_align: 8
    .kernarg_segment_size: 20
    .language:       OpenCL C
    .language_version:
      - 2
      - 0
    .max_flat_workgroup_size: 256
    .name:           _Z17sort_pairs_kernelIaLj256ELj4EN10test_utils4lessELj10EEvPKT_PS2_T2_
    .private_segment_fixed_size: 0
    .sgpr_count:     52
    .sgpr_spill_count: 0
    .symbol:         _Z17sort_pairs_kernelIaLj256ELj4EN10test_utils4lessELj10EEvPKT_PS2_T2_.kd
    .uniform_work_group_size: 1
    .uses_dynamic_stack: false
    .vgpr_count:     68
    .vgpr_spill_count: 0
    .wavefront_size: 64
  - .args:
      - .address_space:  global
        .offset:         0
        .size:           8
        .value_kind:     global_buffer
      - .address_space:  global
        .offset:         8
        .size:           8
        .value_kind:     global_buffer
      - .offset:         16
        .size:           1
        .value_kind:     by_value
    .group_segment_fixed_size: 2049
    .kernarg_segment_align: 8
    .kernarg_segment_size: 20
    .language:       OpenCL C
    .language_version:
      - 2
      - 0
    .max_flat_workgroup_size: 256
    .name:           _Z16sort_keys_kernelIaLj256ELj8EN10test_utils4lessELj10EEvPKT_PS2_T2_
    .private_segment_fixed_size: 0
    .sgpr_count:     52
    .sgpr_spill_count: 0
    .symbol:         _Z16sort_keys_kernelIaLj256ELj8EN10test_utils4lessELj10EEvPKT_PS2_T2_.kd
    .uniform_work_group_size: 1
    .uses_dynamic_stack: false
    .vgpr_count:     67
    .vgpr_spill_count: 0
    .wavefront_size: 64
  - .args:
      - .address_space:  global
        .offset:         0
        .size:           8
        .value_kind:     global_buffer
      - .address_space:  global
        .offset:         8
        .size:           8
        .value_kind:     global_buffer
      - .offset:         16
        .size:           1
        .value_kind:     by_value
    .group_segment_fixed_size: 2049
    .kernarg_segment_align: 8
    .kernarg_segment_size: 20
    .language:       OpenCL C
    .language_version:
      - 2
      - 0
    .max_flat_workgroup_size: 256
    .name:           _Z17sort_pairs_kernelIaLj256ELj8EN10test_utils4lessELj10EEvPKT_PS2_T2_
    .private_segment_fixed_size: 0
    .sgpr_count:     100
    .sgpr_spill_count: 9
    .symbol:         _Z17sort_pairs_kernelIaLj256ELj8EN10test_utils4lessELj10EEvPKT_PS2_T2_.kd
    .uniform_work_group_size: 1
    .uses_dynamic_stack: false
    .vgpr_count:     89
    .vgpr_spill_count: 0
    .wavefront_size: 64
  - .args:
      - .address_space:  global
        .offset:         0
        .size:           8
        .value_kind:     global_buffer
      - .address_space:  global
        .offset:         8
        .size:           8
        .value_kind:     global_buffer
      - .offset:         16
        .size:           1
        .value_kind:     by_value
    .group_segment_fixed_size: 513
    .kernarg_segment_align: 8
    .kernarg_segment_size: 20
    .language:       OpenCL C
    .language_version:
      - 2
      - 0
    .max_flat_workgroup_size: 512
    .name:           _Z16sort_keys_kernelIaLj512ELj1EN10test_utils4lessELj10EEvPKT_PS2_T2_
    .private_segment_fixed_size: 0
    .sgpr_count:     31
    .sgpr_spill_count: 0
    .symbol:         _Z16sort_keys_kernelIaLj512ELj1EN10test_utils4lessELj10EEvPKT_PS2_T2_.kd
    .uniform_work_group_size: 1
    .uses_dynamic_stack: false
    .vgpr_count:     59
    .vgpr_spill_count: 0
    .wavefront_size: 64
  - .args:
      - .address_space:  global
        .offset:         0
        .size:           8
        .value_kind:     global_buffer
      - .address_space:  global
        .offset:         8
        .size:           8
        .value_kind:     global_buffer
      - .offset:         16
        .size:           1
        .value_kind:     by_value
    .group_segment_fixed_size: 513
    .kernarg_segment_align: 8
    .kernarg_segment_size: 20
    .language:       OpenCL C
    .language_version:
      - 2
      - 0
    .max_flat_workgroup_size: 512
    .name:           _Z17sort_pairs_kernelIaLj512ELj1EN10test_utils4lessELj10EEvPKT_PS2_T2_
    .private_segment_fixed_size: 0
    .sgpr_count:     31
    .sgpr_spill_count: 0
    .symbol:         _Z17sort_pairs_kernelIaLj512ELj1EN10test_utils4lessELj10EEvPKT_PS2_T2_.kd
    .uniform_work_group_size: 1
    .uses_dynamic_stack: false
    .vgpr_count:     59
    .vgpr_spill_count: 0
    .wavefront_size: 64
  - .args:
      - .address_space:  global
        .offset:         0
        .size:           8
        .value_kind:     global_buffer
      - .address_space:  global
        .offset:         8
        .size:           8
        .value_kind:     global_buffer
      - .offset:         16
        .size:           1
        .value_kind:     by_value
    .group_segment_fixed_size: 1025
    .kernarg_segment_align: 8
    .kernarg_segment_size: 20
    .language:       OpenCL C
    .language_version:
      - 2
      - 0
    .max_flat_workgroup_size: 512
    .name:           _Z16sort_keys_kernelIaLj512ELj2EN10test_utils4lessELj10EEvPKT_PS2_T2_
    .private_segment_fixed_size: 0
    .sgpr_count:     32
    .sgpr_spill_count: 0
    .symbol:         _Z16sort_keys_kernelIaLj512ELj2EN10test_utils4lessELj10EEvPKT_PS2_T2_.kd
    .uniform_work_group_size: 1
    .uses_dynamic_stack: false
    .vgpr_count:     61
    .vgpr_spill_count: 0
    .wavefront_size: 64
  - .args:
      - .address_space:  global
        .offset:         0
        .size:           8
        .value_kind:     global_buffer
      - .address_space:  global
        .offset:         8
        .size:           8
        .value_kind:     global_buffer
      - .offset:         16
        .size:           1
        .value_kind:     by_value
    .group_segment_fixed_size: 1025
    .kernarg_segment_align: 8
    .kernarg_segment_size: 20
    .language:       OpenCL C
    .language_version:
      - 2
      - 0
    .max_flat_workgroup_size: 512
    .name:           _Z17sort_pairs_kernelIaLj512ELj2EN10test_utils4lessELj10EEvPKT_PS2_T2_
    .private_segment_fixed_size: 0
    .sgpr_count:     34
    .sgpr_spill_count: 0
    .symbol:         _Z17sort_pairs_kernelIaLj512ELj2EN10test_utils4lessELj10EEvPKT_PS2_T2_.kd
    .uniform_work_group_size: 1
    .uses_dynamic_stack: false
    .vgpr_count:     64
    .vgpr_spill_count: 0
    .wavefront_size: 64
  - .args:
      - .address_space:  global
        .offset:         0
        .size:           8
        .value_kind:     global_buffer
      - .address_space:  global
        .offset:         8
        .size:           8
        .value_kind:     global_buffer
      - .offset:         16
        .size:           1
        .value_kind:     by_value
    .group_segment_fixed_size: 1537
    .kernarg_segment_align: 8
    .kernarg_segment_size: 20
    .language:       OpenCL C
    .language_version:
      - 2
      - 0
    .max_flat_workgroup_size: 512
    .name:           _Z16sort_keys_kernelIaLj512ELj3EN10test_utils4lessELj10EEvPKT_PS2_T2_
    .private_segment_fixed_size: 0
    .sgpr_count:     36
    .sgpr_spill_count: 0
    .symbol:         _Z16sort_keys_kernelIaLj512ELj3EN10test_utils4lessELj10EEvPKT_PS2_T2_.kd
    .uniform_work_group_size: 1
    .uses_dynamic_stack: false
    .vgpr_count:     72
    .vgpr_spill_count: 0
    .wavefront_size: 64
  - .args:
      - .address_space:  global
        .offset:         0
        .size:           8
        .value_kind:     global_buffer
      - .address_space:  global
        .offset:         8
        .size:           8
        .value_kind:     global_buffer
      - .offset:         16
        .size:           1
        .value_kind:     by_value
    .group_segment_fixed_size: 1537
    .kernarg_segment_align: 8
    .kernarg_segment_size: 20
    .language:       OpenCL C
    .language_version:
      - 2
      - 0
    .max_flat_workgroup_size: 512
    .name:           _Z17sort_pairs_kernelIaLj512ELj3EN10test_utils4lessELj10EEvPKT_PS2_T2_
    .private_segment_fixed_size: 0
    .sgpr_count:     46
    .sgpr_spill_count: 0
    .symbol:         _Z17sort_pairs_kernelIaLj512ELj3EN10test_utils4lessELj10EEvPKT_PS2_T2_.kd
    .uniform_work_group_size: 1
    .uses_dynamic_stack: false
    .vgpr_count:     78
    .vgpr_spill_count: 0
    .wavefront_size: 64
  - .args:
      - .address_space:  global
        .offset:         0
        .size:           8
        .value_kind:     global_buffer
      - .address_space:  global
        .offset:         8
        .size:           8
        .value_kind:     global_buffer
      - .offset:         16
        .size:           1
        .value_kind:     by_value
    .group_segment_fixed_size: 2049
    .kernarg_segment_align: 8
    .kernarg_segment_size: 20
    .language:       OpenCL C
    .language_version:
      - 2
      - 0
    .max_flat_workgroup_size: 512
    .name:           _Z16sort_keys_kernelIaLj512ELj4EN10test_utils4lessELj10EEvPKT_PS2_T2_
    .private_segment_fixed_size: 0
    .sgpr_count:     42
    .sgpr_spill_count: 0
    .symbol:         _Z16sort_keys_kernelIaLj512ELj4EN10test_utils4lessELj10EEvPKT_PS2_T2_.kd
    .uniform_work_group_size: 1
    .uses_dynamic_stack: false
    .vgpr_count:     65
    .vgpr_spill_count: 0
    .wavefront_size: 64
  - .args:
      - .address_space:  global
        .offset:         0
        .size:           8
        .value_kind:     global_buffer
      - .address_space:  global
        .offset:         8
        .size:           8
        .value_kind:     global_buffer
      - .offset:         16
        .size:           1
        .value_kind:     by_value
    .group_segment_fixed_size: 2049
    .kernarg_segment_align: 8
    .kernarg_segment_size: 20
    .language:       OpenCL C
    .language_version:
      - 2
      - 0
    .max_flat_workgroup_size: 512
    .name:           _Z17sort_pairs_kernelIaLj512ELj4EN10test_utils4lessELj10EEvPKT_PS2_T2_
    .private_segment_fixed_size: 0
    .sgpr_count:     54
    .sgpr_spill_count: 0
    .symbol:         _Z17sort_pairs_kernelIaLj512ELj4EN10test_utils4lessELj10EEvPKT_PS2_T2_.kd
    .uniform_work_group_size: 1
    .uses_dynamic_stack: false
    .vgpr_count:     74
    .vgpr_spill_count: 0
    .wavefront_size: 64
  - .args:
      - .address_space:  global
        .offset:         0
        .size:           8
        .value_kind:     global_buffer
      - .address_space:  global
        .offset:         8
        .size:           8
        .value_kind:     global_buffer
      - .offset:         16
        .size:           1
        .value_kind:     by_value
    .group_segment_fixed_size: 4097
    .kernarg_segment_align: 8
    .kernarg_segment_size: 20
    .language:       OpenCL C
    .language_version:
      - 2
      - 0
    .max_flat_workgroup_size: 512
    .name:           _Z16sort_keys_kernelIaLj512ELj8EN10test_utils4lessELj10EEvPKT_PS2_T2_
    .private_segment_fixed_size: 0
    .sgpr_count:     54
    .sgpr_spill_count: 0
    .symbol:         _Z16sort_keys_kernelIaLj512ELj8EN10test_utils4lessELj10EEvPKT_PS2_T2_.kd
    .uniform_work_group_size: 1
    .uses_dynamic_stack: false
    .vgpr_count:     73
    .vgpr_spill_count: 0
    .wavefront_size: 64
  - .args:
      - .address_space:  global
        .offset:         0
        .size:           8
        .value_kind:     global_buffer
      - .address_space:  global
        .offset:         8
        .size:           8
        .value_kind:     global_buffer
      - .offset:         16
        .size:           1
        .value_kind:     by_value
    .group_segment_fixed_size: 4097
    .kernarg_segment_align: 8
    .kernarg_segment_size: 20
    .language:       OpenCL C
    .language_version:
      - 2
      - 0
    .max_flat_workgroup_size: 512
    .name:           _Z17sort_pairs_kernelIaLj512ELj8EN10test_utils4lessELj10EEvPKT_PS2_T2_
    .private_segment_fixed_size: 0
    .sgpr_count:     100
    .sgpr_spill_count: 11
    .symbol:         _Z17sort_pairs_kernelIaLj512ELj8EN10test_utils4lessELj10EEvPKT_PS2_T2_.kd
    .uniform_work_group_size: 1
    .uses_dynamic_stack: false
    .vgpr_count:     95
    .vgpr_spill_count: 0
    .wavefront_size: 64
  - .args:
      - .address_space:  global
        .offset:         0
        .size:           8
        .value_kind:     global_buffer
      - .address_space:  global
        .offset:         8
        .size:           8
        .value_kind:     global_buffer
      - .offset:         16
        .size:           1
        .value_kind:     by_value
    .group_segment_fixed_size: 65
    .kernarg_segment_align: 8
    .kernarg_segment_size: 20
    .language:       OpenCL C
    .language_version:
      - 2
      - 0
    .max_flat_workgroup_size: 64
    .name:           _Z16sort_keys_kernelIhLj64ELj1EN10test_utils4lessELj10EEvPKT_PS2_T2_
    .private_segment_fixed_size: 0
    .sgpr_count:     24
    .sgpr_spill_count: 0
    .symbol:         _Z16sort_keys_kernelIhLj64ELj1EN10test_utils4lessELj10EEvPKT_PS2_T2_.kd
    .uniform_work_group_size: 1
    .uses_dynamic_stack: false
    .vgpr_count:     40
    .vgpr_spill_count: 0
    .wavefront_size: 64
  - .args:
      - .address_space:  global
        .offset:         0
        .size:           8
        .value_kind:     global_buffer
      - .address_space:  global
        .offset:         8
        .size:           8
        .value_kind:     global_buffer
      - .offset:         16
        .size:           1
        .value_kind:     by_value
    .group_segment_fixed_size: 65
    .kernarg_segment_align: 8
    .kernarg_segment_size: 20
    .language:       OpenCL C
    .language_version:
      - 2
      - 0
    .max_flat_workgroup_size: 64
    .name:           _Z17sort_pairs_kernelIhLj64ELj1EN10test_utils4lessELj10EEvPKT_PS2_T2_
    .private_segment_fixed_size: 0
    .sgpr_count:     24
    .sgpr_spill_count: 0
    .symbol:         _Z17sort_pairs_kernelIhLj64ELj1EN10test_utils4lessELj10EEvPKT_PS2_T2_.kd
    .uniform_work_group_size: 1
    .uses_dynamic_stack: false
    .vgpr_count:     40
    .vgpr_spill_count: 0
    .wavefront_size: 64
  - .args:
      - .address_space:  global
        .offset:         0
        .size:           8
        .value_kind:     global_buffer
      - .address_space:  global
        .offset:         8
        .size:           8
        .value_kind:     global_buffer
      - .offset:         16
        .size:           1
        .value_kind:     by_value
    .group_segment_fixed_size: 129
    .kernarg_segment_align: 8
    .kernarg_segment_size: 20
    .language:       OpenCL C
    .language_version:
      - 2
      - 0
    .max_flat_workgroup_size: 64
    .name:           _Z16sort_keys_kernelIhLj64ELj2EN10test_utils4lessELj10EEvPKT_PS2_T2_
    .private_segment_fixed_size: 0
    .sgpr_count:     26
    .sgpr_spill_count: 0
    .symbol:         _Z16sort_keys_kernelIhLj64ELj2EN10test_utils4lessELj10EEvPKT_PS2_T2_.kd
    .uniform_work_group_size: 1
    .uses_dynamic_stack: false
    .vgpr_count:     42
    .vgpr_spill_count: 0
    .wavefront_size: 64
  - .args:
      - .address_space:  global
        .offset:         0
        .size:           8
        .value_kind:     global_buffer
      - .address_space:  global
        .offset:         8
        .size:           8
        .value_kind:     global_buffer
      - .offset:         16
        .size:           1
        .value_kind:     by_value
    .group_segment_fixed_size: 129
    .kernarg_segment_align: 8
    .kernarg_segment_size: 20
    .language:       OpenCL C
    .language_version:
      - 2
      - 0
    .max_flat_workgroup_size: 64
    .name:           _Z17sort_pairs_kernelIhLj64ELj2EN10test_utils4lessELj10EEvPKT_PS2_T2_
    .private_segment_fixed_size: 0
    .sgpr_count:     28
    .sgpr_spill_count: 0
    .symbol:         _Z17sort_pairs_kernelIhLj64ELj2EN10test_utils4lessELj10EEvPKT_PS2_T2_.kd
    .uniform_work_group_size: 1
    .uses_dynamic_stack: false
    .vgpr_count:     46
    .vgpr_spill_count: 0
    .wavefront_size: 64
  - .args:
      - .address_space:  global
        .offset:         0
        .size:           8
        .value_kind:     global_buffer
      - .address_space:  global
        .offset:         8
        .size:           8
        .value_kind:     global_buffer
      - .offset:         16
        .size:           1
        .value_kind:     by_value
    .group_segment_fixed_size: 193
    .kernarg_segment_align: 8
    .kernarg_segment_size: 20
    .language:       OpenCL C
    .language_version:
      - 2
      - 0
    .max_flat_workgroup_size: 64
    .name:           _Z16sort_keys_kernelIhLj64ELj3EN10test_utils4lessELj10EEvPKT_PS2_T2_
    .private_segment_fixed_size: 0
    .sgpr_count:     32
    .sgpr_spill_count: 0
    .symbol:         _Z16sort_keys_kernelIhLj64ELj3EN10test_utils4lessELj10EEvPKT_PS2_T2_.kd
    .uniform_work_group_size: 1
    .uses_dynamic_stack: false
    .vgpr_count:     51
    .vgpr_spill_count: 0
    .wavefront_size: 64
  - .args:
      - .address_space:  global
        .offset:         0
        .size:           8
        .value_kind:     global_buffer
      - .address_space:  global
        .offset:         8
        .size:           8
        .value_kind:     global_buffer
      - .offset:         16
        .size:           1
        .value_kind:     by_value
    .group_segment_fixed_size: 193
    .kernarg_segment_align: 8
    .kernarg_segment_size: 20
    .language:       OpenCL C
    .language_version:
      - 2
      - 0
    .max_flat_workgroup_size: 64
    .name:           _Z17sort_pairs_kernelIhLj64ELj3EN10test_utils4lessELj10EEvPKT_PS2_T2_
    .private_segment_fixed_size: 0
    .sgpr_count:     42
    .sgpr_spill_count: 0
    .symbol:         _Z17sort_pairs_kernelIhLj64ELj3EN10test_utils4lessELj10EEvPKT_PS2_T2_.kd
    .uniform_work_group_size: 1
    .uses_dynamic_stack: false
    .vgpr_count:     57
    .vgpr_spill_count: 0
    .wavefront_size: 64
  - .args:
      - .address_space:  global
        .offset:         0
        .size:           8
        .value_kind:     global_buffer
      - .address_space:  global
        .offset:         8
        .size:           8
        .value_kind:     global_buffer
      - .offset:         16
        .size:           1
        .value_kind:     by_value
    .group_segment_fixed_size: 257
    .kernarg_segment_align: 8
    .kernarg_segment_size: 20
    .language:       OpenCL C
    .language_version:
      - 2
      - 0
    .max_flat_workgroup_size: 64
    .name:           _Z16sort_keys_kernelIhLj64ELj4EN10test_utils4lessELj10EEvPKT_PS2_T2_
    .private_segment_fixed_size: 0
    .sgpr_count:     34
    .sgpr_spill_count: 0
    .symbol:         _Z16sort_keys_kernelIhLj64ELj4EN10test_utils4lessELj10EEvPKT_PS2_T2_.kd
    .uniform_work_group_size: 1
    .uses_dynamic_stack: false
    .vgpr_count:     48
    .vgpr_spill_count: 0
    .wavefront_size: 64
  - .args:
      - .address_space:  global
        .offset:         0
        .size:           8
        .value_kind:     global_buffer
      - .address_space:  global
        .offset:         8
        .size:           8
        .value_kind:     global_buffer
      - .offset:         16
        .size:           1
        .value_kind:     by_value
    .group_segment_fixed_size: 257
    .kernarg_segment_align: 8
    .kernarg_segment_size: 20
    .language:       OpenCL C
    .language_version:
      - 2
      - 0
    .max_flat_workgroup_size: 64
    .name:           _Z17sort_pairs_kernelIhLj64ELj4EN10test_utils4lessELj10EEvPKT_PS2_T2_
    .private_segment_fixed_size: 0
    .sgpr_count:     48
    .sgpr_spill_count: 0
    .symbol:         _Z17sort_pairs_kernelIhLj64ELj4EN10test_utils4lessELj10EEvPKT_PS2_T2_.kd
    .uniform_work_group_size: 1
    .uses_dynamic_stack: false
    .vgpr_count:     56
    .vgpr_spill_count: 0
    .wavefront_size: 64
  - .args:
      - .address_space:  global
        .offset:         0
        .size:           8
        .value_kind:     global_buffer
      - .address_space:  global
        .offset:         8
        .size:           8
        .value_kind:     global_buffer
      - .offset:         16
        .size:           1
        .value_kind:     by_value
    .group_segment_fixed_size: 513
    .kernarg_segment_align: 8
    .kernarg_segment_size: 20
    .language:       OpenCL C
    .language_version:
      - 2
      - 0
    .max_flat_workgroup_size: 64
    .name:           _Z16sort_keys_kernelIhLj64ELj8EN10test_utils4lessELj10EEvPKT_PS2_T2_
    .private_segment_fixed_size: 0
    .sgpr_count:     46
    .sgpr_spill_count: 0
    .symbol:         _Z16sort_keys_kernelIhLj64ELj8EN10test_utils4lessELj10EEvPKT_PS2_T2_.kd
    .uniform_work_group_size: 1
    .uses_dynamic_stack: false
    .vgpr_count:     55
    .vgpr_spill_count: 0
    .wavefront_size: 64
  - .args:
      - .address_space:  global
        .offset:         0
        .size:           8
        .value_kind:     global_buffer
      - .address_space:  global
        .offset:         8
        .size:           8
        .value_kind:     global_buffer
      - .offset:         16
        .size:           1
        .value_kind:     by_value
    .group_segment_fixed_size: 513
    .kernarg_segment_align: 8
    .kernarg_segment_size: 20
    .language:       OpenCL C
    .language_version:
      - 2
      - 0
    .max_flat_workgroup_size: 64
    .name:           _Z17sort_pairs_kernelIhLj64ELj8EN10test_utils4lessELj10EEvPKT_PS2_T2_
    .private_segment_fixed_size: 0
    .sgpr_count:     100
    .sgpr_spill_count: 7
    .symbol:         _Z17sort_pairs_kernelIhLj64ELj8EN10test_utils4lessELj10EEvPKT_PS2_T2_.kd
    .uniform_work_group_size: 1
    .uses_dynamic_stack: false
    .vgpr_count:     77
    .vgpr_spill_count: 0
    .wavefront_size: 64
  - .args:
      - .address_space:  global
        .offset:         0
        .size:           8
        .value_kind:     global_buffer
      - .address_space:  global
        .offset:         8
        .size:           8
        .value_kind:     global_buffer
      - .offset:         16
        .size:           1
        .value_kind:     by_value
    .group_segment_fixed_size: 129
    .kernarg_segment_align: 8
    .kernarg_segment_size: 20
    .language:       OpenCL C
    .language_version:
      - 2
      - 0
    .max_flat_workgroup_size: 128
    .name:           _Z16sort_keys_kernelIhLj128ELj1EN10test_utils4lessELj10EEvPKT_PS2_T2_
    .private_segment_fixed_size: 0
    .sgpr_count:     27
    .sgpr_spill_count: 0
    .symbol:         _Z16sort_keys_kernelIhLj128ELj1EN10test_utils4lessELj10EEvPKT_PS2_T2_.kd
    .uniform_work_group_size: 1
    .uses_dynamic_stack: false
    .vgpr_count:     46
    .vgpr_spill_count: 0
    .wavefront_size: 64
  - .args:
      - .address_space:  global
        .offset:         0
        .size:           8
        .value_kind:     global_buffer
      - .address_space:  global
        .offset:         8
        .size:           8
        .value_kind:     global_buffer
      - .offset:         16
        .size:           1
        .value_kind:     by_value
    .group_segment_fixed_size: 129
    .kernarg_segment_align: 8
    .kernarg_segment_size: 20
    .language:       OpenCL C
    .language_version:
      - 2
      - 0
    .max_flat_workgroup_size: 128
    .name:           _Z17sort_pairs_kernelIhLj128ELj1EN10test_utils4lessELj10EEvPKT_PS2_T2_
    .private_segment_fixed_size: 0
    .sgpr_count:     27
    .sgpr_spill_count: 0
    .symbol:         _Z17sort_pairs_kernelIhLj128ELj1EN10test_utils4lessELj10EEvPKT_PS2_T2_.kd
    .uniform_work_group_size: 1
    .uses_dynamic_stack: false
    .vgpr_count:     48
    .vgpr_spill_count: 0
    .wavefront_size: 64
  - .args:
      - .address_space:  global
        .offset:         0
        .size:           8
        .value_kind:     global_buffer
      - .address_space:  global
        .offset:         8
        .size:           8
        .value_kind:     global_buffer
      - .offset:         16
        .size:           1
        .value_kind:     by_value
    .group_segment_fixed_size: 257
    .kernarg_segment_align: 8
    .kernarg_segment_size: 20
    .language:       OpenCL C
    .language_version:
      - 2
      - 0
    .max_flat_workgroup_size: 128
    .name:           _Z16sort_keys_kernelIhLj128ELj2EN10test_utils4lessELj10EEvPKT_PS2_T2_
    .private_segment_fixed_size: 0
    .sgpr_count:     28
    .sgpr_spill_count: 0
    .symbol:         _Z16sort_keys_kernelIhLj128ELj2EN10test_utils4lessELj10EEvPKT_PS2_T2_.kd
    .uniform_work_group_size: 1
    .uses_dynamic_stack: false
    .vgpr_count:     49
    .vgpr_spill_count: 0
    .wavefront_size: 64
  - .args:
      - .address_space:  global
        .offset:         0
        .size:           8
        .value_kind:     global_buffer
      - .address_space:  global
        .offset:         8
        .size:           8
        .value_kind:     global_buffer
      - .offset:         16
        .size:           1
        .value_kind:     by_value
    .group_segment_fixed_size: 257
    .kernarg_segment_align: 8
    .kernarg_segment_size: 20
    .language:       OpenCL C
    .language_version:
      - 2
      - 0
    .max_flat_workgroup_size: 128
    .name:           _Z17sort_pairs_kernelIhLj128ELj2EN10test_utils4lessELj10EEvPKT_PS2_T2_
    .private_segment_fixed_size: 0
    .sgpr_count:     30
    .sgpr_spill_count: 0
    .symbol:         _Z17sort_pairs_kernelIhLj128ELj2EN10test_utils4lessELj10EEvPKT_PS2_T2_.kd
    .uniform_work_group_size: 1
    .uses_dynamic_stack: false
    .vgpr_count:     52
    .vgpr_spill_count: 0
    .wavefront_size: 64
  - .args:
      - .address_space:  global
        .offset:         0
        .size:           8
        .value_kind:     global_buffer
      - .address_space:  global
        .offset:         8
        .size:           8
        .value_kind:     global_buffer
      - .offset:         16
        .size:           1
        .value_kind:     by_value
    .group_segment_fixed_size: 385
    .kernarg_segment_align: 8
    .kernarg_segment_size: 20
    .language:       OpenCL C
    .language_version:
      - 2
      - 0
    .max_flat_workgroup_size: 128
    .name:           _Z16sort_keys_kernelIhLj128ELj3EN10test_utils4lessELj10EEvPKT_PS2_T2_
    .private_segment_fixed_size: 0
    .sgpr_count:     34
    .sgpr_spill_count: 0
    .symbol:         _Z16sort_keys_kernelIhLj128ELj3EN10test_utils4lessELj10EEvPKT_PS2_T2_.kd
    .uniform_work_group_size: 1
    .uses_dynamic_stack: false
    .vgpr_count:     58
    .vgpr_spill_count: 0
    .wavefront_size: 64
  - .args:
      - .address_space:  global
        .offset:         0
        .size:           8
        .value_kind:     global_buffer
      - .address_space:  global
        .offset:         8
        .size:           8
        .value_kind:     global_buffer
      - .offset:         16
        .size:           1
        .value_kind:     by_value
    .group_segment_fixed_size: 385
    .kernarg_segment_align: 8
    .kernarg_segment_size: 20
    .language:       OpenCL C
    .language_version:
      - 2
      - 0
    .max_flat_workgroup_size: 128
    .name:           _Z17sort_pairs_kernelIhLj128ELj3EN10test_utils4lessELj10EEvPKT_PS2_T2_
    .private_segment_fixed_size: 0
    .sgpr_count:     44
    .sgpr_spill_count: 0
    .symbol:         _Z17sort_pairs_kernelIhLj128ELj3EN10test_utils4lessELj10EEvPKT_PS2_T2_.kd
    .uniform_work_group_size: 1
    .uses_dynamic_stack: false
    .vgpr_count:     64
    .vgpr_spill_count: 0
    .wavefront_size: 64
  - .args:
      - .address_space:  global
        .offset:         0
        .size:           8
        .value_kind:     global_buffer
      - .address_space:  global
        .offset:         8
        .size:           8
        .value_kind:     global_buffer
      - .offset:         16
        .size:           1
        .value_kind:     by_value
    .group_segment_fixed_size: 513
    .kernarg_segment_align: 8
    .kernarg_segment_size: 20
    .language:       OpenCL C
    .language_version:
      - 2
      - 0
    .max_flat_workgroup_size: 128
    .name:           _Z16sort_keys_kernelIhLj128ELj4EN10test_utils4lessELj10EEvPKT_PS2_T2_
    .private_segment_fixed_size: 0
    .sgpr_count:     36
    .sgpr_spill_count: 0
    .symbol:         _Z16sort_keys_kernelIhLj128ELj4EN10test_utils4lessELj10EEvPKT_PS2_T2_.kd
    .uniform_work_group_size: 1
    .uses_dynamic_stack: false
    .vgpr_count:     55
    .vgpr_spill_count: 0
    .wavefront_size: 64
  - .args:
      - .address_space:  global
        .offset:         0
        .size:           8
        .value_kind:     global_buffer
      - .address_space:  global
        .offset:         8
        .size:           8
        .value_kind:     global_buffer
      - .offset:         16
        .size:           1
        .value_kind:     by_value
    .group_segment_fixed_size: 513
    .kernarg_segment_align: 8
    .kernarg_segment_size: 20
    .language:       OpenCL C
    .language_version:
      - 2
      - 0
    .max_flat_workgroup_size: 128
    .name:           _Z17sort_pairs_kernelIhLj128ELj4EN10test_utils4lessELj10EEvPKT_PS2_T2_
    .private_segment_fixed_size: 0
    .sgpr_count:     50
    .sgpr_spill_count: 0
    .symbol:         _Z17sort_pairs_kernelIhLj128ELj4EN10test_utils4lessELj10EEvPKT_PS2_T2_.kd
    .uniform_work_group_size: 1
    .uses_dynamic_stack: false
    .vgpr_count:     62
    .vgpr_spill_count: 0
    .wavefront_size: 64
  - .args:
      - .address_space:  global
        .offset:         0
        .size:           8
        .value_kind:     global_buffer
      - .address_space:  global
        .offset:         8
        .size:           8
        .value_kind:     global_buffer
      - .offset:         16
        .size:           1
        .value_kind:     by_value
    .group_segment_fixed_size: 1025
    .kernarg_segment_align: 8
    .kernarg_segment_size: 20
    .language:       OpenCL C
    .language_version:
      - 2
      - 0
    .max_flat_workgroup_size: 128
    .name:           _Z16sort_keys_kernelIhLj128ELj8EN10test_utils4lessELj10EEvPKT_PS2_T2_
    .private_segment_fixed_size: 0
    .sgpr_count:     48
    .sgpr_spill_count: 0
    .symbol:         _Z16sort_keys_kernelIhLj128ELj8EN10test_utils4lessELj10EEvPKT_PS2_T2_.kd
    .uniform_work_group_size: 1
    .uses_dynamic_stack: false
    .vgpr_count:     61
    .vgpr_spill_count: 0
    .wavefront_size: 64
  - .args:
      - .address_space:  global
        .offset:         0
        .size:           8
        .value_kind:     global_buffer
      - .address_space:  global
        .offset:         8
        .size:           8
        .value_kind:     global_buffer
      - .offset:         16
        .size:           1
        .value_kind:     by_value
    .group_segment_fixed_size: 1025
    .kernarg_segment_align: 8
    .kernarg_segment_size: 20
    .language:       OpenCL C
    .language_version:
      - 2
      - 0
    .max_flat_workgroup_size: 128
    .name:           _Z17sort_pairs_kernelIhLj128ELj8EN10test_utils4lessELj10EEvPKT_PS2_T2_
    .private_segment_fixed_size: 0
    .sgpr_count:     100
    .sgpr_spill_count: 7
    .symbol:         _Z17sort_pairs_kernelIhLj128ELj8EN10test_utils4lessELj10EEvPKT_PS2_T2_.kd
    .uniform_work_group_size: 1
    .uses_dynamic_stack: false
    .vgpr_count:     83
    .vgpr_spill_count: 0
    .wavefront_size: 64
  - .args:
      - .address_space:  global
        .offset:         0
        .size:           8
        .value_kind:     global_buffer
      - .address_space:  global
        .offset:         8
        .size:           8
        .value_kind:     global_buffer
      - .offset:         16
        .size:           1
        .value_kind:     by_value
    .group_segment_fixed_size: 257
    .kernarg_segment_align: 8
    .kernarg_segment_size: 20
    .language:       OpenCL C
    .language_version:
      - 2
      - 0
    .max_flat_workgroup_size: 256
    .name:           _Z16sort_keys_kernelIhLj256ELj1EN10test_utils4lessELj10EEvPKT_PS2_T2_
    .private_segment_fixed_size: 0
    .sgpr_count:     29
    .sgpr_spill_count: 0
    .symbol:         _Z16sort_keys_kernelIhLj256ELj1EN10test_utils4lessELj10EEvPKT_PS2_T2_.kd
    .uniform_work_group_size: 1
    .uses_dynamic_stack: false
    .vgpr_count:     53
    .vgpr_spill_count: 0
    .wavefront_size: 64
  - .args:
      - .address_space:  global
        .offset:         0
        .size:           8
        .value_kind:     global_buffer
      - .address_space:  global
        .offset:         8
        .size:           8
        .value_kind:     global_buffer
      - .offset:         16
        .size:           1
        .value_kind:     by_value
    .group_segment_fixed_size: 257
    .kernarg_segment_align: 8
    .kernarg_segment_size: 20
    .language:       OpenCL C
    .language_version:
      - 2
      - 0
    .max_flat_workgroup_size: 256
    .name:           _Z17sort_pairs_kernelIhLj256ELj1EN10test_utils4lessELj10EEvPKT_PS2_T2_
    .private_segment_fixed_size: 0
    .sgpr_count:     29
    .sgpr_spill_count: 0
    .symbol:         _Z17sort_pairs_kernelIhLj256ELj1EN10test_utils4lessELj10EEvPKT_PS2_T2_.kd
    .uniform_work_group_size: 1
    .uses_dynamic_stack: false
    .vgpr_count:     53
    .vgpr_spill_count: 0
    .wavefront_size: 64
  - .args:
      - .address_space:  global
        .offset:         0
        .size:           8
        .value_kind:     global_buffer
      - .address_space:  global
        .offset:         8
        .size:           8
        .value_kind:     global_buffer
      - .offset:         16
        .size:           1
        .value_kind:     by_value
    .group_segment_fixed_size: 513
    .kernarg_segment_align: 8
    .kernarg_segment_size: 20
    .language:       OpenCL C
    .language_version:
      - 2
      - 0
    .max_flat_workgroup_size: 256
    .name:           _Z16sort_keys_kernelIhLj256ELj2EN10test_utils4lessELj10EEvPKT_PS2_T2_
    .private_segment_fixed_size: 0
    .sgpr_count:     30
    .sgpr_spill_count: 0
    .symbol:         _Z16sort_keys_kernelIhLj256ELj2EN10test_utils4lessELj10EEvPKT_PS2_T2_.kd
    .uniform_work_group_size: 1
    .uses_dynamic_stack: false
    .vgpr_count:     55
    .vgpr_spill_count: 0
    .wavefront_size: 64
  - .args:
      - .address_space:  global
        .offset:         0
        .size:           8
        .value_kind:     global_buffer
      - .address_space:  global
        .offset:         8
        .size:           8
        .value_kind:     global_buffer
      - .offset:         16
        .size:           1
        .value_kind:     by_value
    .group_segment_fixed_size: 513
    .kernarg_segment_align: 8
    .kernarg_segment_size: 20
    .language:       OpenCL C
    .language_version:
      - 2
      - 0
    .max_flat_workgroup_size: 256
    .name:           _Z17sort_pairs_kernelIhLj256ELj2EN10test_utils4lessELj10EEvPKT_PS2_T2_
    .private_segment_fixed_size: 0
    .sgpr_count:     32
    .sgpr_spill_count: 0
    .symbol:         _Z17sort_pairs_kernelIhLj256ELj2EN10test_utils4lessELj10EEvPKT_PS2_T2_.kd
    .uniform_work_group_size: 1
    .uses_dynamic_stack: false
    .vgpr_count:     58
    .vgpr_spill_count: 0
    .wavefront_size: 64
  - .args:
      - .address_space:  global
        .offset:         0
        .size:           8
        .value_kind:     global_buffer
      - .address_space:  global
        .offset:         8
        .size:           8
        .value_kind:     global_buffer
      - .offset:         16
        .size:           1
        .value_kind:     by_value
    .group_segment_fixed_size: 769
    .kernarg_segment_align: 8
    .kernarg_segment_size: 20
    .language:       OpenCL C
    .language_version:
      - 2
      - 0
    .max_flat_workgroup_size: 256
    .name:           _Z16sort_keys_kernelIhLj256ELj3EN10test_utils4lessELj10EEvPKT_PS2_T2_
    .private_segment_fixed_size: 0
    .sgpr_count:     36
    .sgpr_spill_count: 0
    .symbol:         _Z16sort_keys_kernelIhLj256ELj3EN10test_utils4lessELj10EEvPKT_PS2_T2_.kd
    .uniform_work_group_size: 1
    .uses_dynamic_stack: false
    .vgpr_count:     63
    .vgpr_spill_count: 0
    .wavefront_size: 64
  - .args:
      - .address_space:  global
        .offset:         0
        .size:           8
        .value_kind:     global_buffer
      - .address_space:  global
        .offset:         8
        .size:           8
        .value_kind:     global_buffer
      - .offset:         16
        .size:           1
        .value_kind:     by_value
    .group_segment_fixed_size: 769
    .kernarg_segment_align: 8
    .kernarg_segment_size: 20
    .language:       OpenCL C
    .language_version:
      - 2
      - 0
    .max_flat_workgroup_size: 256
    .name:           _Z17sort_pairs_kernelIhLj256ELj3EN10test_utils4lessELj10EEvPKT_PS2_T2_
    .private_segment_fixed_size: 0
    .sgpr_count:     46
    .sgpr_spill_count: 0
    .symbol:         _Z17sort_pairs_kernelIhLj256ELj3EN10test_utils4lessELj10EEvPKT_PS2_T2_.kd
    .uniform_work_group_size: 1
    .uses_dynamic_stack: false
    .vgpr_count:     71
    .vgpr_spill_count: 0
    .wavefront_size: 64
  - .args:
      - .address_space:  global
        .offset:         0
        .size:           8
        .value_kind:     global_buffer
      - .address_space:  global
        .offset:         8
        .size:           8
        .value_kind:     global_buffer
      - .offset:         16
        .size:           1
        .value_kind:     by_value
    .group_segment_fixed_size: 1025
    .kernarg_segment_align: 8
    .kernarg_segment_size: 20
    .language:       OpenCL C
    .language_version:
      - 2
      - 0
    .max_flat_workgroup_size: 256
    .name:           _Z16sort_keys_kernelIhLj256ELj4EN10test_utils4lessELj10EEvPKT_PS2_T2_
    .private_segment_fixed_size: 0
    .sgpr_count:     40
    .sgpr_spill_count: 0
    .symbol:         _Z16sort_keys_kernelIhLj256ELj4EN10test_utils4lessELj10EEvPKT_PS2_T2_.kd
    .uniform_work_group_size: 1
    .uses_dynamic_stack: false
    .vgpr_count:     59
    .vgpr_spill_count: 0
    .wavefront_size: 64
  - .args:
      - .address_space:  global
        .offset:         0
        .size:           8
        .value_kind:     global_buffer
      - .address_space:  global
        .offset:         8
        .size:           8
        .value_kind:     global_buffer
      - .offset:         16
        .size:           1
        .value_kind:     by_value
    .group_segment_fixed_size: 1025
    .kernarg_segment_align: 8
    .kernarg_segment_size: 20
    .language:       OpenCL C
    .language_version:
      - 2
      - 0
    .max_flat_workgroup_size: 256
    .name:           _Z17sort_pairs_kernelIhLj256ELj4EN10test_utils4lessELj10EEvPKT_PS2_T2_
    .private_segment_fixed_size: 0
    .sgpr_count:     52
    .sgpr_spill_count: 0
    .symbol:         _Z17sort_pairs_kernelIhLj256ELj4EN10test_utils4lessELj10EEvPKT_PS2_T2_.kd
    .uniform_work_group_size: 1
    .uses_dynamic_stack: false
    .vgpr_count:     68
    .vgpr_spill_count: 0
    .wavefront_size: 64
  - .args:
      - .address_space:  global
        .offset:         0
        .size:           8
        .value_kind:     global_buffer
      - .address_space:  global
        .offset:         8
        .size:           8
        .value_kind:     global_buffer
      - .offset:         16
        .size:           1
        .value_kind:     by_value
    .group_segment_fixed_size: 2049
    .kernarg_segment_align: 8
    .kernarg_segment_size: 20
    .language:       OpenCL C
    .language_version:
      - 2
      - 0
    .max_flat_workgroup_size: 256
    .name:           _Z16sort_keys_kernelIhLj256ELj8EN10test_utils4lessELj10EEvPKT_PS2_T2_
    .private_segment_fixed_size: 0
    .sgpr_count:     50
    .sgpr_spill_count: 0
    .symbol:         _Z16sort_keys_kernelIhLj256ELj8EN10test_utils4lessELj10EEvPKT_PS2_T2_.kd
    .uniform_work_group_size: 1
    .uses_dynamic_stack: false
    .vgpr_count:     67
    .vgpr_spill_count: 0
    .wavefront_size: 64
  - .args:
      - .address_space:  global
        .offset:         0
        .size:           8
        .value_kind:     global_buffer
      - .address_space:  global
        .offset:         8
        .size:           8
        .value_kind:     global_buffer
      - .offset:         16
        .size:           1
        .value_kind:     by_value
    .group_segment_fixed_size: 2049
    .kernarg_segment_align: 8
    .kernarg_segment_size: 20
    .language:       OpenCL C
    .language_version:
      - 2
      - 0
    .max_flat_workgroup_size: 256
    .name:           _Z17sort_pairs_kernelIhLj256ELj8EN10test_utils4lessELj10EEvPKT_PS2_T2_
    .private_segment_fixed_size: 0
    .sgpr_count:     100
    .sgpr_spill_count: 9
    .symbol:         _Z17sort_pairs_kernelIhLj256ELj8EN10test_utils4lessELj10EEvPKT_PS2_T2_.kd
    .uniform_work_group_size: 1
    .uses_dynamic_stack: false
    .vgpr_count:     89
    .vgpr_spill_count: 0
    .wavefront_size: 64
  - .args:
      - .address_space:  global
        .offset:         0
        .size:           8
        .value_kind:     global_buffer
      - .address_space:  global
        .offset:         8
        .size:           8
        .value_kind:     global_buffer
      - .offset:         16
        .size:           1
        .value_kind:     by_value
    .group_segment_fixed_size: 513
    .kernarg_segment_align: 8
    .kernarg_segment_size: 20
    .language:       OpenCL C
    .language_version:
      - 2
      - 0
    .max_flat_workgroup_size: 512
    .name:           _Z16sort_keys_kernelIhLj512ELj1EN10test_utils4lessELj10EEvPKT_PS2_T2_
    .private_segment_fixed_size: 0
    .sgpr_count:     31
    .sgpr_spill_count: 0
    .symbol:         _Z16sort_keys_kernelIhLj512ELj1EN10test_utils4lessELj10EEvPKT_PS2_T2_.kd
    .uniform_work_group_size: 1
    .uses_dynamic_stack: false
    .vgpr_count:     59
    .vgpr_spill_count: 0
    .wavefront_size: 64
  - .args:
      - .address_space:  global
        .offset:         0
        .size:           8
        .value_kind:     global_buffer
      - .address_space:  global
        .offset:         8
        .size:           8
        .value_kind:     global_buffer
      - .offset:         16
        .size:           1
        .value_kind:     by_value
    .group_segment_fixed_size: 513
    .kernarg_segment_align: 8
    .kernarg_segment_size: 20
    .language:       OpenCL C
    .language_version:
      - 2
      - 0
    .max_flat_workgroup_size: 512
    .name:           _Z17sort_pairs_kernelIhLj512ELj1EN10test_utils4lessELj10EEvPKT_PS2_T2_
    .private_segment_fixed_size: 0
    .sgpr_count:     31
    .sgpr_spill_count: 0
    .symbol:         _Z17sort_pairs_kernelIhLj512ELj1EN10test_utils4lessELj10EEvPKT_PS2_T2_.kd
    .uniform_work_group_size: 1
    .uses_dynamic_stack: false
    .vgpr_count:     59
    .vgpr_spill_count: 0
    .wavefront_size: 64
  - .args:
      - .address_space:  global
        .offset:         0
        .size:           8
        .value_kind:     global_buffer
      - .address_space:  global
        .offset:         8
        .size:           8
        .value_kind:     global_buffer
      - .offset:         16
        .size:           1
        .value_kind:     by_value
    .group_segment_fixed_size: 1025
    .kernarg_segment_align: 8
    .kernarg_segment_size: 20
    .language:       OpenCL C
    .language_version:
      - 2
      - 0
    .max_flat_workgroup_size: 512
    .name:           _Z16sort_keys_kernelIhLj512ELj2EN10test_utils4lessELj10EEvPKT_PS2_T2_
    .private_segment_fixed_size: 0
    .sgpr_count:     32
    .sgpr_spill_count: 0
    .symbol:         _Z16sort_keys_kernelIhLj512ELj2EN10test_utils4lessELj10EEvPKT_PS2_T2_.kd
    .uniform_work_group_size: 1
    .uses_dynamic_stack: false
    .vgpr_count:     61
    .vgpr_spill_count: 0
    .wavefront_size: 64
  - .args:
      - .address_space:  global
        .offset:         0
        .size:           8
        .value_kind:     global_buffer
      - .address_space:  global
        .offset:         8
        .size:           8
        .value_kind:     global_buffer
      - .offset:         16
        .size:           1
        .value_kind:     by_value
    .group_segment_fixed_size: 1025
    .kernarg_segment_align: 8
    .kernarg_segment_size: 20
    .language:       OpenCL C
    .language_version:
      - 2
      - 0
    .max_flat_workgroup_size: 512
    .name:           _Z17sort_pairs_kernelIhLj512ELj2EN10test_utils4lessELj10EEvPKT_PS2_T2_
    .private_segment_fixed_size: 0
    .sgpr_count:     34
    .sgpr_spill_count: 0
    .symbol:         _Z17sort_pairs_kernelIhLj512ELj2EN10test_utils4lessELj10EEvPKT_PS2_T2_.kd
    .uniform_work_group_size: 1
    .uses_dynamic_stack: false
    .vgpr_count:     64
    .vgpr_spill_count: 0
    .wavefront_size: 64
  - .args:
      - .address_space:  global
        .offset:         0
        .size:           8
        .value_kind:     global_buffer
      - .address_space:  global
        .offset:         8
        .size:           8
        .value_kind:     global_buffer
      - .offset:         16
        .size:           1
        .value_kind:     by_value
    .group_segment_fixed_size: 1537
    .kernarg_segment_align: 8
    .kernarg_segment_size: 20
    .language:       OpenCL C
    .language_version:
      - 2
      - 0
    .max_flat_workgroup_size: 512
    .name:           _Z16sort_keys_kernelIhLj512ELj3EN10test_utils4lessELj10EEvPKT_PS2_T2_
    .private_segment_fixed_size: 0
    .sgpr_count:     40
    .sgpr_spill_count: 0
    .symbol:         _Z16sort_keys_kernelIhLj512ELj3EN10test_utils4lessELj10EEvPKT_PS2_T2_.kd
    .uniform_work_group_size: 1
    .uses_dynamic_stack: false
    .vgpr_count:     72
    .vgpr_spill_count: 0
    .wavefront_size: 64
  - .args:
      - .address_space:  global
        .offset:         0
        .size:           8
        .value_kind:     global_buffer
      - .address_space:  global
        .offset:         8
        .size:           8
        .value_kind:     global_buffer
      - .offset:         16
        .size:           1
        .value_kind:     by_value
    .group_segment_fixed_size: 1537
    .kernarg_segment_align: 8
    .kernarg_segment_size: 20
    .language:       OpenCL C
    .language_version:
      - 2
      - 0
    .max_flat_workgroup_size: 512
    .name:           _Z17sort_pairs_kernelIhLj512ELj3EN10test_utils4lessELj10EEvPKT_PS2_T2_
    .private_segment_fixed_size: 0
    .sgpr_count:     48
    .sgpr_spill_count: 0
    .symbol:         _Z17sort_pairs_kernelIhLj512ELj3EN10test_utils4lessELj10EEvPKT_PS2_T2_.kd
    .uniform_work_group_size: 1
    .uses_dynamic_stack: false
    .vgpr_count:     78
    .vgpr_spill_count: 0
    .wavefront_size: 64
  - .args:
      - .address_space:  global
        .offset:         0
        .size:           8
        .value_kind:     global_buffer
      - .address_space:  global
        .offset:         8
        .size:           8
        .value_kind:     global_buffer
      - .offset:         16
        .size:           1
        .value_kind:     by_value
    .group_segment_fixed_size: 2049
    .kernarg_segment_align: 8
    .kernarg_segment_size: 20
    .language:       OpenCL C
    .language_version:
      - 2
      - 0
    .max_flat_workgroup_size: 512
    .name:           _Z16sort_keys_kernelIhLj512ELj4EN10test_utils4lessELj10EEvPKT_PS2_T2_
    .private_segment_fixed_size: 0
    .sgpr_count:     42
    .sgpr_spill_count: 0
    .symbol:         _Z16sort_keys_kernelIhLj512ELj4EN10test_utils4lessELj10EEvPKT_PS2_T2_.kd
    .uniform_work_group_size: 1
    .uses_dynamic_stack: false
    .vgpr_count:     65
    .vgpr_spill_count: 0
    .wavefront_size: 64
  - .args:
      - .address_space:  global
        .offset:         0
        .size:           8
        .value_kind:     global_buffer
      - .address_space:  global
        .offset:         8
        .size:           8
        .value_kind:     global_buffer
      - .offset:         16
        .size:           1
        .value_kind:     by_value
    .group_segment_fixed_size: 2049
    .kernarg_segment_align: 8
    .kernarg_segment_size: 20
    .language:       OpenCL C
    .language_version:
      - 2
      - 0
    .max_flat_workgroup_size: 512
    .name:           _Z17sort_pairs_kernelIhLj512ELj4EN10test_utils4lessELj10EEvPKT_PS2_T2_
    .private_segment_fixed_size: 0
    .sgpr_count:     54
    .sgpr_spill_count: 0
    .symbol:         _Z17sort_pairs_kernelIhLj512ELj4EN10test_utils4lessELj10EEvPKT_PS2_T2_.kd
    .uniform_work_group_size: 1
    .uses_dynamic_stack: false
    .vgpr_count:     74
    .vgpr_spill_count: 0
    .wavefront_size: 64
  - .args:
      - .address_space:  global
        .offset:         0
        .size:           8
        .value_kind:     global_buffer
      - .address_space:  global
        .offset:         8
        .size:           8
        .value_kind:     global_buffer
      - .offset:         16
        .size:           1
        .value_kind:     by_value
    .group_segment_fixed_size: 4097
    .kernarg_segment_align: 8
    .kernarg_segment_size: 20
    .language:       OpenCL C
    .language_version:
      - 2
      - 0
    .max_flat_workgroup_size: 512
    .name:           _Z16sort_keys_kernelIhLj512ELj8EN10test_utils4lessELj10EEvPKT_PS2_T2_
    .private_segment_fixed_size: 0
    .sgpr_count:     52
    .sgpr_spill_count: 0
    .symbol:         _Z16sort_keys_kernelIhLj512ELj8EN10test_utils4lessELj10EEvPKT_PS2_T2_.kd
    .uniform_work_group_size: 1
    .uses_dynamic_stack: false
    .vgpr_count:     73
    .vgpr_spill_count: 0
    .wavefront_size: 64
  - .args:
      - .address_space:  global
        .offset:         0
        .size:           8
        .value_kind:     global_buffer
      - .address_space:  global
        .offset:         8
        .size:           8
        .value_kind:     global_buffer
      - .offset:         16
        .size:           1
        .value_kind:     by_value
    .group_segment_fixed_size: 4097
    .kernarg_segment_align: 8
    .kernarg_segment_size: 20
    .language:       OpenCL C
    .language_version:
      - 2
      - 0
    .max_flat_workgroup_size: 512
    .name:           _Z17sort_pairs_kernelIhLj512ELj8EN10test_utils4lessELj10EEvPKT_PS2_T2_
    .private_segment_fixed_size: 0
    .sgpr_count:     100
    .sgpr_spill_count: 11
    .symbol:         _Z17sort_pairs_kernelIhLj512ELj8EN10test_utils4lessELj10EEvPKT_PS2_T2_.kd
    .uniform_work_group_size: 1
    .uses_dynamic_stack: false
    .vgpr_count:     95
    .vgpr_spill_count: 0
    .wavefront_size: 64
  - .args:
      - .address_space:  global
        .offset:         0
        .size:           8
        .value_kind:     global_buffer
      - .address_space:  global
        .offset:         8
        .size:           8
        .value_kind:     global_buffer
      - .offset:         16
        .size:           1
        .value_kind:     by_value
    .group_segment_fixed_size: 520
    .kernarg_segment_align: 8
    .kernarg_segment_size: 20
    .language:       OpenCL C
    .language_version:
      - 2
      - 0
    .max_flat_workgroup_size: 64
    .name:           _Z16sort_keys_kernelIxLj64ELj1EN10test_utils4lessELj10EEvPKT_PS2_T2_
    .private_segment_fixed_size: 0
    .sgpr_count:     28
    .sgpr_spill_count: 0
    .symbol:         _Z16sort_keys_kernelIxLj64ELj1EN10test_utils4lessELj10EEvPKT_PS2_T2_.kd
    .uniform_work_group_size: 1
    .uses_dynamic_stack: false
    .vgpr_count:     48
    .vgpr_spill_count: 0
    .wavefront_size: 64
  - .args:
      - .address_space:  global
        .offset:         0
        .size:           8
        .value_kind:     global_buffer
      - .address_space:  global
        .offset:         8
        .size:           8
        .value_kind:     global_buffer
      - .offset:         16
        .size:           1
        .value_kind:     by_value
    .group_segment_fixed_size: 520
    .kernarg_segment_align: 8
    .kernarg_segment_size: 20
    .language:       OpenCL C
    .language_version:
      - 2
      - 0
    .max_flat_workgroup_size: 64
    .name:           _Z17sort_pairs_kernelIxLj64ELj1EN10test_utils4lessELj10EEvPKT_PS2_T2_
    .private_segment_fixed_size: 0
    .sgpr_count:     28
    .sgpr_spill_count: 0
    .symbol:         _Z17sort_pairs_kernelIxLj64ELj1EN10test_utils4lessELj10EEvPKT_PS2_T2_.kd
    .uniform_work_group_size: 1
    .uses_dynamic_stack: false
    .vgpr_count:     55
    .vgpr_spill_count: 0
    .wavefront_size: 64
  - .args:
      - .address_space:  global
        .offset:         0
        .size:           8
        .value_kind:     global_buffer
      - .address_space:  global
        .offset:         8
        .size:           8
        .value_kind:     global_buffer
      - .offset:         16
        .size:           1
        .value_kind:     by_value
    .group_segment_fixed_size: 1032
    .kernarg_segment_align: 8
    .kernarg_segment_size: 20
    .language:       OpenCL C
    .language_version:
      - 2
      - 0
    .max_flat_workgroup_size: 64
    .name:           _Z16sort_keys_kernelIxLj64ELj2EN10test_utils4lessELj10EEvPKT_PS2_T2_
    .private_segment_fixed_size: 0
    .sgpr_count:     28
    .sgpr_spill_count: 0
    .symbol:         _Z16sort_keys_kernelIxLj64ELj2EN10test_utils4lessELj10EEvPKT_PS2_T2_.kd
    .uniform_work_group_size: 1
    .uses_dynamic_stack: false
    .vgpr_count:     57
    .vgpr_spill_count: 0
    .wavefront_size: 64
  - .args:
      - .address_space:  global
        .offset:         0
        .size:           8
        .value_kind:     global_buffer
      - .address_space:  global
        .offset:         8
        .size:           8
        .value_kind:     global_buffer
      - .offset:         16
        .size:           1
        .value_kind:     by_value
    .group_segment_fixed_size: 1032
    .kernarg_segment_align: 8
    .kernarg_segment_size: 20
    .language:       OpenCL C
    .language_version:
      - 2
      - 0
    .max_flat_workgroup_size: 64
    .name:           _Z17sort_pairs_kernelIxLj64ELj2EN10test_utils4lessELj10EEvPKT_PS2_T2_
    .private_segment_fixed_size: 0
    .sgpr_count:     28
    .sgpr_spill_count: 0
    .symbol:         _Z17sort_pairs_kernelIxLj64ELj2EN10test_utils4lessELj10EEvPKT_PS2_T2_.kd
    .uniform_work_group_size: 1
    .uses_dynamic_stack: false
    .vgpr_count:     63
    .vgpr_spill_count: 0
    .wavefront_size: 64
  - .args:
      - .address_space:  global
        .offset:         0
        .size:           8
        .value_kind:     global_buffer
      - .address_space:  global
        .offset:         8
        .size:           8
        .value_kind:     global_buffer
      - .offset:         16
        .size:           1
        .value_kind:     by_value
    .group_segment_fixed_size: 1544
    .kernarg_segment_align: 8
    .kernarg_segment_size: 20
    .language:       OpenCL C
    .language_version:
      - 2
      - 0
    .max_flat_workgroup_size: 64
    .name:           _Z16sort_keys_kernelIxLj64ELj3EN10test_utils4lessELj10EEvPKT_PS2_T2_
    .private_segment_fixed_size: 0
    .sgpr_count:     28
    .sgpr_spill_count: 0
    .symbol:         _Z16sort_keys_kernelIxLj64ELj3EN10test_utils4lessELj10EEvPKT_PS2_T2_.kd
    .uniform_work_group_size: 1
    .uses_dynamic_stack: false
    .vgpr_count:     68
    .vgpr_spill_count: 0
    .wavefront_size: 64
  - .args:
      - .address_space:  global
        .offset:         0
        .size:           8
        .value_kind:     global_buffer
      - .address_space:  global
        .offset:         8
        .size:           8
        .value_kind:     global_buffer
      - .offset:         16
        .size:           1
        .value_kind:     by_value
    .group_segment_fixed_size: 1544
    .kernarg_segment_align: 8
    .kernarg_segment_size: 20
    .language:       OpenCL C
    .language_version:
      - 2
      - 0
    .max_flat_workgroup_size: 64
    .name:           _Z17sort_pairs_kernelIxLj64ELj3EN10test_utils4lessELj10EEvPKT_PS2_T2_
    .private_segment_fixed_size: 0
    .sgpr_count:     36
    .sgpr_spill_count: 0
    .symbol:         _Z17sort_pairs_kernelIxLj64ELj3EN10test_utils4lessELj10EEvPKT_PS2_T2_.kd
    .uniform_work_group_size: 1
    .uses_dynamic_stack: false
    .vgpr_count:     77
    .vgpr_spill_count: 0
    .wavefront_size: 64
  - .args:
      - .address_space:  global
        .offset:         0
        .size:           8
        .value_kind:     global_buffer
      - .address_space:  global
        .offset:         8
        .size:           8
        .value_kind:     global_buffer
      - .offset:         16
        .size:           1
        .value_kind:     by_value
    .group_segment_fixed_size: 2056
    .kernarg_segment_align: 8
    .kernarg_segment_size: 20
    .language:       OpenCL C
    .language_version:
      - 2
      - 0
    .max_flat_workgroup_size: 64
    .name:           _Z16sort_keys_kernelIxLj64ELj4EN10test_utils4lessELj10EEvPKT_PS2_T2_
    .private_segment_fixed_size: 0
    .sgpr_count:     32
    .sgpr_spill_count: 0
    .symbol:         _Z16sort_keys_kernelIxLj64ELj4EN10test_utils4lessELj10EEvPKT_PS2_T2_.kd
    .uniform_work_group_size: 1
    .uses_dynamic_stack: false
    .vgpr_count:     67
    .vgpr_spill_count: 0
    .wavefront_size: 64
  - .args:
      - .address_space:  global
        .offset:         0
        .size:           8
        .value_kind:     global_buffer
      - .address_space:  global
        .offset:         8
        .size:           8
        .value_kind:     global_buffer
      - .offset:         16
        .size:           1
        .value_kind:     by_value
    .group_segment_fixed_size: 2056
    .kernarg_segment_align: 8
    .kernarg_segment_size: 20
    .language:       OpenCL C
    .language_version:
      - 2
      - 0
    .max_flat_workgroup_size: 64
    .name:           _Z17sort_pairs_kernelIxLj64ELj4EN10test_utils4lessELj10EEvPKT_PS2_T2_
    .private_segment_fixed_size: 0
    .sgpr_count:     46
    .sgpr_spill_count: 0
    .symbol:         _Z17sort_pairs_kernelIxLj64ELj4EN10test_utils4lessELj10EEvPKT_PS2_T2_.kd
    .uniform_work_group_size: 1
    .uses_dynamic_stack: false
    .vgpr_count:     79
    .vgpr_spill_count: 0
    .wavefront_size: 64
  - .args:
      - .address_space:  global
        .offset:         0
        .size:           8
        .value_kind:     global_buffer
      - .address_space:  global
        .offset:         8
        .size:           8
        .value_kind:     global_buffer
      - .offset:         16
        .size:           1
        .value_kind:     by_value
    .group_segment_fixed_size: 4104
    .kernarg_segment_align: 8
    .kernarg_segment_size: 20
    .language:       OpenCL C
    .language_version:
      - 2
      - 0
    .max_flat_workgroup_size: 64
    .name:           _Z16sort_keys_kernelIxLj64ELj8EN10test_utils4lessELj10EEvPKT_PS2_T2_
    .private_segment_fixed_size: 0
    .sgpr_count:     42
    .sgpr_spill_count: 0
    .symbol:         _Z16sort_keys_kernelIxLj64ELj8EN10test_utils4lessELj10EEvPKT_PS2_T2_.kd
    .uniform_work_group_size: 1
    .uses_dynamic_stack: false
    .vgpr_count:     85
    .vgpr_spill_count: 0
    .wavefront_size: 64
  - .args:
      - .address_space:  global
        .offset:         0
        .size:           8
        .value_kind:     global_buffer
      - .address_space:  global
        .offset:         8
        .size:           8
        .value_kind:     global_buffer
      - .offset:         16
        .size:           1
        .value_kind:     by_value
    .group_segment_fixed_size: 4104
    .kernarg_segment_align: 8
    .kernarg_segment_size: 20
    .language:       OpenCL C
    .language_version:
      - 2
      - 0
    .max_flat_workgroup_size: 64
    .name:           _Z17sort_pairs_kernelIxLj64ELj8EN10test_utils4lessELj10EEvPKT_PS2_T2_
    .private_segment_fixed_size: 0
    .sgpr_count:     96
    .sgpr_spill_count: 0
    .symbol:         _Z17sort_pairs_kernelIxLj64ELj8EN10test_utils4lessELj10EEvPKT_PS2_T2_.kd
    .uniform_work_group_size: 1
    .uses_dynamic_stack: false
    .vgpr_count:     114
    .vgpr_spill_count: 0
    .wavefront_size: 64
  - .args:
      - .address_space:  global
        .offset:         0
        .size:           8
        .value_kind:     global_buffer
      - .address_space:  global
        .offset:         8
        .size:           8
        .value_kind:     global_buffer
      - .offset:         16
        .size:           1
        .value_kind:     by_value
    .group_segment_fixed_size: 1032
    .kernarg_segment_align: 8
    .kernarg_segment_size: 20
    .language:       OpenCL C
    .language_version:
      - 2
      - 0
    .max_flat_workgroup_size: 128
    .name:           _Z16sort_keys_kernelIxLj128ELj1EN10test_utils4lessELj10EEvPKT_PS2_T2_
    .private_segment_fixed_size: 0
    .sgpr_count:     28
    .sgpr_spill_count: 0
    .symbol:         _Z16sort_keys_kernelIxLj128ELj1EN10test_utils4lessELj10EEvPKT_PS2_T2_.kd
    .uniform_work_group_size: 1
    .uses_dynamic_stack: false
    .vgpr_count:     56
    .vgpr_spill_count: 0
    .wavefront_size: 64
  - .args:
      - .address_space:  global
        .offset:         0
        .size:           8
        .value_kind:     global_buffer
      - .address_space:  global
        .offset:         8
        .size:           8
        .value_kind:     global_buffer
      - .offset:         16
        .size:           1
        .value_kind:     by_value
    .group_segment_fixed_size: 1032
    .kernarg_segment_align: 8
    .kernarg_segment_size: 20
    .language:       OpenCL C
    .language_version:
      - 2
      - 0
    .max_flat_workgroup_size: 128
    .name:           _Z17sort_pairs_kernelIxLj128ELj1EN10test_utils4lessELj10EEvPKT_PS2_T2_
    .private_segment_fixed_size: 0
    .sgpr_count:     28
    .sgpr_spill_count: 0
    .symbol:         _Z17sort_pairs_kernelIxLj128ELj1EN10test_utils4lessELj10EEvPKT_PS2_T2_.kd
    .uniform_work_group_size: 1
    .uses_dynamic_stack: false
    .vgpr_count:     63
    .vgpr_spill_count: 0
    .wavefront_size: 64
  - .args:
      - .address_space:  global
        .offset:         0
        .size:           8
        .value_kind:     global_buffer
      - .address_space:  global
        .offset:         8
        .size:           8
        .value_kind:     global_buffer
      - .offset:         16
        .size:           1
        .value_kind:     by_value
    .group_segment_fixed_size: 2056
    .kernarg_segment_align: 8
    .kernarg_segment_size: 20
    .language:       OpenCL C
    .language_version:
      - 2
      - 0
    .max_flat_workgroup_size: 128
    .name:           _Z16sort_keys_kernelIxLj128ELj2EN10test_utils4lessELj10EEvPKT_PS2_T2_
    .private_segment_fixed_size: 0
    .sgpr_count:     28
    .sgpr_spill_count: 0
    .symbol:         _Z16sort_keys_kernelIxLj128ELj2EN10test_utils4lessELj10EEvPKT_PS2_T2_.kd
    .uniform_work_group_size: 1
    .uses_dynamic_stack: false
    .vgpr_count:     66
    .vgpr_spill_count: 0
    .wavefront_size: 64
  - .args:
      - .address_space:  global
        .offset:         0
        .size:           8
        .value_kind:     global_buffer
      - .address_space:  global
        .offset:         8
        .size:           8
        .value_kind:     global_buffer
      - .offset:         16
        .size:           1
        .value_kind:     by_value
    .group_segment_fixed_size: 2056
    .kernarg_segment_align: 8
    .kernarg_segment_size: 20
    .language:       OpenCL C
    .language_version:
      - 2
      - 0
    .max_flat_workgroup_size: 128
    .name:           _Z17sort_pairs_kernelIxLj128ELj2EN10test_utils4lessELj10EEvPKT_PS2_T2_
    .private_segment_fixed_size: 0
    .sgpr_count:     32
    .sgpr_spill_count: 0
    .symbol:         _Z17sort_pairs_kernelIxLj128ELj2EN10test_utils4lessELj10EEvPKT_PS2_T2_.kd
    .uniform_work_group_size: 1
    .uses_dynamic_stack: false
    .vgpr_count:     72
    .vgpr_spill_count: 0
    .wavefront_size: 64
  - .args:
      - .address_space:  global
        .offset:         0
        .size:           8
        .value_kind:     global_buffer
      - .address_space:  global
        .offset:         8
        .size:           8
        .value_kind:     global_buffer
      - .offset:         16
        .size:           1
        .value_kind:     by_value
    .group_segment_fixed_size: 3080
    .kernarg_segment_align: 8
    .kernarg_segment_size: 20
    .language:       OpenCL C
    .language_version:
      - 2
      - 0
    .max_flat_workgroup_size: 128
    .name:           _Z16sort_keys_kernelIxLj128ELj3EN10test_utils4lessELj10EEvPKT_PS2_T2_
    .private_segment_fixed_size: 0
    .sgpr_count:     32
    .sgpr_spill_count: 0
    .symbol:         _Z16sort_keys_kernelIxLj128ELj3EN10test_utils4lessELj10EEvPKT_PS2_T2_.kd
    .uniform_work_group_size: 1
    .uses_dynamic_stack: false
    .vgpr_count:     77
    .vgpr_spill_count: 0
    .wavefront_size: 64
  - .args:
      - .address_space:  global
        .offset:         0
        .size:           8
        .value_kind:     global_buffer
      - .address_space:  global
        .offset:         8
        .size:           8
        .value_kind:     global_buffer
      - .offset:         16
        .size:           1
        .value_kind:     by_value
    .group_segment_fixed_size: 3080
    .kernarg_segment_align: 8
    .kernarg_segment_size: 20
    .language:       OpenCL C
    .language_version:
      - 2
      - 0
    .max_flat_workgroup_size: 128
    .name:           _Z17sort_pairs_kernelIxLj128ELj3EN10test_utils4lessELj10EEvPKT_PS2_T2_
    .private_segment_fixed_size: 0
    .sgpr_count:     36
    .sgpr_spill_count: 0
    .symbol:         _Z17sort_pairs_kernelIxLj128ELj3EN10test_utils4lessELj10EEvPKT_PS2_T2_.kd
    .uniform_work_group_size: 1
    .uses_dynamic_stack: false
    .vgpr_count:     84
    .vgpr_spill_count: 0
    .wavefront_size: 64
  - .args:
      - .address_space:  global
        .offset:         0
        .size:           8
        .value_kind:     global_buffer
      - .address_space:  global
        .offset:         8
        .size:           8
        .value_kind:     global_buffer
      - .offset:         16
        .size:           1
        .value_kind:     by_value
    .group_segment_fixed_size: 4104
    .kernarg_segment_align: 8
    .kernarg_segment_size: 20
    .language:       OpenCL C
    .language_version:
      - 2
      - 0
    .max_flat_workgroup_size: 128
    .name:           _Z16sort_keys_kernelIxLj128ELj4EN10test_utils4lessELj10EEvPKT_PS2_T2_
    .private_segment_fixed_size: 0
    .sgpr_count:     32
    .sgpr_spill_count: 0
    .symbol:         _Z16sort_keys_kernelIxLj128ELj4EN10test_utils4lessELj10EEvPKT_PS2_T2_.kd
    .uniform_work_group_size: 1
    .uses_dynamic_stack: false
    .vgpr_count:     75
    .vgpr_spill_count: 0
    .wavefront_size: 64
  - .args:
      - .address_space:  global
        .offset:         0
        .size:           8
        .value_kind:     global_buffer
      - .address_space:  global
        .offset:         8
        .size:           8
        .value_kind:     global_buffer
      - .offset:         16
        .size:           1
        .value_kind:     by_value
    .group_segment_fixed_size: 4104
    .kernarg_segment_align: 8
    .kernarg_segment_size: 20
    .language:       OpenCL C
    .language_version:
      - 2
      - 0
    .max_flat_workgroup_size: 128
    .name:           _Z17sort_pairs_kernelIxLj128ELj4EN10test_utils4lessELj10EEvPKT_PS2_T2_
    .private_segment_fixed_size: 0
    .sgpr_count:     48
    .sgpr_spill_count: 0
    .symbol:         _Z17sort_pairs_kernelIxLj128ELj4EN10test_utils4lessELj10EEvPKT_PS2_T2_.kd
    .uniform_work_group_size: 1
    .uses_dynamic_stack: false
    .vgpr_count:     87
    .vgpr_spill_count: 0
    .wavefront_size: 64
  - .args:
      - .address_space:  global
        .offset:         0
        .size:           8
        .value_kind:     global_buffer
      - .address_space:  global
        .offset:         8
        .size:           8
        .value_kind:     global_buffer
      - .offset:         16
        .size:           1
        .value_kind:     by_value
    .group_segment_fixed_size: 8200
    .kernarg_segment_align: 8
    .kernarg_segment_size: 20
    .language:       OpenCL C
    .language_version:
      - 2
      - 0
    .max_flat_workgroup_size: 128
    .name:           _Z16sort_keys_kernelIxLj128ELj8EN10test_utils4lessELj10EEvPKT_PS2_T2_
    .private_segment_fixed_size: 0
    .sgpr_count:     42
    .sgpr_spill_count: 0
    .symbol:         _Z16sort_keys_kernelIxLj128ELj8EN10test_utils4lessELj10EEvPKT_PS2_T2_.kd
    .uniform_work_group_size: 1
    .uses_dynamic_stack: false
    .vgpr_count:     93
    .vgpr_spill_count: 0
    .wavefront_size: 64
  - .args:
      - .address_space:  global
        .offset:         0
        .size:           8
        .value_kind:     global_buffer
      - .address_space:  global
        .offset:         8
        .size:           8
        .value_kind:     global_buffer
      - .offset:         16
        .size:           1
        .value_kind:     by_value
    .group_segment_fixed_size: 8200
    .kernarg_segment_align: 8
    .kernarg_segment_size: 20
    .language:       OpenCL C
    .language_version:
      - 2
      - 0
    .max_flat_workgroup_size: 128
    .name:           _Z17sort_pairs_kernelIxLj128ELj8EN10test_utils4lessELj10EEvPKT_PS2_T2_
    .private_segment_fixed_size: 0
    .sgpr_count:     100
    .sgpr_spill_count: 0
    .symbol:         _Z17sort_pairs_kernelIxLj128ELj8EN10test_utils4lessELj10EEvPKT_PS2_T2_.kd
    .uniform_work_group_size: 1
    .uses_dynamic_stack: false
    .vgpr_count:     120
    .vgpr_spill_count: 0
    .wavefront_size: 64
  - .args:
      - .address_space:  global
        .offset:         0
        .size:           8
        .value_kind:     global_buffer
      - .address_space:  global
        .offset:         8
        .size:           8
        .value_kind:     global_buffer
      - .offset:         16
        .size:           1
        .value_kind:     by_value
    .group_segment_fixed_size: 2056
    .kernarg_segment_align: 8
    .kernarg_segment_size: 20
    .language:       OpenCL C
    .language_version:
      - 2
      - 0
    .max_flat_workgroup_size: 256
    .name:           _Z16sort_keys_kernelIxLj256ELj1EN10test_utils4lessELj10EEvPKT_PS2_T2_
    .private_segment_fixed_size: 0
    .sgpr_count:     32
    .sgpr_spill_count: 0
    .symbol:         _Z16sort_keys_kernelIxLj256ELj1EN10test_utils4lessELj10EEvPKT_PS2_T2_.kd
    .uniform_work_group_size: 1
    .uses_dynamic_stack: false
    .vgpr_count:     64
    .vgpr_spill_count: 0
    .wavefront_size: 64
  - .args:
      - .address_space:  global
        .offset:         0
        .size:           8
        .value_kind:     global_buffer
      - .address_space:  global
        .offset:         8
        .size:           8
        .value_kind:     global_buffer
      - .offset:         16
        .size:           1
        .value_kind:     by_value
    .group_segment_fixed_size: 2056
    .kernarg_segment_align: 8
    .kernarg_segment_size: 20
    .language:       OpenCL C
    .language_version:
      - 2
      - 0
    .max_flat_workgroup_size: 256
    .name:           _Z17sort_pairs_kernelIxLj256ELj1EN10test_utils4lessELj10EEvPKT_PS2_T2_
    .private_segment_fixed_size: 0
    .sgpr_count:     32
    .sgpr_spill_count: 0
    .symbol:         _Z17sort_pairs_kernelIxLj256ELj1EN10test_utils4lessELj10EEvPKT_PS2_T2_.kd
    .uniform_work_group_size: 1
    .uses_dynamic_stack: false
    .vgpr_count:     72
    .vgpr_spill_count: 0
    .wavefront_size: 64
  - .args:
      - .address_space:  global
        .offset:         0
        .size:           8
        .value_kind:     global_buffer
      - .address_space:  global
        .offset:         8
        .size:           8
        .value_kind:     global_buffer
      - .offset:         16
        .size:           1
        .value_kind:     by_value
    .group_segment_fixed_size: 4104
    .kernarg_segment_align: 8
    .kernarg_segment_size: 20
    .language:       OpenCL C
    .language_version:
      - 2
      - 0
    .max_flat_workgroup_size: 256
    .name:           _Z16sort_keys_kernelIxLj256ELj2EN10test_utils4lessELj10EEvPKT_PS2_T2_
    .private_segment_fixed_size: 0
    .sgpr_count:     32
    .sgpr_spill_count: 0
    .symbol:         _Z16sort_keys_kernelIxLj256ELj2EN10test_utils4lessELj10EEvPKT_PS2_T2_.kd
    .uniform_work_group_size: 1
    .uses_dynamic_stack: false
    .vgpr_count:     74
    .vgpr_spill_count: 0
    .wavefront_size: 64
  - .args:
      - .address_space:  global
        .offset:         0
        .size:           8
        .value_kind:     global_buffer
      - .address_space:  global
        .offset:         8
        .size:           8
        .value_kind:     global_buffer
      - .offset:         16
        .size:           1
        .value_kind:     by_value
    .group_segment_fixed_size: 4104
    .kernarg_segment_align: 8
    .kernarg_segment_size: 20
    .language:       OpenCL C
    .language_version:
      - 2
      - 0
    .max_flat_workgroup_size: 256
    .name:           _Z17sort_pairs_kernelIxLj256ELj2EN10test_utils4lessELj10EEvPKT_PS2_T2_
    .private_segment_fixed_size: 0
    .sgpr_count:     32
    .sgpr_spill_count: 0
    .symbol:         _Z17sort_pairs_kernelIxLj256ELj2EN10test_utils4lessELj10EEvPKT_PS2_T2_.kd
    .uniform_work_group_size: 1
    .uses_dynamic_stack: false
    .vgpr_count:     80
    .vgpr_spill_count: 0
    .wavefront_size: 64
  - .args:
      - .address_space:  global
        .offset:         0
        .size:           8
        .value_kind:     global_buffer
      - .address_space:  global
        .offset:         8
        .size:           8
        .value_kind:     global_buffer
      - .offset:         16
        .size:           1
        .value_kind:     by_value
    .group_segment_fixed_size: 6152
    .kernarg_segment_align: 8
    .kernarg_segment_size: 20
    .language:       OpenCL C
    .language_version:
      - 2
      - 0
    .max_flat_workgroup_size: 256
    .name:           _Z16sort_keys_kernelIxLj256ELj3EN10test_utils4lessELj10EEvPKT_PS2_T2_
    .private_segment_fixed_size: 0
    .sgpr_count:     32
    .sgpr_spill_count: 0
    .symbol:         _Z16sort_keys_kernelIxLj256ELj3EN10test_utils4lessELj10EEvPKT_PS2_T2_.kd
    .uniform_work_group_size: 1
    .uses_dynamic_stack: false
    .vgpr_count:     84
    .vgpr_spill_count: 0
    .wavefront_size: 64
  - .args:
      - .address_space:  global
        .offset:         0
        .size:           8
        .value_kind:     global_buffer
      - .address_space:  global
        .offset:         8
        .size:           8
        .value_kind:     global_buffer
      - .offset:         16
        .size:           1
        .value_kind:     by_value
    .group_segment_fixed_size: 6152
    .kernarg_segment_align: 8
    .kernarg_segment_size: 20
    .language:       OpenCL C
    .language_version:
      - 2
      - 0
    .max_flat_workgroup_size: 256
    .name:           _Z17sort_pairs_kernelIxLj256ELj3EN10test_utils4lessELj10EEvPKT_PS2_T2_
    .private_segment_fixed_size: 0
    .sgpr_count:     42
    .sgpr_spill_count: 0
    .symbol:         _Z17sort_pairs_kernelIxLj256ELj3EN10test_utils4lessELj10EEvPKT_PS2_T2_.kd
    .uniform_work_group_size: 1
    .uses_dynamic_stack: false
    .vgpr_count:     95
    .vgpr_spill_count: 0
    .wavefront_size: 64
  - .args:
      - .address_space:  global
        .offset:         0
        .size:           8
        .value_kind:     global_buffer
      - .address_space:  global
        .offset:         8
        .size:           8
        .value_kind:     global_buffer
      - .offset:         16
        .size:           1
        .value_kind:     by_value
    .group_segment_fixed_size: 8200
    .kernarg_segment_align: 8
    .kernarg_segment_size: 20
    .language:       OpenCL C
    .language_version:
      - 2
      - 0
    .max_flat_workgroup_size: 256
    .name:           _Z16sort_keys_kernelIxLj256ELj4EN10test_utils4lessELj10EEvPKT_PS2_T2_
    .private_segment_fixed_size: 0
    .sgpr_count:     36
    .sgpr_spill_count: 0
    .symbol:         _Z16sort_keys_kernelIxLj256ELj4EN10test_utils4lessELj10EEvPKT_PS2_T2_.kd
    .uniform_work_group_size: 1
    .uses_dynamic_stack: false
    .vgpr_count:     83
    .vgpr_spill_count: 0
    .wavefront_size: 64
  - .args:
      - .address_space:  global
        .offset:         0
        .size:           8
        .value_kind:     global_buffer
      - .address_space:  global
        .offset:         8
        .size:           8
        .value_kind:     global_buffer
      - .offset:         16
        .size:           1
        .value_kind:     by_value
    .group_segment_fixed_size: 8200
    .kernarg_segment_align: 8
    .kernarg_segment_size: 20
    .language:       OpenCL C
    .language_version:
      - 2
      - 0
    .max_flat_workgroup_size: 256
    .name:           _Z17sort_pairs_kernelIxLj256ELj4EN10test_utils4lessELj10EEvPKT_PS2_T2_
    .private_segment_fixed_size: 0
    .sgpr_count:     48
    .sgpr_spill_count: 0
    .symbol:         _Z17sort_pairs_kernelIxLj256ELj4EN10test_utils4lessELj10EEvPKT_PS2_T2_.kd
    .uniform_work_group_size: 1
    .uses_dynamic_stack: false
    .vgpr_count:     95
    .vgpr_spill_count: 0
    .wavefront_size: 64
  - .args:
      - .address_space:  global
        .offset:         0
        .size:           8
        .value_kind:     global_buffer
      - .address_space:  global
        .offset:         8
        .size:           8
        .value_kind:     global_buffer
      - .offset:         16
        .size:           1
        .value_kind:     by_value
    .group_segment_fixed_size: 16392
    .kernarg_segment_align: 8
    .kernarg_segment_size: 20
    .language:       OpenCL C
    .language_version:
      - 2
      - 0
    .max_flat_workgroup_size: 256
    .name:           _Z16sort_keys_kernelIxLj256ELj8EN10test_utils4lessELj10EEvPKT_PS2_T2_
    .private_segment_fixed_size: 0
    .sgpr_count:     46
    .sgpr_spill_count: 0
    .symbol:         _Z16sort_keys_kernelIxLj256ELj8EN10test_utils4lessELj10EEvPKT_PS2_T2_.kd
    .uniform_work_group_size: 1
    .uses_dynamic_stack: false
    .vgpr_count:     101
    .vgpr_spill_count: 0
    .wavefront_size: 64
  - .args:
      - .address_space:  global
        .offset:         0
        .size:           8
        .value_kind:     global_buffer
      - .address_space:  global
        .offset:         8
        .size:           8
        .value_kind:     global_buffer
      - .offset:         16
        .size:           1
        .value_kind:     by_value
    .group_segment_fixed_size: 16392
    .kernarg_segment_align: 8
    .kernarg_segment_size: 20
    .language:       OpenCL C
    .language_version:
      - 2
      - 0
    .max_flat_workgroup_size: 256
    .name:           _Z17sort_pairs_kernelIxLj256ELj8EN10test_utils4lessELj10EEvPKT_PS2_T2_
    .private_segment_fixed_size: 0
    .sgpr_count:     100
    .sgpr_spill_count: 4
    .symbol:         _Z17sort_pairs_kernelIxLj256ELj8EN10test_utils4lessELj10EEvPKT_PS2_T2_.kd
    .uniform_work_group_size: 1
    .uses_dynamic_stack: false
    .vgpr_count:     128
    .vgpr_spill_count: 0
    .wavefront_size: 64
  - .args:
      - .address_space:  global
        .offset:         0
        .size:           8
        .value_kind:     global_buffer
      - .address_space:  global
        .offset:         8
        .size:           8
        .value_kind:     global_buffer
      - .offset:         16
        .size:           1
        .value_kind:     by_value
    .group_segment_fixed_size: 4104
    .kernarg_segment_align: 8
    .kernarg_segment_size: 20
    .language:       OpenCL C
    .language_version:
      - 2
      - 0
    .max_flat_workgroup_size: 512
    .name:           _Z16sort_keys_kernelIxLj512ELj1EN10test_utils4lessELj10EEvPKT_PS2_T2_
    .private_segment_fixed_size: 0
    .sgpr_count:     32
    .sgpr_spill_count: 0
    .symbol:         _Z16sort_keys_kernelIxLj512ELj1EN10test_utils4lessELj10EEvPKT_PS2_T2_.kd
    .uniform_work_group_size: 1
    .uses_dynamic_stack: false
    .vgpr_count:     71
    .vgpr_spill_count: 0
    .wavefront_size: 64
  - .args:
      - .address_space:  global
        .offset:         0
        .size:           8
        .value_kind:     global_buffer
      - .address_space:  global
        .offset:         8
        .size:           8
        .value_kind:     global_buffer
      - .offset:         16
        .size:           1
        .value_kind:     by_value
    .group_segment_fixed_size: 4104
    .kernarg_segment_align: 8
    .kernarg_segment_size: 20
    .language:       OpenCL C
    .language_version:
      - 2
      - 0
    .max_flat_workgroup_size: 512
    .name:           _Z17sort_pairs_kernelIxLj512ELj1EN10test_utils4lessELj10EEvPKT_PS2_T2_
    .private_segment_fixed_size: 0
    .sgpr_count:     32
    .sgpr_spill_count: 0
    .symbol:         _Z17sort_pairs_kernelIxLj512ELj1EN10test_utils4lessELj10EEvPKT_PS2_T2_.kd
    .uniform_work_group_size: 1
    .uses_dynamic_stack: false
    .vgpr_count:     80
    .vgpr_spill_count: 0
    .wavefront_size: 64
  - .args:
      - .address_space:  global
        .offset:         0
        .size:           8
        .value_kind:     global_buffer
      - .address_space:  global
        .offset:         8
        .size:           8
        .value_kind:     global_buffer
      - .offset:         16
        .size:           1
        .value_kind:     by_value
    .group_segment_fixed_size: 8200
    .kernarg_segment_align: 8
    .kernarg_segment_size: 20
    .language:       OpenCL C
    .language_version:
      - 2
      - 0
    .max_flat_workgroup_size: 512
    .name:           _Z16sort_keys_kernelIxLj512ELj2EN10test_utils4lessELj10EEvPKT_PS2_T2_
    .private_segment_fixed_size: 0
    .sgpr_count:     32
    .sgpr_spill_count: 0
    .symbol:         _Z16sort_keys_kernelIxLj512ELj2EN10test_utils4lessELj10EEvPKT_PS2_T2_.kd
    .uniform_work_group_size: 1
    .uses_dynamic_stack: false
    .vgpr_count:     82
    .vgpr_spill_count: 0
    .wavefront_size: 64
  - .args:
      - .address_space:  global
        .offset:         0
        .size:           8
        .value_kind:     global_buffer
      - .address_space:  global
        .offset:         8
        .size:           8
        .value_kind:     global_buffer
      - .offset:         16
        .size:           1
        .value_kind:     by_value
    .group_segment_fixed_size: 8200
    .kernarg_segment_align: 8
    .kernarg_segment_size: 20
    .language:       OpenCL C
    .language_version:
      - 2
      - 0
    .max_flat_workgroup_size: 512
    .name:           _Z17sort_pairs_kernelIxLj512ELj2EN10test_utils4lessELj10EEvPKT_PS2_T2_
    .private_segment_fixed_size: 0
    .sgpr_count:     36
    .sgpr_spill_count: 0
    .symbol:         _Z17sort_pairs_kernelIxLj512ELj2EN10test_utils4lessELj10EEvPKT_PS2_T2_.kd
    .uniform_work_group_size: 1
    .uses_dynamic_stack: false
    .vgpr_count:     88
    .vgpr_spill_count: 0
    .wavefront_size: 64
  - .args:
      - .address_space:  global
        .offset:         0
        .size:           8
        .value_kind:     global_buffer
      - .address_space:  global
        .offset:         8
        .size:           8
        .value_kind:     global_buffer
      - .offset:         16
        .size:           1
        .value_kind:     by_value
    .group_segment_fixed_size: 12296
    .kernarg_segment_align: 8
    .kernarg_segment_size: 20
    .language:       OpenCL C
    .language_version:
      - 2
      - 0
    .max_flat_workgroup_size: 512
    .name:           _Z16sort_keys_kernelIxLj512ELj3EN10test_utils4lessELj10EEvPKT_PS2_T2_
    .private_segment_fixed_size: 0
    .sgpr_count:     36
    .sgpr_spill_count: 0
    .symbol:         _Z16sort_keys_kernelIxLj512ELj3EN10test_utils4lessELj10EEvPKT_PS2_T2_.kd
    .uniform_work_group_size: 1
    .uses_dynamic_stack: false
    .vgpr_count:     96
    .vgpr_spill_count: 0
    .wavefront_size: 64
  - .args:
      - .address_space:  global
        .offset:         0
        .size:           8
        .value_kind:     global_buffer
      - .address_space:  global
        .offset:         8
        .size:           8
        .value_kind:     global_buffer
      - .offset:         16
        .size:           1
        .value_kind:     by_value
    .group_segment_fixed_size: 12296
    .kernarg_segment_align: 8
    .kernarg_segment_size: 20
    .language:       OpenCL C
    .language_version:
      - 2
      - 0
    .max_flat_workgroup_size: 512
    .name:           _Z17sort_pairs_kernelIxLj512ELj3EN10test_utils4lessELj10EEvPKT_PS2_T2_
    .private_segment_fixed_size: 0
    .sgpr_count:     42
    .sgpr_spill_count: 0
    .symbol:         _Z17sort_pairs_kernelIxLj512ELj3EN10test_utils4lessELj10EEvPKT_PS2_T2_.kd
    .uniform_work_group_size: 1
    .uses_dynamic_stack: false
    .vgpr_count:     104
    .vgpr_spill_count: 0
    .wavefront_size: 64
  - .args:
      - .address_space:  global
        .offset:         0
        .size:           8
        .value_kind:     global_buffer
      - .address_space:  global
        .offset:         8
        .size:           8
        .value_kind:     global_buffer
      - .offset:         16
        .size:           1
        .value_kind:     by_value
    .group_segment_fixed_size: 16392
    .kernarg_segment_align: 8
    .kernarg_segment_size: 20
    .language:       OpenCL C
    .language_version:
      - 2
      - 0
    .max_flat_workgroup_size: 512
    .name:           _Z16sort_keys_kernelIxLj512ELj4EN10test_utils4lessELj10EEvPKT_PS2_T2_
    .private_segment_fixed_size: 0
    .sgpr_count:     36
    .sgpr_spill_count: 0
    .symbol:         _Z16sort_keys_kernelIxLj512ELj4EN10test_utils4lessELj10EEvPKT_PS2_T2_.kd
    .uniform_work_group_size: 1
    .uses_dynamic_stack: false
    .vgpr_count:     91
    .vgpr_spill_count: 0
    .wavefront_size: 64
  - .args:
      - .address_space:  global
        .offset:         0
        .size:           8
        .value_kind:     global_buffer
      - .address_space:  global
        .offset:         8
        .size:           8
        .value_kind:     global_buffer
      - .offset:         16
        .size:           1
        .value_kind:     by_value
    .group_segment_fixed_size: 16392
    .kernarg_segment_align: 8
    .kernarg_segment_size: 20
    .language:       OpenCL C
    .language_version:
      - 2
      - 0
    .max_flat_workgroup_size: 512
    .name:           _Z17sort_pairs_kernelIxLj512ELj4EN10test_utils4lessELj10EEvPKT_PS2_T2_
    .private_segment_fixed_size: 0
    .sgpr_count:     52
    .sgpr_spill_count: 0
    .symbol:         _Z17sort_pairs_kernelIxLj512ELj4EN10test_utils4lessELj10EEvPKT_PS2_T2_.kd
    .uniform_work_group_size: 1
    .uses_dynamic_stack: false
    .vgpr_count:     103
    .vgpr_spill_count: 0
    .wavefront_size: 64
  - .args:
      - .address_space:  global
        .offset:         0
        .size:           8
        .value_kind:     global_buffer
      - .address_space:  global
        .offset:         8
        .size:           8
        .value_kind:     global_buffer
      - .offset:         16
        .size:           1
        .value_kind:     by_value
    .group_segment_fixed_size: 32776
    .kernarg_segment_align: 8
    .kernarg_segment_size: 20
    .language:       OpenCL C
    .language_version:
      - 2
      - 0
    .max_flat_workgroup_size: 512
    .name:           _Z16sort_keys_kernelIxLj512ELj8EN10test_utils4lessELj10EEvPKT_PS2_T2_
    .private_segment_fixed_size: 0
    .sgpr_count:     48
    .sgpr_spill_count: 0
    .symbol:         _Z16sort_keys_kernelIxLj512ELj8EN10test_utils4lessELj10EEvPKT_PS2_T2_.kd
    .uniform_work_group_size: 1
    .uses_dynamic_stack: false
    .vgpr_count:     109
    .vgpr_spill_count: 0
    .wavefront_size: 64
  - .args:
      - .address_space:  global
        .offset:         0
        .size:           8
        .value_kind:     global_buffer
      - .address_space:  global
        .offset:         8
        .size:           8
        .value_kind:     global_buffer
      - .offset:         16
        .size:           1
        .value_kind:     by_value
    .group_segment_fixed_size: 32776
    .kernarg_segment_align: 8
    .kernarg_segment_size: 20
    .language:       OpenCL C
    .language_version:
      - 2
      - 0
    .max_flat_workgroup_size: 512
    .name:           _Z17sort_pairs_kernelIxLj512ELj8EN10test_utils4lessELj10EEvPKT_PS2_T2_
    .private_segment_fixed_size: 36
    .sgpr_count:     104
    .sgpr_spill_count: 6
    .symbol:         _Z17sort_pairs_kernelIxLj512ELj8EN10test_utils4lessELj10EEvPKT_PS2_T2_.kd
    .uniform_work_group_size: 1
    .uses_dynamic_stack: false
    .vgpr_count:     128
    .vgpr_spill_count: 8
    .wavefront_size: 64
amdhsa.target:   amdgcn-amd-amdhsa--gfx906
amdhsa.version:
  - 1
  - 2
...

	.end_amdgpu_metadata
